;; amdgpu-corpus repo=ggml-org/llama.cpp kind=compiled arch=gfx950 opt=O3
	.amdgcn_target "amdgcn-amd-amdhsa--gfx950"
	.amdhsa_code_object_version 6
	.section	.text._ZL18flash_attn_ext_f16ILi64ELi64ELi8ELi8ELb0ELb0EEvPKcS1_S1_S1_S1_PKiPfP15HIP_vector_typeIfLj2EEffffjfiS5_IjLj3EEiiiiiiiiiiiliiliiiiil,"axG",@progbits,_ZL18flash_attn_ext_f16ILi64ELi64ELi8ELi8ELb0ELb0EEvPKcS1_S1_S1_S1_PKiPfP15HIP_vector_typeIfLj2EEffffjfiS5_IjLj3EEiiiiiiiiiiiliiliiiiil,comdat
	.globl	_ZL18flash_attn_ext_f16ILi64ELi64ELi8ELi8ELb0ELb0EEvPKcS1_S1_S1_S1_PKiPfP15HIP_vector_typeIfLj2EEffffjfiS5_IjLj3EEiiiiiiiiiiiliiliiiiil ; -- Begin function _ZL18flash_attn_ext_f16ILi64ELi64ELi8ELi8ELb0ELb0EEvPKcS1_S1_S1_S1_PKiPfP15HIP_vector_typeIfLj2EEffffjfiS5_IjLj3EEiiiiiiiiiiiliiliiiiil
	.p2align	8
	.type	_ZL18flash_attn_ext_f16ILi64ELi64ELi8ELi8ELb0ELb0EEvPKcS1_S1_S1_S1_PKiPfP15HIP_vector_typeIfLj2EEffffjfiS5_IjLj3EEiiiiiiiiiiiliiliiiiil,@function
_ZL18flash_attn_ext_f16ILi64ELi64ELi8ELi8ELb0ELb0EEvPKcS1_S1_S1_S1_PKiPfP15HIP_vector_typeIfLj2EEffffjfiS5_IjLj3EEiiiiiiiiiiiliiliiiiil: ; @_ZL18flash_attn_ext_f16ILi64ELi64ELi8ELi8ELb0ELb0EEvPKcS1_S1_S1_S1_PKiPfP15HIP_vector_typeIfLj2EEffffjfiS5_IjLj3EEiiiiiiiiiiiliiliiiiil
; %bb.0:
	s_mov_b32 s23, s2
	s_load_dwordx2 s[2:3], s[0:1], 0x80
	s_load_dwordx4 s[24:27], s[0:1], 0x64
                                        ; implicit-def: $vgpr127 : SGPR spill to VGPR lane
	s_mov_b32 s6, 0
	s_waitcnt lgkmcnt(0)
	s_abs_i32 s4, s3
	v_cvt_f32_u32_e32 v1, s4
	s_sub_i32 s8, 0, s4
	s_abs_i32 s7, s25
	s_xor_b32 s5, s25, s3
	v_rcp_iflag_f32_e32 v1, v1
	s_ashr_i32 s5, s5, 31
	v_mul_f32_e32 v1, 0x4f7ffffe, v1
	v_cvt_u32_f32_e32 v1, v1
	s_nop 0
	v_readfirstlane_b32 s9, v1
	s_mul_i32 s8, s8, s9
	s_mul_hi_u32 s8, s9, s8
	s_add_i32 s9, s9, s8
	s_mul_hi_u32 s8, s7, s9
	s_mul_i32 s9, s8, s4
	s_sub_i32 s7, s7, s9
	s_add_i32 s10, s8, 1
	s_sub_i32 s9, s7, s4
	s_cmp_ge_u32 s7, s4
	s_cselect_b32 s8, s10, s8
	s_cselect_b32 s7, s9, s7
	s_add_i32 s9, s8, 1
	s_cmp_ge_u32 s7, s4
	s_cselect_b32 s4, s9, s8
	s_add_i32 s2, s2, 63
	s_xor_b32 s4, s4, s5
	s_ashr_i32 s7, s2, 31
	s_sub_i32 s33, s4, s5
	s_lshr_b32 s4, s7, 26
	s_add_i32 s2, s2, s4
	s_ashr_i32 s52, s2, 6
	s_add_i32 s2, s24, 7
	s_lshr_b32 s5, s2, 3
	s_add_i32 s2, s33, 7
	s_ashr_i32 s4, s2, 31
	s_lshr_b32 s4, s4, 29
	s_add_i32 s2, s2, s4
	s_ashr_i32 s2, s2, 3
	v_writelane_b32 v127, s5, 0
	s_mul_i32 s4, s5, s52
	v_writelane_b32 v127, s4, 1
	s_mul_i32 s2, s4, s2
	v_writelane_b32 v127, s2, 2
	s_mul_i32 s2, s2, s3
	v_writelane_b32 v127, s2, 3
	s_mul_i32 s2, s2, s26
	s_ashr_i32 s3, s2, 31
	s_mul_i32 s4, s3, s23
	s_mul_hi_u32 s5, s2, s23
	s_add_i32 s7, s5, s4
	s_load_dword s26, s[0:1], 0xd0
	s_add_u32 s4, s0, 0xd0
	s_addc_u32 s5, s1, 0
	v_writelane_b32 v127, s4, 4
	s_cmp_lg_u64 s[6:7], 0
	s_mul_i32 s6, s2, s23
	v_writelane_b32 v127, s5, 5
	s_cbranch_scc0 .LBB0_5
; %bb.1:
	s_waitcnt lgkmcnt(0)
	s_add_u32 s4, s26, 0
	s_addc_u32 s5, 0, 0
	s_xor_b64 s[8:9], s[4:5], 0
	v_cvt_f32_u32_e32 v1, s8
	v_cvt_f32_u32_e32 v2, s9
	s_sub_u32 s12, 0, s8
	s_subb_u32 s13, 0, s9
	v_fmamk_f32 v1, v2, 0x4f800000, v1
	v_rcp_f32_e32 v1, v1
	s_nop 0
	v_mul_f32_e32 v1, 0x5f7ffffc, v1
	v_mul_f32_e32 v2, 0x2f800000, v1
	v_trunc_f32_e32 v2, v2
	v_fmamk_f32 v1, v2, 0xcf800000, v1
	v_cvt_u32_f32_e32 v2, v2
	v_cvt_u32_f32_e32 v1, v1
	v_readfirstlane_b32 s14, v2
	v_readfirstlane_b32 s10, v1
	s_mul_i32 s11, s12, s14
	s_mul_hi_u32 s16, s12, s10
	s_mul_i32 s15, s13, s10
	s_add_i32 s11, s16, s11
	s_add_i32 s11, s11, s15
	s_mul_i32 s17, s12, s10
	s_mul_i32 s16, s10, s11
	s_mul_hi_u32 s18, s10, s17
	s_mul_hi_u32 s15, s10, s11
	s_add_u32 s16, s18, s16
	s_addc_u32 s15, 0, s15
	s_mul_hi_u32 s19, s14, s17
	s_mul_i32 s17, s14, s17
	s_add_u32 s16, s16, s17
	s_mul_hi_u32 s18, s14, s11
	s_addc_u32 s15, s15, s19
	s_addc_u32 s16, s18, 0
	s_mul_i32 s11, s14, s11
	s_add_u32 s11, s15, s11
	s_addc_u32 s15, 0, s16
	s_add_u32 s16, s10, s11
	s_cselect_b64 s[10:11], -1, 0
	s_cmp_lg_u64 s[10:11], 0
	s_addc_u32 s14, s14, s15
	s_mul_i32 s10, s12, s14
	s_mul_hi_u32 s11, s12, s16
	s_add_i32 s10, s11, s10
	s_mul_i32 s13, s13, s16
	s_add_i32 s10, s10, s13
	s_mul_i32 s12, s12, s16
	s_mul_hi_u32 s13, s14, s12
	s_mul_i32 s15, s14, s12
	s_mul_i32 s18, s16, s10
	s_mul_hi_u32 s12, s16, s12
	s_mul_hi_u32 s17, s16, s10
	s_add_u32 s12, s12, s18
	s_addc_u32 s17, 0, s17
	s_add_u32 s12, s12, s15
	s_mul_hi_u32 s11, s14, s10
	s_addc_u32 s12, s17, s13
	s_addc_u32 s11, s11, 0
	s_mul_i32 s10, s14, s10
	s_add_u32 s10, s12, s10
	s_addc_u32 s12, 0, s11
	s_add_u32 s15, s16, s10
	s_cselect_b64 s[10:11], -1, 0
	s_cmp_lg_u64 s[10:11], 0
	s_addc_u32 s14, s14, s12
	s_ashr_i32 s10, s7, 31
	s_add_u32 s12, s6, s10
	s_mov_b32 s11, s10
	s_addc_u32 s13, s7, s10
	s_xor_b64 s[12:13], s[12:13], s[10:11]
	s_mul_i32 s16, s12, s14
	s_mul_hi_u32 s17, s12, s15
	s_mul_hi_u32 s7, s12, s14
	s_add_u32 s16, s17, s16
	s_addc_u32 s7, 0, s7
	s_mul_hi_u32 s18, s13, s15
	s_mul_i32 s15, s13, s15
	s_add_u32 s15, s16, s15
	s_mul_hi_u32 s17, s13, s14
	s_addc_u32 s7, s7, s18
	s_addc_u32 s15, s17, 0
	s_mul_i32 s14, s13, s14
	s_add_u32 s7, s7, s14
	s_addc_u32 s18, 0, s15
	s_mul_i32 s14, s8, s18
	s_mul_hi_u32 s15, s8, s7
	s_add_i32 s14, s15, s14
	s_mul_i32 s15, s9, s7
	s_add_i32 s19, s14, s15
	s_sub_i32 s16, s13, s19
	s_mul_i32 s14, s8, s7
	s_sub_u32 s12, s12, s14
	s_cselect_b64 s[14:15], -1, 0
	s_cmp_lg_u64 s[14:15], 0
	s_subb_u32 s20, s16, s9
	s_sub_u32 s21, s12, s8
	s_cselect_b64 s[16:17], -1, 0
	s_cmp_lg_u64 s[16:17], 0
	s_subb_u32 s16, s20, 0
	s_cmp_ge_u32 s16, s9
	s_cselect_b32 s17, -1, 0
	s_cmp_ge_u32 s21, s8
	s_cselect_b32 s20, -1, 0
	s_cmp_eq_u32 s16, s9
	s_cselect_b32 s16, s20, s17
	s_add_u32 s17, s7, 1
	s_addc_u32 s20, s18, 0
	s_add_u32 s21, s7, 2
	s_addc_u32 s22, s18, 0
	s_cmp_lg_u32 s16, 0
	s_cselect_b32 s16, s21, s17
	s_cselect_b32 s17, s22, s20
	s_cmp_lg_u64 s[14:15], 0
	s_subb_u32 s13, s13, s19
	s_cmp_ge_u32 s13, s9
	s_cselect_b32 s14, -1, 0
	s_cmp_ge_u32 s12, s8
	s_cselect_b32 s8, -1, 0
	s_cmp_eq_u32 s13, s9
	s_cselect_b32 s8, s8, s14
	s_cmp_lg_u32 s8, 0
	s_cselect_b32 s9, s17, s18
	s_cselect_b32 s8, s16, s7
	s_xor_b64 s[10:11], s[10:11], 0
	s_xor_b64 s[8:9], s[8:9], s[10:11]
	s_sub_u32 s50, s8, s10
	s_load_dwordx2 s[48:49], s[0:1], 0x74
	v_cvt_f32_u32_e32 v1, s26
	s_cbranch_execnz .LBB0_3
.LBB0_2:
	v_rcp_iflag_f32_e32 v2, v1
	s_sub_i32 s4, 0, s26
	v_mul_f32_e32 v2, 0x4f7ffffe, v2
	v_cvt_u32_f32_e32 v2, v2
	s_nop 0
	v_readfirstlane_b32 s5, v2
	s_mul_i32 s4, s4, s5
	s_mul_hi_u32 s4, s5, s4
	s_add_i32 s5, s5, s4
	s_mul_hi_u32 s4, s6, s5
	s_mul_i32 s7, s4, s26
	s_sub_i32 s6, s6, s7
	s_add_i32 s5, s4, 1
	s_sub_i32 s7, s6, s26
	s_cmp_ge_u32 s6, s26
	s_cselect_b32 s4, s5, s4
	s_cselect_b32 s6, s7, s6
	s_add_i32 s5, s4, 1
	s_cmp_ge_u32 s6, s26
	s_cselect_b32 s50, s5, s4
.LBB0_3:
	s_add_i32 s4, s23, 1
	s_mul_i32 s3, s3, s4
	s_mul_hi_u32 s5, s2, s4
	s_add_i32 s9, s5, s3
	s_mov_b32 s8, 0
	s_cmp_lg_u64 s[8:9], 0
	s_mul_i32 s2, s2, s4
	s_cbranch_scc0 .LBB0_6
; %bb.4:
	s_add_u32 s4, s26, 0
	s_addc_u32 s5, 0, 0
	s_xor_b64 s[6:7], s[4:5], 0
	v_cvt_f32_u32_e32 v2, s6
	v_cvt_f32_u32_e32 v3, s7
	s_sub_u32 s3, 0, s6
	s_subb_u32 s8, 0, s7
	s_mov_b64 s[4:5], 0
	v_fmamk_f32 v2, v3, 0x4f800000, v2
	v_rcp_f32_e32 v2, v2
	s_nop 0
	v_mul_f32_e32 v2, 0x5f7ffffc, v2
	v_mul_f32_e32 v3, 0x2f800000, v2
	v_trunc_f32_e32 v3, v3
	v_fmamk_f32 v2, v3, 0xcf800000, v2
	v_cvt_u32_f32_e32 v3, v3
	v_cvt_u32_f32_e32 v2, v2
	v_readfirstlane_b32 s12, v3
	v_readfirstlane_b32 s10, v2
	s_mul_i32 s11, s3, s12
	s_mul_hi_u32 s14, s3, s10
	s_mul_i32 s13, s8, s10
	s_add_i32 s11, s14, s11
	s_add_i32 s11, s11, s13
	s_mul_i32 s15, s3, s10
	s_mul_i32 s14, s10, s11
	s_mul_hi_u32 s16, s10, s15
	s_mul_hi_u32 s13, s10, s11
	s_add_u32 s14, s16, s14
	s_addc_u32 s13, 0, s13
	s_mul_hi_u32 s17, s12, s15
	s_mul_i32 s15, s12, s15
	s_add_u32 s14, s14, s15
	s_mul_hi_u32 s16, s12, s11
	s_addc_u32 s13, s13, s17
	s_addc_u32 s14, s16, 0
	s_mul_i32 s11, s12, s11
	s_add_u32 s11, s13, s11
	s_addc_u32 s13, 0, s14
	s_add_u32 s14, s10, s11
	s_cselect_b64 s[10:11], -1, 0
	s_cmp_lg_u64 s[10:11], 0
	s_addc_u32 s12, s12, s13
	s_mul_i32 s10, s3, s12
	s_mul_hi_u32 s11, s3, s14
	s_add_i32 s10, s11, s10
	s_mul_i32 s8, s8, s14
	s_add_i32 s10, s10, s8
	s_mul_i32 s3, s3, s14
	s_mul_hi_u32 s11, s12, s3
	s_mul_i32 s13, s12, s3
	s_mul_i32 s16, s14, s10
	s_mul_hi_u32 s3, s14, s3
	s_mul_hi_u32 s15, s14, s10
	s_add_u32 s3, s3, s16
	s_addc_u32 s15, 0, s15
	s_add_u32 s3, s3, s13
	s_mul_hi_u32 s8, s12, s10
	s_addc_u32 s3, s15, s11
	s_addc_u32 s8, s8, 0
	s_mul_i32 s10, s12, s10
	s_add_u32 s3, s3, s10
	s_addc_u32 s8, 0, s8
	s_add_u32 s3, s14, s3
	s_cselect_b64 s[10:11], -1, 0
	s_cmp_lg_u64 s[10:11], 0
	s_addc_u32 s12, s12, s8
	s_ashr_i32 s10, s9, 31
	s_add_u32 s8, s2, s10
	s_mov_b32 s11, s10
	s_addc_u32 s9, s9, s10
	s_xor_b64 s[8:9], s[8:9], s[10:11]
	s_mul_i32 s14, s8, s12
	s_mul_hi_u32 s15, s8, s3
	s_mul_hi_u32 s13, s8, s12
	s_add_u32 s14, s15, s14
	s_addc_u32 s13, 0, s13
	s_mul_hi_u32 s16, s9, s3
	s_mul_i32 s3, s9, s3
	s_add_u32 s3, s14, s3
	s_mul_hi_u32 s15, s9, s12
	s_addc_u32 s3, s13, s16
	s_addc_u32 s13, s15, 0
	s_mul_i32 s12, s9, s12
	s_add_u32 s3, s3, s12
	s_addc_u32 s16, 0, s13
	s_mul_i32 s12, s6, s16
	s_mul_hi_u32 s13, s6, s3
	s_add_i32 s12, s13, s12
	s_mul_i32 s13, s7, s3
	s_add_i32 s17, s12, s13
	s_sub_i32 s14, s9, s17
	s_mul_i32 s12, s6, s3
	s_sub_u32 s8, s8, s12
	s_cselect_b64 s[12:13], -1, 0
	s_cmp_lg_u64 s[12:13], 0
	s_subb_u32 s18, s14, s7
	s_sub_u32 s19, s8, s6
	s_cselect_b64 s[14:15], -1, 0
	s_cmp_lg_u64 s[14:15], 0
	s_subb_u32 s14, s18, 0
	s_cmp_ge_u32 s14, s7
	s_cselect_b32 s15, -1, 0
	s_cmp_ge_u32 s19, s6
	s_cselect_b32 s18, -1, 0
	s_cmp_eq_u32 s14, s7
	s_cselect_b32 s14, s18, s15
	s_add_u32 s15, s3, 1
	s_addc_u32 s18, s16, 0
	s_add_u32 s19, s3, 2
	s_addc_u32 s20, s16, 0
	s_cmp_lg_u32 s14, 0
	s_cselect_b32 s14, s19, s15
	s_cselect_b32 s15, s20, s18
	s_cmp_lg_u64 s[12:13], 0
	s_subb_u32 s9, s9, s17
	s_cmp_ge_u32 s9, s7
	s_cselect_b32 s12, -1, 0
	s_cmp_ge_u32 s8, s6
	s_cselect_b32 s6, -1, 0
	s_cmp_eq_u32 s9, s7
	s_cselect_b32 s6, s6, s12
	s_cmp_lg_u32 s6, 0
	s_cselect_b32 s7, s15, s16
	s_cselect_b32 s6, s14, s3
	s_xor_b64 s[8:9], s[10:11], 0
	s_xor_b64 s[6:7], s[6:7], s[8:9]
	s_sub_u32 s54, s6, s8
	s_branch .LBB0_7
.LBB0_5:
                                        ; implicit-def: $sgpr50_sgpr51
	s_load_dwordx2 s[48:49], s[0:1], 0x74
	s_waitcnt lgkmcnt(0)
	v_cvt_f32_u32_e32 v1, s26
	s_branch .LBB0_2
.LBB0_6:
	s_mov_b64 s[4:5], -1
                                        ; implicit-def: $sgpr54_sgpr55
.LBB0_7:
	s_load_dwordx2 s[40:41], s[0:1], 0x5c
	v_writelane_b32 v127, s23, 6
	s_andn2_b64 vcc, exec, s[4:5]
	s_cbranch_vccnz .LBB0_9
; %bb.8:
	v_rcp_iflag_f32_e32 v1, v1
	s_sub_i32 s3, 0, s26
	v_mul_f32_e32 v1, 0x4f7ffffe, v1
	v_cvt_u32_f32_e32 v1, v1
	s_nop 0
	v_readfirstlane_b32 s4, v1
	s_mul_i32 s3, s3, s4
	s_mul_hi_u32 s3, s4, s3
	s_add_i32 s4, s4, s3
	s_mul_hi_u32 s3, s2, s4
	s_mul_i32 s5, s3, s26
	s_sub_i32 s2, s2, s5
	s_add_i32 s4, s3, 1
	s_sub_i32 s5, s2, s26
	s_cmp_ge_u32 s2, s26
	s_cselect_b32 s3, s4, s3
	s_cselect_b32 s2, s5, s2
	s_add_i32 s4, s3, 1
	s_cmp_ge_u32 s2, s26
	s_cselect_b32 s54, s4, s3
.LBB0_9:
	s_abs_i32 s53, s52
	v_cvt_f32_u32_e32 v1, s53
	s_load_dwordx16 s[8:23], s[0:1], 0x0
	s_load_dword s6, s[0:1], 0x40
	s_load_dwordx2 s[2:3], s[0:1], 0x8c
	s_load_dwordx4 s[28:31], s[0:1], 0x98
	s_load_dwordx2 s[42:43], s[0:1], 0xa8
	s_load_dwordx2 s[92:93], s[0:1], 0xb8
	;; [unrolled: 1-line block ×3, first 2 shown]
	v_writelane_b32 v127, s26, 7
	s_waitcnt lgkmcnt(0)
	s_mov_b32 s1, s3
	v_rcp_iflag_f32_e32 v1, v1
	s_ashr_i32 s26, s2, 2
	s_sub_i32 s2, 0, s53
	v_writelane_b32 v127, s0, 8
	v_mul_f32_e32 v1, 0x4f7ffffe, v1
	v_cvt_u32_f32_e32 v1, v1
	v_writelane_b32 v127, s1, 9
	s_ashr_i32 s1, s52, 31
	s_ashr_i32 s38, s93, 1
	v_readfirstlane_b32 s3, v1
	s_mul_i32 s2, s2, s3
	s_mul_hi_u32 s2, s3, s2
	v_writelane_b32 v127, s1, 10
	s_abs_i32 s1, s50
	s_add_i32 s93, s3, s2
	s_mul_hi_u32 s2, s1, s93
	s_mul_i32 s2, s2, s53
	s_sub_i32 s1, s1, s2
	s_ashr_i32 s51, s27, 3
	s_ashr_i32 s47, s48, 3
	;; [unrolled: 1-line block ×4, first 2 shown]
	s_sub_i32 s2, s1, s53
	s_cmp_ge_u32 s1, s53
	s_cselect_b32 s1, s2, s1
	s_sub_i32 s2, s1, s53
	s_cmp_ge_u32 s1, s53
	s_cselect_b32 s1, s2, s1
	s_xor_b32 s1, s1, s0
	s_sub_i32 s78, s1, s0
	s_sub_i32 s0, s54, s50
	s_add_i32 s2, s0, s78
	s_min_i32 s30, s52, s2
	s_cmp_gt_i32 s54, s50
	s_cselect_b64 s[4:5], -1, 0
	s_cmp_le_i32 s54, s50
	s_cselect_b64 s[0:1], -1, 0
	s_cmp_gt_i32 s52, s2
	v_cvt_f16_f32_e32 v109, s6
	s_cselect_b64 s[2:3], -1, 0
	s_or_b64 s[0:1], s[2:3], s[0:1]
	v_bfe_u32 v1, v0, 5, 5
	v_bfe_u32 v47, v0, 10, 10
	s_mov_b32 s57, 0
	s_and_b64 vcc, exec, s[0:1]
	v_lshl_add_u32 v27, v47, 1, v1
	v_and_b32_e32 v26, 31, v0
	v_writelane_b32 v127, s47, 11
	s_cbranch_vccnz .LBB0_195
; %bb.10:
	s_cmp_eq_u64 s[16:17], 0
	s_cselect_b64 s[0:1], -1, 0
	v_writelane_b32 v127, s0, 14
	s_cmp_lg_u64 s[18:19], 0
	v_bfe_u32 v5, v0, 3, 7
	v_writelane_b32 v127, s1, 15
	s_cselect_b64 s[0:1], -1, 0
	v_writelane_b32 v127, s0, 16
	v_and_b32_e32 v3, 15, v0
	v_lshlrev_b32_e32 v6, 2, v5
	v_writelane_b32 v127, s1, 17
	s_movk_i32 s1, 0x900
	v_mad_u32_u24 v1, v47, s1, 0
	v_mul_u32_u24_e32 v4, 0x90, v3
	v_and_b32_e32 v7, 0x78, v6
	v_add3_u32 v43, v1, v4, v7
	v_and_b32_e32 v4, 0x3ff, v0
	v_cmp_gt_u32_e64 s[2:3], 16, v4
	v_lshlrev_b32_e32 v10, 2, v4
	s_ashr_i32 s39, s38, 31
	v_writelane_b32 v127, s2, 18
	s_ashr_i32 s27, s26, 31
	v_and_b32_e32 v30, 28, v10
	v_writelane_b32 v127, s3, 19
	v_lshlrev_b32_e32 v10, 4, v47
	v_readlane_b32 s2, v127, 6
	s_lshl_b32 s56, s2, 6
	s_ashr_i32 s37, s36, 31
	s_lshl_b64 s[2:3], s[56:57], 3
	v_and_or_b32 v11, v0, 8, v10
	s_add_u32 s4, s22, s2
	v_readlane_b32 s58, v127, 3
	s_movk_i32 s1, 0x90
	v_lshrrev_b32_e32 v11, 3, v11
	s_addc_u32 s5, s23, s3
	s_abs_i32 s55, s58
	v_lshrrev_b32_e32 v12, 1, v0
	v_add_u32_e32 v75, 0, v7
	v_mad_u32_u24 v7, v11, s1, 0
	v_cvt_f32_u32_e32 v11, s55
	v_lshl_add_u32 v8, v47, 3, v5
	v_and_b32_e32 v12, 0x78, v12
	v_mad_u32_u24 v73, v27, s1, 0
	v_mad_u32_u24 v76, v3, s1, v75
	v_or_b32_e32 v6, 4, v6
	v_lshl_add_u32 v79, v3, 1, 0
	v_or_b32_e32 v3, v10, v3
	v_lshlrev_b32_e32 v2, 2, v26
	v_mul_u32_u24_e32 v9, 0x90, v8
	v_lshlrev_b32_e32 v14, 2, v30
	v_add_u32_e32 v77, v7, v12
	v_add_u32_e32 v78, v7, v6
	;; [unrolled: 1-line block ×3, first 2 shown]
	v_mul_u32_u24_e32 v90, 0x90, v3
	v_and_b32_e32 v3, 15, v27
	s_movk_i32 s2, 0x7f0
	v_add_u32_e32 v12, 0x480, v73
	v_add3_u32 v74, 0, v9, v14
	v_lshrrev_b32_e32 v84, 3, v6
	v_add_u32_e32 v9, 56, v27
	v_and_or_b32 v6, v6, s2, v3
	v_add_u32_e32 v12, v12, v2
	v_readlane_b32 s56, v127, 2
	v_lshrrev_b32_e32 v89, 3, v9
	v_mul_u32_u24_e32 v9, 0x90, v6
	scratch_store_dword off, v12, off offset:52 ; 4-byte Folded Spill
	v_mad_u32_u24 v12, v6, s1, 0
	v_rcp_iflag_f32_e32 v6, v11
	s_abs_i32 s34, s56
	v_cvt_f32_u32_e32 v11, s34
	v_lshlrev_b32_e32 v5, 1, v5
	v_mul_f32_e32 v6, 0x4f7ffffe, v6
	v_cvt_u32_f32_e32 v6, v6
	v_rcp_iflag_f32_e32 v11, v11
	v_mul_lo_u32 v32, s26, v8
	v_mul_lo_u32 v36, s36, v8
	v_and_b32_e32 v8, 60, v5
	v_mad_u32_u24 v80, v8, s1, v79
	v_add_u32_e32 v7, 24, v27
	v_add_u32_e32 v8, 40, v27
	v_readlane_b32 s46, v127, 1
	v_lshrrev_b32_e32 v85, 3, v7
	v_add_u32_e32 v7, 32, v27
	v_lshrrev_b32_e32 v87, 3, v8
	v_add_u32_e32 v8, 48, v27
	s_abs_i32 s35, s46
	v_lshrrev_b32_e32 v86, 3, v7
	v_and_or_b32 v7, v7, s2, v3
	v_and_or_b32 v3, v8, s2, v3
	v_readfirstlane_b32 s2, v6
	v_mul_f32_e32 v6, 0x4f7ffffe, v11
	v_cvt_f32_u32_e32 v11, s35
	v_cvt_u32_f32_e32 v6, v6
	v_or_b32_e32 v13, 2, v5
	v_or_b32_e32 v5, 3, v5
	v_rcp_iflag_f32_e32 v11, v11
	v_readfirstlane_b32 s3, v6
	scratch_store_dword off, v12, off offset:60 ; 4-byte Folded Spill
	v_add_u32_e32 v12, v12, v2
	v_mul_f32_e32 v6, 0x4f7ffffe, v11
	v_cvt_u32_f32_e32 v6, v6
	v_mul_u32_u24_e32 v49, 0x90, v13
	v_mad_u32_u24 v81, v13, s1, v79
	v_mad_u32_u24 v82, v5, s1, v79
	v_readfirstlane_b32 s6, v6
	v_add_u32_e32 v6, 0x1680, v73
	v_add_u32_e32 v6, v6, v2
	scratch_store_dword off, v12, off offset:64 ; 4-byte Folded Spill
	v_add_u32_e32 v12, 0xd80, v73
	v_mad_u32_u24 v13, v7, s1, 0
	scratch_store_dword off, v6, off offset:84 ; 4-byte Folded Spill
	v_mad_u32_u24 v6, v3, s1, 0
	s_ashr_i32 s1, s58, 31
	v_add_u32_e32 v12, v12, v2
	s_abs_i32 s62, s92
	v_writelane_b32 v127, s1, 20
	s_sub_i32 s1, 0, s55
	scratch_store_dword off, v12, off offset:68 ; 4-byte Folded Spill
	v_cvt_f32_u32_e32 v12, s62
	s_mul_i32 s1, s1, s2
	s_mul_hi_u32 s1, s2, s1
	s_add_i32 s1, s2, s1
	v_writelane_b32 v127, s1, 21
	s_ashr_i32 s1, s56, 31
	v_lshlrev_b32_e32 v1, 1, v4
	v_or_b32_e32 v4, v10, v4
	v_mul_u32_u24_e32 v10, 0x90, v7
	v_rcp_iflag_f32_e32 v7, v12
	v_writelane_b32 v127, s1, 22
	s_sub_i32 s1, 0, s34
	s_mul_i32 s1, s1, s3
	s_mul_hi_u32 s1, s3, s1
	s_add_i32 s1, s3, s1
	v_mul_f32_e32 v7, 0x4f7ffffe, v7
	v_writelane_b32 v127, s1, 23
	s_ashr_i32 s1, s46, 31
	v_cvt_u32_f32_e32 v7, v7
	v_writelane_b32 v127, s1, 24
	s_sub_i32 s1, 0, s35
	s_mul_i32 s1, s1, s6
	s_mul_hi_u32 s1, s6, s1
	s_add_i32 s1, s6, s1
	v_mov_b32_e32 v29, 0
	v_readfirstlane_b32 s7, v7
	v_writelane_b32 v127, s1, 25
	s_sub_i32 s1, 0, s62
	scratch_store_dword off, v6, off offset:92 ; 4-byte Folded Spill
	v_add_u32_e32 v6, v6, v2
	v_lshrrev_b32_e32 v88, 3, v8
	v_mul_u32_u24_e32 v8, 0x90, v3
	s_mul_i32 s1, s1, s7
	v_mov_b32_e32 v3, v29
	scratch_store_dword off, v6, off offset:96 ; 4-byte Folded Spill
	v_add_u32_e32 v6, 0x1f80, v73
	v_add_u32_e32 v31, 0, v2
	;; [unrolled: 1-line block ×4, first 2 shown]
	s_mul_hi_u32 s1, s7, s1
	v_add_u32_e32 v6, v6, v2
	v_lshl_add_u64 v[2:3], s[14:15], 0, v[2:3]
	s_add_i32 s1, s7, s1
	scratch_store_dwordx2 off, v[2:3], off offset:8 ; 8-byte Folded Spill
	v_add_u32_e32 v2, v31, v9
	v_writelane_b32 v127, s1, 26
	s_mov_b32 s2, s38
	scratch_store_dword off, v2, off offset:56 ; 4-byte Folded Spill
	v_add_u32_e32 v2, v31, v10
	v_lshlrev_b32_e32 v28, 3, v4
	v_mul_u32_u24_e32 v4, 0x90, v4
	v_writelane_b32 v127, s2, 12
	scratch_store_dword off, v2, off offset:72 ; 4-byte Folded Spill
	v_add_u32_e32 v2, v31, v8
	v_writelane_b32 v127, s3, 13
	s_lshl_b64 s[2:3], s[38:39], 1
	scratch_store_dword off, v2, off offset:88 ; 4-byte Folded Spill
	v_add_u32_e32 v2, 0, v4
	v_ashrrev_i32_e32 v37, 31, v36
	v_lshl_add_u32 v38, s36, 5, v36
	v_writelane_b32 v127, s2, 27
	scratch_store_dword off, v2, off offset:16 ; 4-byte Folded Spill
	v_lshl_add_u64 v[2:3], s[4:5], 0, v[28:29]
	v_ashrrev_i32_e32 v39, 31, v38
	v_writelane_b32 v127, s3, 28
	scratch_store_dwordx2 off, v[2:3], off  ; 8-byte Folded Spill
	v_lshl_add_u64 v[2:3], v[36:37], 2, s[12:13]
	v_ashrrev_i32_e32 v33, 31, v32
	v_lshl_add_u32 v34, s26, 5, v32
	v_mul_u32_u24_e32 v72, 0x90, v5
	v_add_u32_e32 v5, 8, v27
	scratch_store_dwordx2 off, v[2:3], off offset:20 ; 8-byte Folded Spill
	v_lshl_add_u64 v[2:3], v[38:39], 2, s[12:13]
	v_writelane_b32 v127, s92, 29
	s_mov_b32 s0, 0x10001
	v_ashrrev_i32_e32 v35, 31, v34
	v_lshrrev_b32_e32 v83, 3, v5
	v_mul_u32_u24_e32 v5, 0x90, v5
	v_and_b32_e32 v42, 7, v0
	v_and_b32_e32 v46, 62, v1
	v_mbcnt_lo_u32_b32 v119, -1, 0
	v_and_b32_e32 v48, 7, v27
	scratch_store_dwordx2 off, v[2:3], off offset:28 ; 8-byte Folded Spill
	v_lshl_add_u64 v[2:3], v[32:33], 2, s[10:11]
	v_writelane_b32 v127, s93, 30
	v_lshlrev_b32_e32 v44, 4, v42
	v_mov_b32_e32 v45, v29
	s_lshl_b64 s[64:65], s[36:37], 8
	s_lshl_b64 s[66:67], s[26:27], 8
	s_mov_b32 s39, 0x3fb8aa3b
	s_mov_b32 s61, 0xc2ce8ed0
	s_mov_b32 s63, 0x42b17218
	s_mov_b32 s3, 0xc1a00000
	s_mov_b32 s2, 0x5040100
	v_add_u32_e32 v110, v31, v5
	v_mul_lo_u32 v111, v109, s0
	v_mul_u32_u24_e32 v112, 0x90, v27
	v_lshl_add_u32 v113, v46, 1, v73
	v_add_u32_e32 v114, 0x1200, v74
	v_add_u32_e32 v115, 32, v77
	;; [unrolled: 1-line block ×4, first 2 shown]
	v_lshrrev_b32_e32 v118, 3, v27
	v_mbcnt_hi_u32_b32 v101, -1, v119
	v_mov_b32_e32 v121, 0x7f800000
	v_mad_u64_u32 v[50:51], s[0:1], v48, s47, v[26:27]
	scratch_store_dwordx2 off, v[2:3], off offset:36 ; 8-byte Folded Spill
	v_lshl_add_u64 v[2:3], v[34:35], 2, s[10:11]
	v_writelane_b32 v127, s93, 31
	scratch_store_dword off, v13, off offset:76 ; 4-byte Folded Spill
	scratch_store_dword off, v11, off offset:80 ; 4-byte Folded Spill
	;; [unrolled: 1-line block ×3, first 2 shown]
	scratch_store_dwordx2 off, v[2:3], off offset:44 ; 8-byte Folded Spill
	s_branch .LBB0_12
.LBB0_11:                               ;   in Loop: Header=BB0_12 Depth=1
	s_or_b64 exec, exec, s[4:5]
	s_add_i32 s0, s50, s52
	s_abs_i32 s4, s0
	s_mul_hi_u32 s5, s4, s93
	s_mul_i32 s5, s5, s53
	s_sub_i32 s4, s4, s5
	s_ashr_i32 s1, s0, 31
	s_sub_i32 s5, s4, s53
	s_cmp_ge_u32 s4, s53
	s_cselect_b32 s4, s5, s4
	s_sub_i32 s5, s4, s53
	s_cmp_ge_u32 s4, s53
	s_cselect_b32 s4, s5, s4
	s_xor_b32 s4, s4, s1
	s_sub_i32 s1, s1, s4
	s_add_i32 s50, s0, s1
	s_sub_i32 s0, s54, s50
	s_min_i32 s30, s52, s0
	s_cmp_gt_i32 s54, s50
	s_cselect_b64 s[4:5], -1, 0
	s_cmp_le_i32 s52, s0
	s_cselect_b64 s[0:1], -1, 0
	s_and_b64 s[0:1], s[0:1], s[4:5]
	s_mov_b32 s78, 0
	s_and_b64 vcc, exec, s[0:1]
	s_cbranch_vccz .LBB0_196
.LBB0_12:                               ; =>This Loop Header: Depth=1
                                        ;     Child Loop BB0_51 Depth 2
                                        ;     Child Loop BB0_141 Depth 2
	s_ashr_i32 s0, s50, 31
	v_readlane_b32 s1, v127, 20
	s_xor_b32 s0, s0, s1
	s_abs_i32 s1, s50
	v_readlane_b32 s4, v127, 21
	s_mul_hi_u32 s4, s1, s4
	s_mul_i32 s5, s4, s55
	s_sub_i32 s1, s1, s5
	s_add_i32 s5, s4, 1
	s_sub_i32 s6, s1, s55
	s_cmp_ge_u32 s1, s55
	s_cselect_b32 s4, s5, s4
	s_cselect_b32 s1, s6, s1
	s_add_i32 s5, s4, 1
	s_cmp_ge_u32 s1, s55
	s_cselect_b32 s1, s5, s4
	s_xor_b32 s1, s1, s0
	s_sub_i32 s4, s1, s0
	v_readlane_b32 s0, v127, 3
	s_mul_i32 s0, s4, s0
	s_sub_i32 s0, s50, s0
	s_ashr_i32 s1, s0, 31
	v_readlane_b32 s5, v127, 22
	s_xor_b32 s1, s1, s5
	s_abs_i32 s5, s0
	v_readlane_b32 s6, v127, 23
	s_mul_hi_u32 s6, s5, s6
	s_mul_i32 s7, s6, s34
	s_sub_i32 s5, s5, s7
	s_add_i32 s7, s6, 1
	s_sub_i32 s38, s5, s34
	s_cmp_ge_u32 s5, s34
	s_cselect_b32 s6, s7, s6
	s_cselect_b32 s5, s38, s5
	s_add_i32 s7, s6, 1
	s_cmp_ge_u32 s5, s34
	s_cselect_b32 s5, s7, s6
	s_xor_b32 s5, s5, s1
	s_sub_i32 s5, s5, s1
	v_readlane_b32 s1, v127, 2
	s_mul_i32 s1, s5, s1
	s_sub_i32 s1, s0, s1
	;; [unrolled: 21-line block ×3, first 2 shown]
	s_ashr_i32 s6, s1, 31
	v_readlane_b32 s7, v127, 10
	s_abs_i32 s1, s1
	s_xor_b32 s6, s6, s7
	s_mul_hi_u32 s7, s1, s93
	s_mul_i32 s38, s7, s53
	s_sub_i32 s1, s1, s38
	s_add_i32 s38, s7, 1
	s_sub_i32 s46, s1, s53
	s_cmp_ge_u32 s1, s53
	s_cselect_b32 s7, s38, s7
	s_cselect_b32 s1, s46, s1
	s_add_i32 s38, s7, 1
	s_cmp_ge_u32 s1, s53
	s_cselect_b32 s1, s38, s7
	v_readlane_b32 s46, v127, 16
	s_xor_b32 s1, s1, s6
	v_readlane_b32 s47, v127, 17
	s_andn2_b64 vcc, exec, s[46:47]
	s_sub_i32 s46, s1, s6
	s_cbranch_vccnz .LBB0_14
; %bb.13:                               ;   in Loop: Header=BB0_12 Depth=1
	v_readlane_b32 s1, v127, 0
	s_mul_i32 s1, s4, s1
	s_add_i32 s6, s46, s1
	s_ashr_i32 s7, s6, 31
	s_lshl_b64 s[6:7], s[6:7], 2
	s_add_u32 s6, s18, s6
	s_addc_u32 s7, s19, s7
	global_load_dword v1, v29, s[6:7]
	s_waitcnt vmcnt(0)
	v_readfirstlane_b32 s1, v1
	s_ashr_i32 s6, s1, 31
	s_lshr_b32 s6, s6, 26
	s_add_i32 s1, s1, s6
	s_ashr_i32 s1, s1, 6
	s_min_i32 s30, s30, s1
.LBB0_14:                               ;   in Loop: Header=BB0_12 Depth=1
	s_mul_i32 s1, s5, s33
	s_lshl_b32 s79, s0, 3
	s_mul_i32 s0, s4, s49
	s_add_i32 s6, s79, s1
	s_ashr_i32 s1, s0, 31
	s_add_u32 s0, s8, s0
	s_mul_i32 s7, s6, s48
	s_addc_u32 s1, s9, s1
	s_ashr_i32 s38, s7, 31
	s_add_u32 s76, s0, s7
	s_addc_u32 s77, s1, s38
	s_ashr_i32 s7, s4, 31
	s_mul_hi_u32 s0, s28, s4
	s_mul_i32 s1, s28, s7
	s_add_i32 s0, s0, s1
	s_mul_i32 s1, s29, s4
	v_readlane_b32 s58, v127, 8
	s_add_i32 s47, s0, s1
	s_mul_i32 s0, s28, s4
	v_readlane_b32 s59, v127, 9
	s_add_u32 s38, s10, s0
	s_mul_i32 s1, s5, s59
	s_addc_u32 s56, s11, s47
	s_ashr_i32 s97, s1, 31
	s_add_u32 s59, s38, s1
	s_addc_u32 s60, s56, s97
	s_abs_i32 s38, s4
	v_readlane_b32 s56, v127, 26
	s_mul_hi_u32 s56, s38, s56
	s_mul_i32 s56, s56, s62
	s_sub_i32 s38, s38, s56
	s_sub_i32 s56, s38, s62
	s_cmp_ge_u32 s38, s62
	s_cselect_b32 s38, s56, s38
	s_sub_i32 s56, s38, s62
	s_cmp_ge_u32 s38, s62
	s_cselect_b32 s38, s56, s38
	s_xor_b32 s38, s38, s7
	s_sub_i32 s38, s38, s7
	s_ashr_i32 s56, s38, 31
	s_mul_i32 s56, s44, s56
	s_mul_hi_u32 s58, s44, s38
	s_add_i32 s56, s58, s56
	s_mul_i32 s58, s45, s38
	s_add_i32 s75, s56, s58
	s_mul_i32 s74, s44, s38
	s_mul_i32 s38, s24, s25
	s_add_u32 s72, s14, s74
	s_mul_i32 s38, s38, s4
	s_addc_u32 s73, s15, s75
	s_add_i32 s38, s6, s38
	s_lshl_b32 s56, s38, 5
	s_lshl_b64 s[68:69], s[56:57], 3
	s_add_u32 s68, s20, s68
	s_mul_hi_u32 s38, s42, s4
	s_mul_i32 s7, s42, s7
	s_addc_u32 s69, s21, s69
	s_add_i32 s7, s38, s7
	s_mul_i32 s38, s43, s4
	s_add_i32 s56, s7, s38
	s_mul_i32 s98, s42, s4
	s_add_u32 s4, s12, s98
	s_mul_i32 s99, s5, s31
	s_addc_u32 s7, s13, s56
	s_ashr_i32 s38, s99, 31
	s_add_u32 s96, s4, s99
	s_addc_u32 s58, s7, s38
	s_ashr_i32 s7, s6, 31
	s_lshl_b64 s[4:5], s[6:7], 2
	s_add_u32 s6, s16, s4
	s_addc_u32 s7, s17, s5
	v_readlane_b32 s4, v127, 14
	v_readlane_b32 s5, v127, 15
	s_and_b64 s[4:5], s[4:5], exec
	s_cselect_b32 s71, 0, s7
	s_cselect_b32 s70, 0, s6
	s_cmp_lg_u32 s78, 0
	v_or_b32_e32 v51, s79, v48
	s_cbranch_scc0 .LBB0_52
; %bb.15:                               ;   in Loop: Header=BB0_12 Depth=1
	s_lshl_b32 s79, s46, 3
	v_add_u32_e32 v104, s79, v118
	v_cmp_le_i32_e64 s[4:5], s24, v104
	v_cmp_le_i32_e64 s[6:7], s33, v51
	v_cmp_gt_i32_e32 vcc, s33, v51
	s_or_b64 s[4:5], s[4:5], s[6:7]
	s_and_saveexec_b64 s[6:7], s[4:5]
	s_xor_b64 s[4:5], exec, s[6:7]
; %bb.16:                               ;   in Loop: Header=BB0_12 Depth=1
	v_add_u32_e32 v1, v31, v112
	ds_write_b32 v1, v29
; %bb.17:                               ;   in Loop: Header=BB0_12 Depth=1
	s_andn2_saveexec_b64 s[4:5], s[4:5]
	s_cbranch_execz .LBB0_19
; %bb.18:                               ;   in Loop: Header=BB0_12 Depth=1
	v_mad_u64_u32 v[2:3], s[6:7], v104, s51, v[50:51]
	v_ashrrev_i32_e32 v3, 31, v2
	v_lshl_add_u64 v[2:3], v[2:3], 3, s[76:77]
	global_load_dwordx2 v[2:3], v[2:3], off
	s_waitcnt vmcnt(0)
	v_cvt_pk_f16_f32 v1, v2, v3
	v_pk_mul_f16 v1, v1, v111
	v_add_u32_e32 v2, v31, v112
	ds_write_b32 v2, v1
.LBB0_19:                               ;   in Loop: Header=BB0_12 Depth=1
	s_or_b64 exec, exec, s[4:5]
	v_add_u32_e32 v126, s79, v83
	v_cmp_le_i32_e64 s[4:5], s24, v126
	s_xor_b64 s[6:7], vcc, -1
	s_or_b64 s[4:5], s[4:5], s[6:7]
	s_and_saveexec_b64 s[80:81], s[4:5]
	s_xor_b64 s[4:5], exec, s[80:81]
; %bb.20:                               ;   in Loop: Header=BB0_12 Depth=1
	ds_write_b32 v110, v29
; %bb.21:                               ;   in Loop: Header=BB0_12 Depth=1
	s_andn2_saveexec_b64 s[4:5], s[4:5]
	s_cbranch_execz .LBB0_23
; %bb.22:                               ;   in Loop: Header=BB0_12 Depth=1
	v_mad_u64_u32 v[2:3], s[80:81], v126, s51, v[50:51]
	v_ashrrev_i32_e32 v3, 31, v2
	v_lshl_add_u64 v[2:3], v[2:3], 3, s[76:77]
	global_load_dwordx2 v[2:3], v[2:3], off
	s_waitcnt vmcnt(0)
	v_cvt_pk_f16_f32 v1, v2, v3
	v_pk_mul_f16 v1, v1, v111
	ds_write_b32 v110, v1
.LBB0_23:                               ;   in Loop: Header=BB0_12 Depth=1
	s_or_b64 exec, exec, s[4:5]
	v_add_u32_e32 v125, s79, v84
	v_cmp_le_i32_e32 vcc, s24, v125
	s_or_b64 s[4:5], vcc, s[6:7]
	s_and_saveexec_b64 s[80:81], s[4:5]
	s_xor_b64 s[4:5], exec, s[80:81]
; %bb.24:                               ;   in Loop: Header=BB0_12 Depth=1
	ds_write_b32 v110, v29 offset:1152
; %bb.25:                               ;   in Loop: Header=BB0_12 Depth=1
	s_andn2_saveexec_b64 s[4:5], s[4:5]
	s_cbranch_execz .LBB0_27
; %bb.26:                               ;   in Loop: Header=BB0_12 Depth=1
	v_mad_u64_u32 v[2:3], s[80:81], v125, s51, v[50:51]
	v_ashrrev_i32_e32 v3, 31, v2
	v_lshl_add_u64 v[2:3], v[2:3], 3, s[76:77]
	global_load_dwordx2 v[2:3], v[2:3], off
	s_waitcnt vmcnt(0)
	v_cvt_pk_f16_f32 v1, v2, v3
	v_pk_mul_f16 v1, v1, v111
	ds_write_b32 v110, v1 offset:1152
.LBB0_27:                               ;   in Loop: Header=BB0_12 Depth=1
	s_or_b64 exec, exec, s[4:5]
	v_add_u32_e32 v124, s79, v85
	v_cmp_le_i32_e32 vcc, s24, v124
	s_or_b64 s[4:5], vcc, s[6:7]
	s_and_saveexec_b64 s[80:81], s[4:5]
	s_xor_b64 s[4:5], exec, s[80:81]
; %bb.28:                               ;   in Loop: Header=BB0_12 Depth=1
	ds_write_b32 v110, v29 offset:2304
; %bb.29:                               ;   in Loop: Header=BB0_12 Depth=1
	s_andn2_saveexec_b64 s[4:5], s[4:5]
	s_cbranch_execz .LBB0_31
; %bb.30:                               ;   in Loop: Header=BB0_12 Depth=1
	v_mad_u64_u32 v[2:3], s[80:81], v124, s51, v[50:51]
	v_ashrrev_i32_e32 v3, 31, v2
	v_lshl_add_u64 v[2:3], v[2:3], 3, s[76:77]
	global_load_dwordx2 v[2:3], v[2:3], off
	s_waitcnt vmcnt(0)
	v_cvt_pk_f16_f32 v1, v2, v3
	v_pk_mul_f16 v1, v1, v111
	ds_write_b32 v110, v1 offset:2304
.LBB0_31:                               ;   in Loop: Header=BB0_12 Depth=1
	;; [unrolled: 21-line block ×6, first 2 shown]
	s_or_b64 exec, exec, s[4:5]
	s_waitcnt lgkmcnt(0)
	s_barrier
	ds_read2_b64 v[6:9], v43 offset1:4
	ds_read2_b64 v[2:5], v43 offset0:8 offset1:12
	s_add_i32 s6, s30, -1
	s_cmp_lt_i32 s78, s6
	s_mov_b64 s[4:5], -1
	s_waitcnt lgkmcnt(0)
	s_barrier
                                        ; implicit-def: $vgpr100
                                        ; implicit-def: $vgpr96
                                        ; implicit-def: $vgpr103
	s_cbranch_scc1 .LBB0_49
; %bb.48:                               ;   in Loop: Header=BB0_12 Depth=1
	v_and_b32_e32 v1, 64, v101
	v_add_u32_e32 v100, 64, v1
	v_xor_b32_e32 v96, 32, v101
	v_xor_b32_e32 v103, 16, v101
	s_mov_b64 s[4:5], 0
.LBB0_49:                               ;   in Loop: Header=BB0_12 Depth=1
	v_add_u32_e32 v1, s79, v27
	v_mul_hi_u32 v10, s40, v1
	v_add_u32_e32 v10, v1, v10
	v_lshrrev_b32_e32 v10, s41, v10
	v_mul_lo_u32 v10, v10, s24
	s_andn2_b64 vcc, exec, s[4:5]
	v_readlane_b32 s4, v127, 12
	v_sub_u32_e32 v1, v1, v10
	v_readlane_b32 s5, v127, 13
	v_mad_i64_i32 v[62:63], s[4:5], v1, s4, 0
	s_cbranch_vccnz .LBB0_54
; %bb.50:                               ;   in Loop: Header=BB0_12 Depth=1
	v_mbcnt_hi_u32_b32 v120, -1, v119
	v_and_b32_e32 v1, 64, v120
	v_add_u32_e32 v100, 64, v1
	v_xor_b32_e32 v96, 32, v120
	v_cmp_lt_i32_e32 vcc, v96, v100
	v_xor_b32_e32 v103, 16, v120
	v_lshl_add_u64 v[10:11], v[62:63], 1, s[72:73]
	v_cndmask_b32_e32 v1, v120, v96, vcc
	v_cmp_lt_i32_e32 vcc, v103, v100
	v_lshlrev_b32_e32 v28, 1, v46
	v_lshlrev_b32_e32 v99, 2, v1
	v_cndmask_b32_e32 v1, v120, v103, vcc
	v_lshl_add_u64 v[64:65], v[10:11], 0, v[28:29]
	v_lshlrev_b32_e32 v107, 2, v1
	s_lshl_b32 s4, s78, 6
	v_mov_b32_e32 v66, 0
	v_mov_b32_e32 v105, 0xfeffffff
	;; [unrolled: 1-line block ×10, first 2 shown]
.LBB0_51:                               ;   Parent Loop BB0_12 Depth=1
                                        ; =>  This Inner Loop Header: Depth=2
	s_ashr_i32 s5, s4, 31
	v_lshl_add_u64 v[10:11], s[4:5], 1, v[64:65]
	global_load_dword v10, v[10:11], off
	s_mul_hi_i32 s81, s4, s26
	s_mul_i32 s80, s4, s26
	s_lshl_b64 s[80:81], s[80:81], 2
	s_add_u32 s80, s59, s80
	s_addc_u32 s81, s60, s81
	v_lshlrev_b32_e32 v28, 2, v30
	v_lshl_add_u64 v[12:13], v[34:35], 2, s[80:81]
	v_lshl_add_u64 v[14:15], v[12:13], 0, v[28:29]
	v_add_u32_e32 v18, 0x800, v76
	v_add_u32_e32 v54, 0x1000, v76
	v_add_u32_e32 v58, 0x1800, v76
	v_mov_b32_e32 v41, v105
	v_mov_b32_e32 v40, v108
	s_waitcnt vmcnt(0)
	ds_write_b32 v113, v10 offset:9216
	v_lshl_add_u64 v[10:11], v[32:33], 2, s[80:81]
	v_lshl_add_u64 v[10:11], v[10:11], 0, v[28:29]
	global_load_dwordx4 v[10:13], v[10:11], off
	s_mul_hi_i32 s81, s4, s36
	s_mul_i32 s80, s4, s36
	s_lshl_b64 s[80:81], s[80:81], 2
	s_add_u32 s80, s96, s80
	s_addc_u32 s81, s58, s81
	s_add_i32 s78, s78, 1
	s_add_i32 s4, s4, 64
	s_cmp_lt_i32 s78, s6
	s_waitcnt vmcnt(0)
	ds_write_b128 v74, v[10:13]
	global_load_dwordx4 v[10:13], v[14:15], off
	s_waitcnt vmcnt(0)
	ds_write_b128 v114, v[10:13]
	s_waitcnt lgkmcnt(0)
	s_barrier
	ds_read2_b64 v[10:13], v76 offset1:4
	s_waitcnt lgkmcnt(0)
	v_mfma_f32_16x16x16_f16 v[14:17], v[10:11], v[6:7], 0
	v_mfma_f32_16x16x16_f16 v[10:13], v[12:13], v[8:9], v[14:17]
	s_nop 6
	ds_read2_b64 v[14:17], v76 offset0:8 offset1:12
	s_waitcnt lgkmcnt(0)
	v_mfma_f32_16x16x16_f16 v[10:13], v[14:15], v[2:3], v[10:13]
	v_mfma_f32_16x16x16_f16 v[22:25], v[16:17], v[4:5], v[10:13]
	s_nop 6
	ds_read2_b64 v[10:13], v18 offset0:32 offset1:36
	;; [unrolled: 5-line block ×7, first 2 shown]
	s_waitcnt lgkmcnt(0)
	v_mfma_f32_16x16x16_f16 v[10:13], v[54:55], v[2:3], v[10:13]
	s_barrier
	ds_read_b32 v54, v77 offset:9216
	v_mfma_f32_16x16x16_f16 v[10:13], v[56:57], v[4:5], v[10:13]
	s_waitcnt lgkmcnt(0)
	v_cvt_f32_f16_e32 v55, v54
	v_cvt_f32_f16_sdwa v54, v54 dst_sel:DWORD dst_unused:UNUSED_PAD src0_sel:WORD_1
	v_add_f32_e32 v55, v22, v55
	ds_read_b32 v22, v78 offset:9216
	v_add_f32_e32 v54, v23, v54
	s_waitcnt lgkmcnt(0)
	v_cvt_f32_f16_e32 v23, v22
	v_cvt_f32_f16_sdwa v22, v22 dst_sel:DWORD dst_unused:UNUSED_PAD src0_sel:WORD_1
	v_add_f32_e32 v24, v24, v23
	v_add_f32_e32 v25, v25, v22
	v_add_u32_e32 v22, 0x2400, v115
	ds_read2_b32 v[22:23], v22 offset1:1
	s_waitcnt lgkmcnt(0)
	v_cvt_f32_f16_e32 v56, v22
	v_cvt_f32_f16_sdwa v22, v22 dst_sel:DWORD dst_unused:UNUSED_PAD src0_sel:WORD_1
	v_add_f32_e32 v56, v18, v56
	v_cvt_f32_f16_e32 v18, v23
	v_add_f32_e32 v57, v19, v22
	v_cvt_f32_f16_sdwa v19, v23 dst_sel:DWORD dst_unused:UNUSED_PAD src0_sel:WORD_1
	v_add_f32_e32 v20, v20, v18
	v_add_u32_e32 v18, 0x2400, v116
	v_add_f32_e32 v21, v21, v19
	ds_read2_b32 v[18:19], v18 offset1:1
	s_waitcnt lgkmcnt(0)
	v_cvt_f32_f16_e32 v22, v18
	v_cvt_f32_f16_sdwa v18, v18 dst_sel:DWORD dst_unused:UNUSED_PAD src0_sel:WORD_1
	v_add_f32_e32 v23, v14, v22
	v_cvt_f32_f16_e32 v14, v19
	v_add_f32_e32 v58, v15, v18
	v_cvt_f32_f16_sdwa v15, v19 dst_sel:DWORD dst_unused:UNUSED_PAD src0_sel:WORD_1
	v_add_f32_e32 v59, v16, v14
	v_add_u32_e32 v14, 0x2400, v117
	v_add_f32_e32 v60, v17, v15
	ds_read2_b32 v[14:15], v14 offset1:1
	s_waitcnt lgkmcnt(0)
	v_cvt_f32_f16_e32 v16, v14
	v_cvt_f32_f16_sdwa v14, v14 dst_sel:DWORD dst_unused:UNUSED_PAD src0_sel:WORD_1
	v_add_f32_e32 v61, v10, v16
	v_add_f32_e32 v91, v11, v14
	v_cvt_f32_f16_e32 v10, v15
	v_cvt_f32_f16_sdwa v11, v15 dst_sel:DWORD dst_unused:UNUSED_PAD src0_sel:WORD_1
	v_add_f32_e32 v93, v12, v10
	v_add_f32_e32 v22, v13, v11
	;; [unrolled: 1-line block ×4, first 2 shown]
	v_max3_f32 v10, v41, v10, v11
	v_add_f32_e32 v11, 0x40051340, v24
	v_add_f32_e32 v12, 0x40051340, v25
	v_max3_f32 v10, v10, v11, v12
	v_add_f32_e32 v11, 0x40051340, v56
	v_add_f32_e32 v12, 0x40051340, v57
	;; [unrolled: 3-line block ×7, first 2 shown]
	v_max3_f32 v10, v10, v11, v12
	ds_bpermute_b32 v11, v99, v10
	s_waitcnt lgkmcnt(0)
	v_max_f32_e32 v11, v11, v11
	v_max_f32_e32 v10, v10, v11
	ds_bpermute_b32 v11, v107, v10
	s_waitcnt lgkmcnt(0)
	v_max_f32_e32 v11, v11, v11
	v_max_f32_e32 v105, v10, v11
	v_sub_f32_e32 v10, v55, v105
	v_mul_f32_e32 v11, 0x3fb8aa3b, v10
	v_fma_f32 v12, v10, s39, -v11
	v_rndne_f32_e32 v13, v11
	v_fmac_f32_e32 v12, 0x32a5705f, v10
	v_sub_f32_e32 v11, v11, v13
	v_add_f32_e32 v11, v11, v12
	v_exp_f32_e32 v11, v11
	v_cvt_i32_f32_e32 v12, v13
	v_cmp_ngt_f32_e32 vcc, s61, v10
	v_sub_f32_e32 v22, v22, v105
	v_ldexp_f32 v11, v11, v12
	v_cndmask_b32_e32 v11, 0, v11, vcc
	v_cmp_nlt_f32_e32 vcc, s63, v10
	s_nop 1
	v_cndmask_b32_e32 v10, v121, v11, vcc
	v_sub_f32_e32 v11, v54, v105
	v_mul_f32_e32 v12, 0x3fb8aa3b, v11
	v_fma_f32 v13, v11, s39, -v12
	v_rndne_f32_e32 v14, v12
	v_fmac_f32_e32 v13, 0x32a5705f, v11
	v_sub_f32_e32 v12, v12, v14
	v_add_f32_e32 v12, v12, v13
	v_exp_f32_e32 v12, v12
	v_cvt_i32_f32_e32 v13, v14
	v_cmp_ngt_f32_e32 vcc, s61, v11
	v_ldexp_f32 v12, v12, v13
	s_nop 0
	v_cndmask_b32_e32 v12, 0, v12, vcc
	v_cmp_nlt_f32_e32 vcc, s63, v11
	s_nop 1
	v_cndmask_b32_e32 v11, v121, v12, vcc
	v_sub_f32_e32 v12, v24, v105
	v_mul_f32_e32 v14, 0x3fb8aa3b, v12
	v_fma_f32 v15, v12, s39, -v14
	v_rndne_f32_e32 v16, v14
	v_fmac_f32_e32 v15, 0x32a5705f, v12
	v_sub_f32_e32 v14, v14, v16
	v_add_f32_e32 v14, v14, v15
	v_exp_f32_e32 v14, v14
	v_cvt_i32_f32_e32 v15, v16
	v_cmp_ngt_f32_e32 vcc, s61, v12
	v_add_f32_e32 v13, v10, v11
	v_ldexp_f32 v14, v14, v15
	v_cndmask_b32_e32 v14, 0, v14, vcc
	v_cmp_nlt_f32_e32 vcc, s63, v12
	s_nop 1
	v_cndmask_b32_e32 v12, v121, v14, vcc
	v_sub_f32_e32 v14, v25, v105
	v_mul_f32_e32 v15, 0x3fb8aa3b, v14
	v_fma_f32 v16, v14, s39, -v15
	v_rndne_f32_e32 v17, v15
	v_fmac_f32_e32 v16, 0x32a5705f, v14
	v_sub_f32_e32 v15, v15, v17
	v_add_f32_e32 v15, v15, v16
	v_exp_f32_e32 v15, v15
	v_cvt_i32_f32_e32 v16, v17
	v_cmp_ngt_f32_e32 vcc, s61, v14
	v_add_f32_e32 v13, v12, v13
	v_ldexp_f32 v15, v15, v16
	v_cndmask_b32_e32 v15, 0, v15, vcc
	v_cmp_nlt_f32_e32 vcc, s63, v14
	s_nop 1
	v_cndmask_b32_e32 v14, v121, v15, vcc
	v_add_f32_e32 v15, v14, v13
	v_sub_f32_e32 v13, v56, v105
	v_mul_f32_e32 v16, 0x3fb8aa3b, v13
	v_fma_f32 v17, v13, s39, -v16
	v_rndne_f32_e32 v18, v16
	v_fmac_f32_e32 v17, 0x32a5705f, v13
	v_sub_f32_e32 v16, v16, v18
	v_add_f32_e32 v16, v16, v17
	v_exp_f32_e32 v16, v16
	v_cvt_i32_f32_e32 v17, v18
	v_cmp_ngt_f32_e32 vcc, s61, v13
	v_ldexp_f32 v16, v16, v17
	s_nop 0
	v_cndmask_b32_e32 v16, 0, v16, vcc
	v_cmp_nlt_f32_e32 vcc, s63, v13
	s_nop 1
	v_cndmask_b32_e32 v13, v121, v16, vcc
	v_add_f32_e32 v16, v13, v15
	v_sub_f32_e32 v15, v57, v105
	v_mul_f32_e32 v17, 0x3fb8aa3b, v15
	v_fma_f32 v18, v15, s39, -v17
	v_rndne_f32_e32 v19, v17
	v_fmac_f32_e32 v18, 0x32a5705f, v15
	v_sub_f32_e32 v17, v17, v19
	v_add_f32_e32 v17, v17, v18
	v_exp_f32_e32 v17, v17
	v_cvt_i32_f32_e32 v18, v19
	v_cmp_ngt_f32_e32 vcc, s61, v15
	v_ldexp_f32 v17, v17, v18
	s_nop 0
	v_cndmask_b32_e32 v17, 0, v17, vcc
	v_cmp_nlt_f32_e32 vcc, s63, v15
	s_nop 1
	v_cndmask_b32_e32 v15, v121, v17, vcc
	v_add_f32_e32 v17, v15, v16
	v_sub_f32_e32 v16, v20, v105
	v_mul_f32_e32 v18, 0x3fb8aa3b, v16
	v_fma_f32 v19, v16, s39, -v18
	v_rndne_f32_e32 v20, v18
	v_fmac_f32_e32 v19, 0x32a5705f, v16
	v_sub_f32_e32 v18, v18, v20
	v_add_f32_e32 v18, v18, v19
	v_exp_f32_e32 v18, v18
	v_cvt_i32_f32_e32 v19, v20
	v_cmp_ngt_f32_e32 vcc, s61, v16
	v_ldexp_f32 v18, v18, v19
	s_nop 0
	v_cndmask_b32_e32 v18, 0, v18, vcc
	v_cmp_nlt_f32_e32 vcc, s63, v16
	s_nop 1
	v_cndmask_b32_e32 v16, v121, v18, vcc
	v_sub_f32_e32 v18, v21, v105
	v_mul_f32_e32 v19, 0x3fb8aa3b, v18
	v_fma_f32 v20, v18, s39, -v19
	v_rndne_f32_e32 v21, v19
	v_fmac_f32_e32 v20, 0x32a5705f, v18
	v_sub_f32_e32 v19, v19, v21
	v_add_f32_e32 v19, v19, v20
	v_exp_f32_e32 v19, v19
	v_cvt_i32_f32_e32 v20, v21
	v_cmp_ngt_f32_e32 vcc, s61, v18
	v_add_f32_e32 v17, v16, v17
	v_ldexp_f32 v19, v19, v20
	v_cndmask_b32_e32 v19, 0, v19, vcc
	v_cmp_nlt_f32_e32 vcc, s63, v18
	s_nop 1
	v_cndmask_b32_e32 v18, v121, v19, vcc
	v_add_f32_e32 v19, v18, v17
	v_sub_f32_e32 v17, v23, v105
	v_mul_f32_e32 v20, 0x3fb8aa3b, v17
	v_fma_f32 v21, v17, s39, -v20
	v_rndne_f32_e32 v23, v20
	v_fmac_f32_e32 v21, 0x32a5705f, v17
	v_sub_f32_e32 v20, v20, v23
	v_add_f32_e32 v20, v20, v21
	v_exp_f32_e32 v20, v20
	v_cvt_i32_f32_e32 v21, v23
	v_cmp_ngt_f32_e32 vcc, s61, v17
	v_ldexp_f32 v20, v20, v21
	s_nop 0
	v_cndmask_b32_e32 v20, 0, v20, vcc
	v_cmp_nlt_f32_e32 vcc, s63, v17
	s_nop 1
	v_cndmask_b32_e32 v17, v121, v20, vcc
	v_add_f32_e32 v20, v17, v19
	v_sub_f32_e32 v19, v58, v105
	v_mul_f32_e32 v21, 0x3fb8aa3b, v19
	v_fma_f32 v23, v19, s39, -v21
	v_rndne_f32_e32 v24, v21
	v_fmac_f32_e32 v23, 0x32a5705f, v19
	v_sub_f32_e32 v21, v21, v24
	v_add_f32_e32 v21, v21, v23
	v_exp_f32_e32 v21, v21
	v_cvt_i32_f32_e32 v23, v24
	v_cmp_ngt_f32_e32 vcc, s61, v19
	v_ldexp_f32 v21, v21, v23
	s_nop 0
	;; [unrolled: 17-line block ×3, first 2 shown]
	v_cndmask_b32_e32 v23, 0, v23, vcc
	v_cmp_nlt_f32_e32 vcc, s63, v20
	s_nop 1
	v_cndmask_b32_e32 v20, v121, v23, vcc
	v_sub_f32_e32 v23, v60, v105
	v_mul_f32_e32 v24, 0x3fb8aa3b, v23
	v_fma_f32 v25, v23, s39, -v24
	v_rndne_f32_e32 v54, v24
	v_fmac_f32_e32 v25, 0x32a5705f, v23
	v_sub_f32_e32 v24, v24, v54
	v_add_f32_e32 v24, v24, v25
	v_exp_f32_e32 v24, v24
	v_cvt_i32_f32_e32 v25, v54
	v_cmp_ngt_f32_e32 vcc, s61, v23
	v_add_f32_e32 v21, v20, v21
	v_ldexp_f32 v24, v24, v25
	v_cndmask_b32_e32 v24, 0, v24, vcc
	v_cmp_nlt_f32_e32 vcc, s63, v23
	s_nop 1
	v_cndmask_b32_e32 v98, v121, v24, vcc
	v_add_f32_e32 v23, v98, v21
	v_sub_f32_e32 v21, v61, v105
	v_mul_f32_e32 v24, 0x3fb8aa3b, v21
	v_fma_f32 v25, v21, s39, -v24
	v_rndne_f32_e32 v54, v24
	v_fmac_f32_e32 v25, 0x32a5705f, v21
	v_sub_f32_e32 v24, v24, v54
	v_add_f32_e32 v24, v24, v25
	v_exp_f32_e32 v24, v24
	v_cvt_i32_f32_e32 v25, v54
	v_cmp_ngt_f32_e32 vcc, s61, v21
	v_ldexp_f32 v24, v24, v25
	s_nop 0
	v_cndmask_b32_e32 v24, 0, v24, vcc
	v_cmp_nlt_f32_e32 vcc, s63, v21
	s_nop 1
	v_cndmask_b32_e32 v21, v121, v24, vcc
	v_sub_f32_e32 v24, v91, v105
	v_mul_f32_e32 v25, 0x3fb8aa3b, v24
	v_fma_f32 v54, v24, s39, -v25
	v_rndne_f32_e32 v55, v25
	v_fmac_f32_e32 v54, 0x32a5705f, v24
	v_sub_f32_e32 v25, v25, v55
	v_add_f32_e32 v25, v25, v54
	v_exp_f32_e32 v25, v25
	v_cvt_i32_f32_e32 v54, v55
	v_cmp_ngt_f32_e32 vcc, s61, v24
	v_add_f32_e32 v23, v21, v23
	v_ldexp_f32 v25, v25, v54
	v_cndmask_b32_e32 v25, 0, v25, vcc
	v_cmp_nlt_f32_e32 vcc, s63, v24
	v_sub_f32_e32 v24, v93, v105
	s_nop 0
	v_cndmask_b32_e32 v102, v121, v25, vcc
	v_mul_f32_e32 v25, 0x3fb8aa3b, v24
	v_fma_f32 v54, v24, s39, -v25
	v_rndne_f32_e32 v55, v25
	v_fmac_f32_e32 v54, 0x32a5705f, v24
	v_sub_f32_e32 v25, v25, v55
	v_add_f32_e32 v25, v25, v54
	v_exp_f32_e32 v25, v25
	v_cvt_i32_f32_e32 v54, v55
	v_cmp_ngt_f32_e32 vcc, s61, v24
	v_add_f32_e32 v23, v102, v23
	v_ldexp_f32 v25, v25, v54
	v_cndmask_b32_e32 v25, 0, v25, vcc
	v_cmp_nlt_f32_e32 vcc, s63, v24
	v_mul_f32_e32 v24, 0x3fb8aa3b, v22
	v_rndne_f32_e32 v54, v24
	v_cndmask_b32_e32 v106, v121, v25, vcc
	v_fma_f32 v25, v22, s39, -v24
	v_fmac_f32_e32 v25, 0x32a5705f, v22
	v_sub_f32_e32 v24, v24, v54
	v_add_f32_e32 v24, v24, v25
	v_exp_f32_e32 v24, v24
	v_cvt_i32_f32_e32 v25, v54
	v_cmp_ngt_f32_e32 vcc, s61, v22
	v_add_f32_e32 v23, v106, v23
	v_ldexp_f32 v24, v24, v25
	v_cndmask_b32_e32 v24, 0, v24, vcc
	v_cmp_nlt_f32_e32 vcc, s63, v22
	v_sub_f32_e32 v22, v41, v105
	s_nop 0
	v_cndmask_b32_e32 v94, v121, v24, vcc
	v_add_f32_e32 v108, v94, v23
	v_mul_f32_e32 v23, 0x3fb8aa3b, v22
	v_fma_f32 v24, v22, s39, -v23
	v_rndne_f32_e32 v25, v23
	v_fmac_f32_e32 v24, 0x32a5705f, v22
	v_sub_f32_e32 v23, v23, v25
	v_add_f32_e32 v23, v23, v24
	v_exp_f32_e32 v23, v23
	v_cvt_i32_f32_e32 v24, v25
	v_cmp_ngt_f32_e32 vcc, s61, v22
	v_ldexp_f32 v23, v23, v24
	s_nop 0
	v_cndmask_b32_e32 v23, 0, v23, vcc
	v_cmp_nlt_f32_e32 vcc, s63, v22
	s_nop 1
	v_cndmask_b32_e32 v23, v121, v23, vcc
	v_cmp_le_f32_e32 vcc, s3, v22
	s_nop 1
	v_cndmask_b32_e32 v22, 0, v23, vcc
	v_fmac_f32_e32 v108, v40, v22
	v_cvt_f16_f32_e32 v22, v22
	v_lshl_add_u64 v[40:41], v[38:39], 2, s[80:81]
	v_lshl_add_u64 v[40:41], v[40:41], 0, v[28:29]
	v_mul_u32_u24_e32 v24, 0x10001, v22
	v_pk_mul_f16 v23, v66, v24
	v_pk_mul_f16 v22, v97, v24
	;; [unrolled: 1-line block ×8, first 2 shown]
	v_lshl_add_u64 v[24:25], v[36:37], 2, s[80:81]
	v_lshl_add_u64 v[24:25], v[24:25], 0, v[28:29]
	global_load_dwordx4 v[54:57], v[24:25], off
	v_cvt_pk_f16_f32 v67, v20, v98
	v_cvt_pk_f16_f32 v66, v17, v19
	;; [unrolled: 1-line block ×4, first 2 shown]
	s_waitcnt vmcnt(0)
	ds_write_b128 v74, v[54:57]
	global_load_dwordx4 v[54:57], v[40:41], off
	s_waitcnt vmcnt(0)
	ds_write_b128 v114, v[54:57]
	s_waitcnt lgkmcnt(0)
	s_barrier
	ds_read_u16 v24, v80 offset:144
	v_cvt_f32_f16_e32 v54, v23
	v_cvt_f32_f16_sdwa v55, v23 dst_sel:DWORD dst_unused:UNUSED_PAD src0_sel:WORD_1
	v_cvt_f32_f16_e32 v56, v22
	v_cvt_f32_f16_sdwa v57, v22 dst_sel:DWORD dst_unused:UNUSED_PAD src0_sel:WORD_1
	ds_read_u16 v22, v81
	ds_read_u16 v28, v81 offset:32
	ds_read_u16 v23, v82
	ds_read_u16 v40, v82 offset:32
	s_waitcnt lgkmcnt(1)
	v_perm_b32 v25, v23, v22, s2
	ds_read_u16 v22, v80
	ds_read_u16 v41, v80 offset:32
	v_cvt_pk_f16_f32 v23, v12, v14
	s_waitcnt lgkmcnt(2)
	v_perm_b32 v19, v40, v28, s2
	s_waitcnt lgkmcnt(1)
	v_perm_b32 v24, v24, v22, s2
	v_cvt_pk_f16_f32 v22, v10, v11
	s_nop 1
	v_mfma_f32_16x16x16_f16 v[54:57], v[24:25], v[22:23], v[54:57]
	ds_read_u16 v24, v80 offset:2304
	ds_read_u16 v25, v80 offset:2448
	;; [unrolled: 1-line block ×4, first 2 shown]
	s_nop 3
	v_cvt_f16_f32_e32 v10, v54
	v_cvt_f16_f32_e32 v11, v55
	v_cvt_f16_f32_e32 v12, v56
	v_cvt_f16_f32_e32 v14, v57
	v_cvt_f32_f16_e32 v54, v10
	v_cvt_f32_f16_e32 v55, v11
	s_waitcnt lgkmcnt(0)
	v_perm_b32 v11, v59, v58, s2
	v_perm_b32 v10, v25, v24, s2
	v_cvt_f32_f16_e32 v56, v12
	v_cvt_f32_f16_e32 v57, v14
	v_cvt_pk_f16_f32 v25, v16, v18
	v_cvt_pk_f16_f32 v24, v13, v15
	ds_read_u16 v14, v80 offset:4608
	ds_read_u16 v16, v80 offset:4752
	;; [unrolled: 1-line block ×4, first 2 shown]
	v_mfma_f32_16x16x16_f16 v[10:13], v[10:11], v[24:25], v[54:57]
	s_waitcnt lgkmcnt(2)
	v_perm_b32 v14, v16, v14, s2
	s_waitcnt lgkmcnt(0)
	v_perm_b32 v15, v18, v15, s2
	v_cvt_f32_f16_sdwa v55, v92 dst_sel:DWORD dst_unused:UNUSED_PAD src0_sel:WORD_1
	s_nop 2
	v_cvt_f16_f32_e32 v10, v10
	v_cvt_f16_f32_e32 v11, v11
	;; [unrolled: 1-line block ×4, first 2 shown]
	v_cvt_f32_f16_e32 v10, v10
	v_cvt_f32_f16_e32 v11, v11
	;; [unrolled: 1-line block ×5, first 2 shown]
	v_cvt_f32_f16_sdwa v57, v1 dst_sel:DWORD dst_unused:UNUSED_PAD src0_sel:WORD_1
	v_mfma_f32_16x16x16_f16 v[10:13], v[14:15], v[66:67], v[10:13]
	ds_read_u16 v14, v80 offset:6912
	ds_read_u16 v16, v80 offset:7056
	;; [unrolled: 1-line block ×5, first 2 shown]
	s_nop 2
	v_cvt_f16_f32_e32 v10, v10
	v_cvt_f16_f32_e32 v11, v11
	;; [unrolled: 1-line block ×4, first 2 shown]
	s_waitcnt lgkmcnt(1)
	v_perm_b32 v15, v17, v15, s2
	v_perm_b32 v14, v16, v14, s2
	v_cvt_f32_f16_e32 v10, v10
	v_cvt_f32_f16_e32 v11, v11
	;; [unrolled: 1-line block ×4, first 2 shown]
	s_waitcnt lgkmcnt(0)
	v_perm_b32 v18, v18, v41, s2
	v_cvt_f32_f16_e32 v16, v93
	v_mfma_f32_16x16x16_f16 v[10:13], v[14:15], v[68:69], v[10:13]
	v_cvt_f32_f16_e32 v14, v91
	v_cvt_f32_f16_sdwa v15, v91 dst_sel:DWORD dst_unused:UNUSED_PAD src0_sel:WORD_1
	v_cvt_f32_f16_sdwa v17, v93 dst_sel:DWORD dst_unused:UNUSED_PAD src0_sel:WORD_1
	s_nop 1
	v_mfma_f32_16x16x16_f16 v[14:17], v[18:19], v[22:23], v[14:17]
	ds_read_u16 v18, v80 offset:2336
	ds_read_u16 v20, v80 offset:2480
	ds_read_u16 v19, v81 offset:2336
	ds_read_u16 v21, v82 offset:2336
	s_nop 3
	v_cvt_f16_f32_e32 v14, v14
	v_cvt_f16_f32_e32 v15, v15
	;; [unrolled: 1-line block ×4, first 2 shown]
	s_waitcnt lgkmcnt(0)
	v_perm_b32 v19, v21, v19, s2
	v_perm_b32 v18, v20, v18, s2
	v_cvt_f32_f16_e32 v14, v14
	v_cvt_f32_f16_e32 v15, v15
	;; [unrolled: 1-line block ×4, first 2 shown]
	s_nop 1
	v_mfma_f32_16x16x16_f16 v[14:17], v[18:19], v[24:25], v[14:17]
	ds_read_u16 v18, v80 offset:4640
	ds_read_u16 v20, v80 offset:4784
	;; [unrolled: 1-line block ×4, first 2 shown]
	s_nop 3
	v_cvt_f16_f32_e32 v14, v14
	v_cvt_f16_f32_e32 v15, v15
	;; [unrolled: 1-line block ×4, first 2 shown]
	s_waitcnt lgkmcnt(0)
	v_perm_b32 v19, v21, v19, s2
	v_perm_b32 v18, v20, v18, s2
	v_cvt_f32_f16_e32 v14, v14
	v_cvt_f32_f16_e32 v15, v15
	;; [unrolled: 1-line block ×4, first 2 shown]
	s_nop 1
	v_mfma_f32_16x16x16_f16 v[14:17], v[18:19], v[66:67], v[14:17]
	ds_read_u16 v18, v80 offset:6944
	ds_read_u16 v20, v80 offset:7088
	;; [unrolled: 1-line block ×8, first 2 shown]
	v_cvt_f16_f32_e32 v14, v14
	v_cvt_f16_f32_e32 v15, v15
	;; [unrolled: 1-line block ×4, first 2 shown]
	s_waitcnt lgkmcnt(4)
	v_perm_b32 v19, v21, v19, s2
	v_perm_b32 v18, v20, v18, s2
	v_cvt_f32_f16_e32 v14, v14
	v_cvt_f32_f16_e32 v15, v15
	;; [unrolled: 1-line block ×4, first 2 shown]
	s_waitcnt lgkmcnt(0)
	v_perm_b32 v41, v54, v41, s2
	v_perm_b32 v40, v40, v28, s2
	v_mfma_f32_16x16x16_f16 v[14:17], v[18:19], v[68:69], v[14:17]
	v_cvt_f32_f16_e32 v18, v97
	v_cvt_f32_f16_sdwa v19, v97 dst_sel:DWORD dst_unused:UNUSED_PAD src0_sel:WORD_1
	v_cvt_f32_f16_e32 v20, v95
	v_cvt_f32_f16_sdwa v21, v95 dst_sel:DWORD dst_unused:UNUSED_PAD src0_sel:WORD_1
	v_cvt_pk_f16_f32 v97, v12, v13
	s_nop 2
	v_cvt_pk_f16_f32 v95, v14, v15
	v_mfma_f32_16x16x16_f16 v[18:21], v[40:41], v[22:23], v[18:21]
	ds_read_u16 v28, v80 offset:2368
	ds_read_u16 v40, v80 offset:2512
	;; [unrolled: 1-line block ×4, first 2 shown]
	s_nop 3
	v_cvt_f16_f32_e32 v18, v18
	v_cvt_f16_f32_e32 v19, v19
	;; [unrolled: 1-line block ×4, first 2 shown]
	s_waitcnt lgkmcnt(0)
	v_perm_b32 v41, v54, v41, s2
	v_perm_b32 v40, v40, v28, s2
	v_cvt_f32_f16_e32 v18, v18
	v_cvt_f32_f16_e32 v19, v19
	;; [unrolled: 1-line block ×4, first 2 shown]
	s_nop 1
	v_mfma_f32_16x16x16_f16 v[18:21], v[40:41], v[24:25], v[18:21]
	ds_read_u16 v28, v80 offset:4672
	ds_read_u16 v40, v80 offset:4816
	;; [unrolled: 1-line block ×4, first 2 shown]
	s_nop 3
	v_cvt_f16_f32_e32 v18, v18
	v_cvt_f16_f32_e32 v19, v19
	v_cvt_f16_f32_e32 v20, v20
	v_cvt_f16_f32_e32 v21, v21
	s_waitcnt lgkmcnt(0)
	v_perm_b32 v41, v54, v41, s2
	v_perm_b32 v40, v40, v28, s2
	v_cvt_f32_f16_e32 v18, v18
	v_cvt_f32_f16_e32 v19, v19
	;; [unrolled: 1-line block ×4, first 2 shown]
	s_nop 1
	v_mfma_f32_16x16x16_f16 v[18:21], v[40:41], v[66:67], v[18:21]
	ds_read_u16 v28, v80 offset:6976
	ds_read_u16 v40, v80 offset:7120
	;; [unrolled: 1-line block ×4, first 2 shown]
	s_nop 3
	v_cvt_f16_f32_e32 v18, v18
	v_cvt_f16_f32_e32 v19, v19
	;; [unrolled: 1-line block ×4, first 2 shown]
	s_waitcnt lgkmcnt(0)
	v_perm_b32 v41, v54, v41, s2
	v_perm_b32 v40, v40, v28, s2
	v_cvt_f32_f16_e32 v18, v18
	v_cvt_f32_f16_e32 v19, v19
	;; [unrolled: 1-line block ×5, first 2 shown]
	v_cvt_pk_f16_f32 v92, v16, v17
	v_mfma_f32_16x16x16_f16 v[18:21], v[40:41], v[68:69], v[18:21]
	ds_read_u16 v28, v80 offset:96
	ds_read_u16 v40, v80 offset:240
	;; [unrolled: 1-line block ×4, first 2 shown]
	s_waitcnt lgkmcnt(2)
	v_perm_b32 v40, v40, v28, s2
	s_waitcnt lgkmcnt(0)
	v_perm_b32 v41, v58, v41, s2
	s_nop 1
	v_mfma_f32_16x16x16_f16 v[54:57], v[40:41], v[22:23], v[54:57]
	ds_read_u16 v40, v80 offset:2400
	ds_read_u16 v41, v80 offset:2544
	;; [unrolled: 1-line block ×4, first 2 shown]
	s_nop 3
	v_cvt_f16_f32_e32 v22, v55
	v_cvt_f16_f32_e32 v23, v56
	;; [unrolled: 1-line block ×4, first 2 shown]
	v_cvt_f32_f16_e32 v55, v22
	v_cvt_f32_f16_e32 v56, v23
	s_waitcnt lgkmcnt(0)
	v_perm_b32 v23, v59, v58, s2
	v_perm_b32 v22, v41, v40, s2
	v_cvt_f32_f16_e32 v54, v1
	v_cvt_f32_f16_e32 v57, v28
	s_nop 1
	v_mfma_f32_16x16x16_f16 v[22:25], v[22:23], v[24:25], v[54:57]
	ds_read_u16 v28, v80 offset:4704
	ds_read_u16 v40, v80 offset:4848
	;; [unrolled: 1-line block ×4, first 2 shown]
	s_nop 3
	v_cvt_f16_f32_e32 v1, v22
	v_cvt_f16_f32_e32 v23, v23
	;; [unrolled: 1-line block ×4, first 2 shown]
	s_waitcnt lgkmcnt(0)
	v_perm_b32 v41, v54, v41, s2
	v_perm_b32 v40, v40, v28, s2
	v_cvt_f32_f16_e32 v22, v1
	v_cvt_f32_f16_e32 v23, v23
	v_cvt_f32_f16_e32 v24, v24
	v_cvt_f32_f16_e32 v25, v25
	s_nop 1
	v_mfma_f32_16x16x16_f16 v[22:25], v[40:41], v[66:67], v[22:25]
	ds_read_u16 v28, v80 offset:7008
	ds_read_u16 v40, v80 offset:7152
	;; [unrolled: 1-line block ×4, first 2 shown]
	v_cvt_pk_f16_f32 v66, v10, v11
	s_waitcnt lgkmcnt(0)
	s_nop 1
	v_cvt_f16_f32_e32 v1, v22
	v_cvt_f16_f32_e32 v23, v23
	;; [unrolled: 1-line block ×4, first 2 shown]
	v_perm_b32 v41, v54, v41, s2
	v_perm_b32 v40, v40, v28, s2
	v_cvt_f32_f16_e32 v22, v1
	v_cvt_f32_f16_e32 v23, v23
	;; [unrolled: 1-line block ×4, first 2 shown]
	s_barrier
	s_nop 0
	v_mfma_f32_16x16x16_f16 v[22:25], v[40:41], v[68:69], v[22:25]
	v_cvt_pk_f16_f32 v69, v18, v19
	v_cvt_pk_f16_f32 v68, v20, v21
	s_nop 5
	v_cvt_pk_f16_f32 v67, v22, v23
	v_cvt_pk_f16_f32 v1, v24, v25
	s_cbranch_scc1 .LBB0_51
	s_branch .LBB0_55
.LBB0_52:                               ;   in Loop: Header=BB0_12 Depth=1
	s_mov_b64 s[6:7], 0
                                        ; implicit-def: $vgpr4_vgpr5
                                        ; implicit-def: $vgpr2
	s_cbranch_execnz .LBB0_105
.LBB0_53:                               ;   in Loop: Header=BB0_12 Depth=1
	v_readlane_b32 s92, v127, 29
	v_readlane_b32 s93, v127, 30
	;; [unrolled: 1-line block ×3, first 2 shown]
	s_and_saveexec_b64 s[4:5], s[6:7]
	s_cbranch_execz .LBB0_11
	s_branch .LBB0_194
.LBB0_54:                               ;   in Loop: Header=BB0_12 Depth=1
	v_mov_b32_e32 v105, 0xfeffffff
	v_mov_b32_e32 v108, 0
	;; [unrolled: 1-line block ×11, first 2 shown]
.LBB0_55:                               ;   in Loop: Header=BB0_12 Depth=1
	s_lshl_b32 s4, s78, 6
	s_ashr_i32 s5, s4, 31
	s_lshl_b64 s[6:7], s[4:5], 1
	s_add_u32 s6, s72, s6
	s_addc_u32 s7, s73, s7
	v_lshl_add_u64 v[10:11], v[62:63], 1, s[6:7]
	v_lshlrev_b32_e32 v28, 1, v46
	v_lshl_add_u64 v[10:11], v[10:11], 0, v[28:29]
	global_load_dword v10, v[10:11], off
	s_mul_hi_i32 s7, s26, s4
	s_mul_i32 s6, s26, s4
	s_lshl_b64 s[6:7], s[6:7], 2
	s_add_u32 s6, s59, s6
	s_addc_u32 s7, s60, s7
	v_lshlrev_b32_e32 v28, 2, v30
	v_lshl_add_u64 v[12:13], v[34:35], 2, s[6:7]
	v_lshl_add_u64 v[14:15], v[12:13], 0, v[28:29]
	v_add_u32_e32 v22, 0x800, v76
	v_add_u32_e32 v40, 0x1000, v76
	v_cmp_lt_i32_e32 vcc, v96, v100
	s_mul_hi_i32 s5, s36, s4
	s_mul_i32 s4, s36, s4
	s_lshl_b64 s[4:5], s[4:5], 2
	s_add_u32 s4, s96, s4
	s_addc_u32 s5, s58, s5
	s_cmp_eq_u64 s[70:71], 0
	s_waitcnt vmcnt(0)
	ds_write_b32 v113, v10 offset:9216
	v_lshl_add_u64 v[10:11], v[32:33], 2, s[6:7]
	v_lshl_add_u64 v[10:11], v[10:11], 0, v[28:29]
	global_load_dwordx4 v[10:13], v[10:11], off
	s_waitcnt vmcnt(0)
	ds_write_b128 v74, v[10:13]
	global_load_dwordx4 v[10:13], v[14:15], off
	s_waitcnt vmcnt(0)
	ds_write_b128 v114, v[10:13]
	s_waitcnt lgkmcnt(0)
	s_barrier
	ds_read2_b64 v[10:13], v76 offset1:4
	s_waitcnt lgkmcnt(0)
	v_mfma_f32_16x16x16_f16 v[14:17], v[10:11], v[6:7], 0
	v_mfma_f32_16x16x16_f16 v[10:13], v[12:13], v[8:9], v[14:17]
	s_nop 6
	ds_read2_b64 v[14:17], v76 offset0:8 offset1:12
	s_waitcnt lgkmcnt(0)
	v_mfma_f32_16x16x16_f16 v[10:13], v[14:15], v[2:3], v[10:13]
	v_mfma_f32_16x16x16_f16 v[18:21], v[16:17], v[4:5], v[10:13]
	s_nop 6
	ds_read2_b64 v[10:13], v22 offset0:32 offset1:36
	;; [unrolled: 5-line block ×5, first 2 shown]
	s_waitcnt lgkmcnt(0)
	v_mfma_f32_16x16x16_f16 v[10:13], v[22:23], v[2:3], v[10:13]
	v_add_u32_e32 v40, 0x1800, v76
	v_mfma_f32_16x16x16_f16 v[10:13], v[24:25], v[4:5], v[10:13]
	ds_read2_b64 v[22:25], v40 offset0:96 offset1:100
	s_waitcnt lgkmcnt(0)
	v_mfma_f32_16x16x16_f16 v[54:57], v[22:23], v[6:7], 0
	v_mfma_f32_16x16x16_f16 v[6:9], v[24:25], v[8:9], v[54:57]
	ds_read2_b64 v[22:25], v40 offset0:104 offset1:108
	s_waitcnt lgkmcnt(0)
	s_barrier
	v_mfma_f32_16x16x16_f16 v[6:9], v[22:23], v[2:3], v[6:9]
	v_mfma_f32_16x16x16_f16 v[2:5], v[24:25], v[4:5], v[6:9]
	s_nop 6
	ds_read_b32 v6, v77 offset:9216
	s_waitcnt lgkmcnt(0)
	v_cvt_f32_f16_e32 v7, v6
	v_cvt_f32_f16_sdwa v8, v6 dst_sel:DWORD dst_unused:UNUSED_PAD src0_sel:WORD_1
	v_add_f32_e32 v6, v18, v7
	v_add_f32_e32 v7, v19, v8
	ds_read_b32 v8, v78 offset:9216
	s_waitcnt lgkmcnt(0)
	v_cvt_f32_f16_e32 v9, v8
	v_cvt_f32_f16_sdwa v8, v8 dst_sel:DWORD dst_unused:UNUSED_PAD src0_sel:WORD_1
	v_add_f32_e32 v40, v20, v9
	v_add_f32_e32 v24, v21, v8
	v_add_u32_e32 v8, 0x2400, v115
	ds_read2_b32 v[8:9], v8 offset1:1
	s_waitcnt lgkmcnt(0)
	v_cvt_f32_f16_e32 v18, v8
	v_cvt_f32_f16_sdwa v8, v8 dst_sel:DWORD dst_unused:UNUSED_PAD src0_sel:WORD_1
	v_add_f32_e32 v25, v14, v18
	v_add_f32_e32 v23, v15, v8
	v_cvt_f32_f16_e32 v8, v9
	v_cvt_f32_f16_sdwa v9, v9 dst_sel:DWORD dst_unused:UNUSED_PAD src0_sel:WORD_1
	v_add_f32_e32 v15, v16, v8
	v_add_u32_e32 v8, 0x2400, v116
	v_add_f32_e32 v22, v17, v9
	ds_read2_b32 v[8:9], v8 offset1:1
	s_waitcnt lgkmcnt(0)
	v_cvt_f32_f16_e32 v14, v8
	v_cvt_f32_f16_sdwa v8, v8 dst_sel:DWORD dst_unused:UNUSED_PAD src0_sel:WORD_1
	v_add_f32_e32 v21, v10, v14
	v_add_f32_e32 v19, v11, v8
	v_cvt_f32_f16_e32 v8, v9
	v_cvt_f32_f16_sdwa v9, v9 dst_sel:DWORD dst_unused:UNUSED_PAD src0_sel:WORD_1
	v_add_f32_e32 v18, v12, v8
	v_add_f32_e32 v8, v13, v9
	v_add_u32_e32 v9, 0x2400, v117
	ds_read2_b32 v[10:11], v9 offset1:1
	s_waitcnt lgkmcnt(0)
	v_cvt_f32_f16_e32 v9, v10
	v_cvt_f32_f16_sdwa v10, v10 dst_sel:DWORD dst_unused:UNUSED_PAD src0_sel:WORD_1
	v_add_f32_e32 v17, v2, v9
	v_add_f32_e32 v9, v3, v10
	v_cvt_f32_f16_e32 v2, v11
	v_cvt_f32_f16_sdwa v10, v11 dst_sel:DWORD dst_unused:UNUSED_PAD src0_sel:WORD_1
	v_add_f32_e32 v3, v4, v2
	v_add_f32_e32 v2, v5, v10
	;; [unrolled: 1-line block ×4, first 2 shown]
	v_max3_f32 v4, v105, v4, v5
	v_add_f32_e32 v5, 0x40051340, v40
	v_add_f32_e32 v10, 0x40051340, v24
	v_max3_f32 v4, v4, v5, v10
	v_add_f32_e32 v5, 0x40051340, v25
	v_add_f32_e32 v10, 0x40051340, v23
	;; [unrolled: 3-line block ×7, first 2 shown]
	v_max3_f32 v4, v4, v5, v10
	v_cndmask_b32_e32 v5, v120, v96, vcc
	v_lshlrev_b32_e32 v13, 2, v5
	ds_bpermute_b32 v5, v13, v4
	v_cmp_lt_i32_e32 vcc, v103, v100
	s_waitcnt lgkmcnt(0)
	v_max_f32_e32 v5, v5, v5
	v_max_f32_e32 v4, v4, v5
	v_cndmask_b32_e32 v5, v120, v103, vcc
	v_lshlrev_b32_e32 v20, 2, v5
	ds_bpermute_b32 v5, v20, v4
	s_waitcnt lgkmcnt(0)
	v_max_f32_e32 v5, v5, v5
	v_max_f32_e32 v12, v4, v5
	v_sub_f32_e32 v4, v6, v12
	v_mul_f32_e32 v5, 0x3fb8aa3b, v4
	v_fma_f32 v6, v4, s39, -v5
	v_rndne_f32_e32 v10, v5
	v_fmac_f32_e32 v6, 0x32a5705f, v4
	v_sub_f32_e32 v5, v5, v10
	v_add_f32_e32 v5, v5, v6
	v_exp_f32_e32 v5, v5
	v_cvt_i32_f32_e32 v6, v10
	v_cmp_ngt_f32_e32 vcc, s61, v4
	v_sub_f32_e32 v3, v3, v12
	v_sub_f32_e32 v2, v2, v12
	v_ldexp_f32 v5, v5, v6
	v_cndmask_b32_e32 v5, 0, v5, vcc
	v_cmp_nlt_f32_e32 vcc, s63, v4
	v_sub_f32_e32 v4, v7, v12
	s_nop 0
	v_cndmask_b32_e32 v6, v121, v5, vcc
	v_mul_f32_e32 v5, 0x3fb8aa3b, v4
	v_fma_f32 v7, v4, s39, -v5
	v_rndne_f32_e32 v10, v5
	v_fmac_f32_e32 v7, 0x32a5705f, v4
	v_sub_f32_e32 v5, v5, v10
	v_add_f32_e32 v5, v5, v7
	v_exp_f32_e32 v5, v5
	v_cvt_i32_f32_e32 v7, v10
	v_cmp_ngt_f32_e32 vcc, s61, v4
	v_ldexp_f32 v5, v5, v7
	s_nop 0
	v_cndmask_b32_e32 v5, 0, v5, vcc
	v_cmp_nlt_f32_e32 vcc, s63, v4
	s_nop 1
	v_cndmask_b32_e32 v7, v121, v5, vcc
	v_sub_f32_e32 v5, v40, v12
	v_mul_f32_e32 v10, 0x3fb8aa3b, v5
	v_fma_f32 v11, v5, s39, -v10
	v_rndne_f32_e32 v14, v10
	v_fmac_f32_e32 v11, 0x32a5705f, v5
	v_sub_f32_e32 v10, v10, v14
	v_add_f32_e32 v10, v10, v11
	v_exp_f32_e32 v10, v10
	v_cvt_i32_f32_e32 v11, v14
	v_cmp_ngt_f32_e32 vcc, s61, v5
	v_add_f32_e32 v4, v6, v7
	v_add_u32_e32 v40, v79, v49
	v_ldexp_f32 v10, v10, v11
	v_cndmask_b32_e32 v10, 0, v10, vcc
	v_cmp_nlt_f32_e32 vcc, s63, v5
	v_sub_f32_e32 v5, v24, v12
	v_mul_f32_e32 v11, 0x3fb8aa3b, v5
	v_fma_f32 v14, v5, s39, -v11
	v_rndne_f32_e32 v16, v11
	v_fmac_f32_e32 v14, 0x32a5705f, v5
	v_sub_f32_e32 v11, v11, v16
	v_add_f32_e32 v11, v11, v14
	v_exp_f32_e32 v11, v11
	v_cvt_i32_f32_e32 v14, v16
	v_cndmask_b32_e32 v10, v121, v10, vcc
	v_cmp_ngt_f32_e32 vcc, s61, v5
	v_add_f32_e32 v4, v10, v4
	v_ldexp_f32 v11, v11, v14
	v_cndmask_b32_e32 v11, 0, v11, vcc
	v_cmp_nlt_f32_e32 vcc, s63, v5
	v_sub_f32_e32 v5, v25, v12
	s_nop 0
	v_cndmask_b32_e32 v14, v121, v11, vcc
	v_mul_f32_e32 v11, 0x3fb8aa3b, v5
	v_fma_f32 v16, v5, s39, -v11
	v_rndne_f32_e32 v24, v11
	v_fmac_f32_e32 v16, 0x32a5705f, v5
	v_sub_f32_e32 v11, v11, v24
	v_add_f32_e32 v11, v11, v16
	v_exp_f32_e32 v11, v11
	v_cvt_i32_f32_e32 v16, v24
	v_cmp_ngt_f32_e32 vcc, s61, v5
	v_add_f32_e32 v4, v14, v4
	v_ldexp_f32 v11, v11, v16
	v_cndmask_b32_e32 v11, 0, v11, vcc
	v_cmp_nlt_f32_e32 vcc, s63, v5
	v_sub_f32_e32 v5, v23, v12
	v_mul_f32_e32 v16, 0x3fb8aa3b, v5
	v_fma_f32 v23, v5, s39, -v16
	v_rndne_f32_e32 v24, v16
	v_fmac_f32_e32 v23, 0x32a5705f, v5
	v_sub_f32_e32 v16, v16, v24
	v_add_f32_e32 v16, v16, v23
	v_exp_f32_e32 v16, v16
	v_cvt_i32_f32_e32 v23, v24
	v_cndmask_b32_e32 v11, v121, v11, vcc
	v_cmp_ngt_f32_e32 vcc, s61, v5
	v_add_f32_e32 v4, v11, v4
	v_ldexp_f32 v16, v16, v23
	v_cndmask_b32_e32 v16, 0, v16, vcc
	v_cmp_nlt_f32_e32 vcc, s63, v5
	v_sub_f32_e32 v5, v15, v12
	v_mul_f32_e32 v15, 0x3fb8aa3b, v5
	v_fma_f32 v23, v5, s39, -v15
	v_rndne_f32_e32 v24, v15
	v_fmac_f32_e32 v23, 0x32a5705f, v5
	v_sub_f32_e32 v15, v15, v24
	v_add_f32_e32 v15, v15, v23
	v_exp_f32_e32 v15, v15
	v_cvt_i32_f32_e32 v23, v24
	v_cndmask_b32_e32 v16, v121, v16, vcc
	;; [unrolled: 15-line block ×4, first 2 shown]
	v_cmp_ngt_f32_e32 vcc, s61, v5
	v_add_f32_e32 v4, v22, v4
	v_ldexp_f32 v21, v21, v23
	v_cndmask_b32_e32 v21, 0, v21, vcc
	v_cmp_nlt_f32_e32 vcc, s63, v5
	v_sub_f32_e32 v5, v19, v12
	v_mul_f32_e32 v19, 0x3fb8aa3b, v5
	v_cndmask_b32_e32 v23, v121, v21, vcc
	v_fma_f32 v21, v5, s39, -v19
	v_rndne_f32_e32 v24, v19
	v_fmac_f32_e32 v21, 0x32a5705f, v5
	v_sub_f32_e32 v19, v19, v24
	v_add_f32_e32 v19, v19, v21
	v_exp_f32_e32 v19, v19
	v_cvt_i32_f32_e32 v21, v24
	v_cmp_ngt_f32_e32 vcc, s61, v5
	v_add_f32_e32 v4, v23, v4
	v_cvt_pk_f16_f32 v15, v15, v22
	v_ldexp_f32 v19, v19, v21
	v_cndmask_b32_e32 v19, 0, v19, vcc
	v_cmp_nlt_f32_e32 vcc, s63, v5
	v_sub_f32_e32 v5, v18, v12
	v_mul_f32_e32 v18, 0x3fb8aa3b, v5
	v_cndmask_b32_e32 v41, v121, v19, vcc
	v_fma_f32 v19, v5, s39, -v18
	v_rndne_f32_e32 v21, v18
	v_fmac_f32_e32 v19, 0x32a5705f, v5
	v_sub_f32_e32 v18, v18, v21
	v_add_f32_e32 v18, v18, v19
	v_exp_f32_e32 v18, v18
	v_cvt_i32_f32_e32 v19, v21
	v_cmp_ngt_f32_e32 vcc, s61, v5
	v_add_f32_e32 v4, v41, v4
	v_ldexp_f32 v18, v18, v19
	v_cndmask_b32_e32 v18, 0, v18, vcc
	v_cmp_nlt_f32_e32 vcc, s63, v5
	v_sub_f32_e32 v5, v8, v12
	v_mul_f32_e32 v8, 0x3fb8aa3b, v5
	v_cndmask_b32_e32 v62, v121, v18, vcc
	v_fma_f32 v18, v5, s39, -v8
	v_rndne_f32_e32 v19, v8
	v_fmac_f32_e32 v18, 0x32a5705f, v5
	v_sub_f32_e32 v8, v8, v19
	v_add_f32_e32 v8, v8, v18
	v_exp_f32_e32 v8, v8
	v_cvt_i32_f32_e32 v18, v19
	v_cmp_ngt_f32_e32 vcc, s61, v5
	v_add_f32_e32 v4, v62, v4
	v_cvt_pk_f16_f32 v19, v10, v14
	v_ldexp_f32 v8, v8, v18
	v_cndmask_b32_e32 v8, 0, v8, vcc
	v_cmp_nlt_f32_e32 vcc, s63, v5
	v_sub_f32_e32 v5, v17, v12
	s_nop 0
	v_cndmask_b32_e32 v64, v121, v8, vcc
	v_mul_f32_e32 v8, 0x3fb8aa3b, v5
	v_fma_f32 v17, v5, s39, -v8
	v_rndne_f32_e32 v18, v8
	v_fmac_f32_e32 v17, 0x32a5705f, v5
	v_sub_f32_e32 v8, v8, v18
	v_add_f32_e32 v8, v8, v17
	v_exp_f32_e32 v8, v8
	v_cvt_i32_f32_e32 v17, v18
	v_cmp_ngt_f32_e32 vcc, s61, v5
	v_add_f32_e32 v4, v64, v4
	v_ldexp_f32 v8, v8, v17
	v_cndmask_b32_e32 v8, 0, v8, vcc
	v_cmp_nlt_f32_e32 vcc, s63, v5
	v_sub_f32_e32 v5, v9, v12
	s_nop 0
	v_cndmask_b32_e32 v63, v121, v8, vcc
	v_mul_f32_e32 v8, 0x3fb8aa3b, v5
	v_fma_f32 v9, v5, s39, -v8
	v_rndne_f32_e32 v17, v8
	v_fmac_f32_e32 v9, 0x32a5705f, v5
	v_sub_f32_e32 v8, v8, v17
	v_add_f32_e32 v8, v8, v9
	v_exp_f32_e32 v8, v8
	v_cvt_i32_f32_e32 v9, v17
	v_cmp_ngt_f32_e32 vcc, s61, v5
	v_add_f32_e32 v4, v63, v4
	v_ldexp_f32 v8, v8, v9
	v_cndmask_b32_e32 v8, 0, v8, vcc
	v_cmp_nlt_f32_e32 vcc, s63, v5
	v_mul_f32_e32 v5, 0x3fb8aa3b, v3
	v_rndne_f32_e32 v9, v5
	v_cndmask_b32_e32 v65, v121, v8, vcc
	v_fma_f32 v8, v3, s39, -v5
	v_fmac_f32_e32 v8, 0x32a5705f, v3
	v_sub_f32_e32 v5, v5, v9
	v_add_f32_e32 v5, v5, v8
	v_exp_f32_e32 v5, v5
	v_cvt_i32_f32_e32 v8, v9
	v_cmp_ngt_f32_e32 vcc, s61, v3
	v_add_f32_e32 v4, v65, v4
	v_ldexp_f32 v5, v5, v8
	v_cndmask_b32_e32 v5, 0, v5, vcc
	v_cmp_nlt_f32_e32 vcc, s63, v3
	s_nop 1
	v_cndmask_b32_e32 v91, v121, v5, vcc
	v_add_f32_e32 v3, v91, v4
	v_mul_f32_e32 v4, 0x3fb8aa3b, v2
	v_fma_f32 v5, v2, s39, -v4
	v_rndne_f32_e32 v8, v4
	v_fmac_f32_e32 v5, 0x32a5705f, v2
	v_sub_f32_e32 v4, v4, v8
	v_add_f32_e32 v4, v4, v5
	v_exp_f32_e32 v4, v4
	v_cvt_i32_f32_e32 v5, v8
	v_cmp_ngt_f32_e32 vcc, s61, v2
	v_ldexp_f32 v4, v4, v5
	s_nop 0
	v_cndmask_b32_e32 v4, 0, v4, vcc
	v_cmp_nlt_f32_e32 vcc, s63, v2
	v_sub_f32_e32 v2, v105, v12
	s_nop 0
	v_cndmask_b32_e32 v93, v121, v4, vcc
	v_add_f32_e32 v21, v93, v3
	v_mul_f32_e32 v3, 0x3fb8aa3b, v2
	v_fma_f32 v4, v2, s39, -v3
	v_rndne_f32_e32 v5, v3
	v_fmac_f32_e32 v4, 0x32a5705f, v2
	v_sub_f32_e32 v3, v3, v5
	v_add_f32_e32 v3, v3, v4
	v_exp_f32_e32 v3, v3
	v_cvt_i32_f32_e32 v4, v5
	v_cmp_ngt_f32_e32 vcc, s61, v2
	v_ldexp_f32 v3, v3, v4
	s_nop 0
	v_cndmask_b32_e32 v3, 0, v3, vcc
	v_cmp_nlt_f32_e32 vcc, s63, v2
	v_lshl_add_u64 v[4:5], v[38:39], 2, s[4:5]
	v_lshl_add_u64 v[54:55], v[4:5], 0, v[28:29]
	v_cndmask_b32_e32 v3, v121, v3, vcc
	v_cmp_le_f32_e32 vcc, s3, v2
	s_nop 1
	v_cndmask_b32_e32 v2, 0, v3, vcc
	v_fmac_f32_e32 v21, v108, v2
	v_cvt_f16_f32_e32 v2, v2
	v_mul_u32_u24_e32 v2, 0x10001, v2
	v_pk_mul_f16 v18, v66, v2
	v_pk_mul_f16 v17, v97, v2
	;; [unrolled: 1-line block ×8, first 2 shown]
	v_lshl_add_u64 v[2:3], v[36:37], 2, s[4:5]
	v_lshl_add_u64 v[2:3], v[2:3], 0, v[28:29]
	global_load_dwordx4 v[2:5], v[2:3], off
	v_add_u32_e32 v28, v79, v72
	s_waitcnt vmcnt(0)
	ds_write_b128 v74, v[2:5]
	global_load_dwordx4 v[2:5], v[54:55], off
	s_waitcnt vmcnt(0)
	ds_write_b128 v114, v[2:5]
	s_waitcnt lgkmcnt(0)
	s_barrier
	ds_read_u16 v1, v80 offset:144
	v_cvt_f32_f16_e32 v2, v18
	v_cvt_f32_f16_sdwa v3, v18 dst_sel:DWORD dst_unused:UNUSED_PAD src0_sel:WORD_1
	v_cvt_f32_f16_e32 v4, v17
	v_cvt_f32_f16_sdwa v5, v17 dst_sel:DWORD dst_unused:UNUSED_PAD src0_sel:WORD_1
	ds_read_u16 v17, v40
	ds_read_u16 v56, v40 offset:32
	ds_read_u16 v18, v28
	ds_read_u16 v57, v28 offset:32
	s_waitcnt lgkmcnt(1)
	v_perm_b32 v55, v18, v17, s2
	ds_read_u16 v17, v80
	ds_read_u16 v58, v80 offset:32
	v_cvt_pk_f16_f32 v18, v6, v7
	ds_read_u16 v6, v80 offset:2304
	ds_read_u16 v10, v80 offset:2448
	;; [unrolled: 1-line block ×4, first 2 shown]
	s_waitcnt lgkmcnt(5)
	v_perm_b32 v54, v1, v17, s2
	s_waitcnt lgkmcnt(2)
	v_perm_b32 v6, v10, v6, s2
	v_mfma_f32_16x16x16_f16 v[2:5], v[54:55], v[18:19], v[2:5]
	s_waitcnt lgkmcnt(0)
	v_perm_b32 v7, v14, v7, s2
	v_cvt_pk_f16_f32 v14, v11, v16
	v_cvt_pk_f16_f32 v17, v62, v64
	s_nop 3
	v_cvt_f16_f32_e32 v1, v2
	v_cvt_f16_f32_e32 v3, v3
	;; [unrolled: 1-line block ×4, first 2 shown]
	v_cvt_f32_f16_e32 v2, v1
	v_cvt_f32_f16_e32 v3, v3
	;; [unrolled: 1-line block ×4, first 2 shown]
	v_cvt_pk_f16_f32 v16, v23, v41
	v_perm_b32 v23, v57, v56, s2
	v_mfma_f32_16x16x16_f16 v[2:5], v[6:7], v[14:15], v[2:5]
	ds_read_u16 v6, v80 offset:4608
	ds_read_u16 v10, v80 offset:4752
	;; [unrolled: 1-line block ×4, first 2 shown]
	v_cvt_f32_f16_sdwa v55, v9 dst_sel:DWORD dst_unused:UNUSED_PAD src0_sel:WORD_1
	v_cvt_f32_f16_e32 v56, v8
	s_nop 1
	v_cvt_f16_f32_e32 v1, v2
	v_cvt_f16_f32_e32 v3, v3
	v_cvt_f16_f32_e32 v4, v4
	v_cvt_f16_f32_e32 v5, v5
	s_waitcnt lgkmcnt(0)
	v_perm_b32 v7, v11, v7, s2
	v_perm_b32 v6, v10, v6, s2
	v_cvt_f32_f16_e32 v2, v1
	v_cvt_f32_f16_e32 v3, v3
	;; [unrolled: 1-line block ×4, first 2 shown]
	v_cvt_f32_f16_sdwa v57, v8 dst_sel:DWORD dst_unused:UNUSED_PAD src0_sel:WORD_1
	s_nop 0
	v_mfma_f32_16x16x16_f16 v[2:5], v[6:7], v[16:17], v[2:5]
	ds_read_u16 v6, v80 offset:6912
	ds_read_u16 v10, v80 offset:7056
	;; [unrolled: 1-line block ×5, first 2 shown]
	s_nop 2
	v_cvt_f16_f32_e32 v1, v2
	v_cvt_f16_f32_e32 v3, v3
	;; [unrolled: 1-line block ×4, first 2 shown]
	s_waitcnt lgkmcnt(1)
	v_perm_b32 v7, v11, v7, s2
	v_perm_b32 v6, v10, v6, s2
	v_cvt_f32_f16_e32 v2, v1
	v_cvt_f32_f16_e32 v3, v3
	;; [unrolled: 1-line block ×4, first 2 shown]
	v_cvt_pk_f16_f32 v11, v91, v93
	v_cvt_pk_f16_f32 v10, v63, v65
	s_waitcnt lgkmcnt(0)
	v_perm_b32 v22, v22, v58, s2
	v_mfma_f32_16x16x16_f16 v[2:5], v[6:7], v[10:11], v[2:5]
	v_cvt_f32_f16_e32 v6, v66
	v_cvt_f32_f16_sdwa v7, v66 dst_sel:DWORD dst_unused:UNUSED_PAD src0_sel:WORD_1
	s_nop 5
	v_cvt_f16_f32_e32 v1, v4
	v_cvt_f16_f32_e32 v4, v5
	v_cvt_f32_f16_sdwa v5, v94 dst_sel:DWORD dst_unused:UNUSED_PAD src0_sel:WORD_1
	v_perm_b32 v1, v4, v1, s2
	v_cvt_f32_f16_e32 v4, v94
	s_nop 1
	v_mfma_f32_16x16x16_f16 v[4:7], v[22:23], v[18:19], v[4:7]
	ds_read_u16 v22, v80 offset:2336
	ds_read_u16 v41, v80 offset:2480
	ds_read_u16 v23, v40 offset:2336
	ds_read_u16 v54, v28 offset:2336
	s_nop 3
	v_cvt_f16_f32_e32 v4, v4
	v_cvt_f16_f32_e32 v5, v5
	v_cvt_f16_f32_e32 v6, v6
	v_cvt_f16_f32_e32 v7, v7
	s_waitcnt lgkmcnt(0)
	v_perm_b32 v23, v54, v23, s2
	v_perm_b32 v22, v41, v22, s2
	v_cvt_f32_f16_e32 v4, v4
	v_cvt_f32_f16_e32 v5, v5
	v_cvt_f32_f16_e32 v6, v6
	v_cvt_f32_f16_e32 v7, v7
	s_nop 1
	v_mfma_f32_16x16x16_f16 v[4:7], v[22:23], v[14:15], v[4:7]
	ds_read_u16 v22, v80 offset:4640
	ds_read_u16 v41, v80 offset:4784
	ds_read_u16 v23, v40 offset:4640
	ds_read_u16 v54, v28 offset:4640
	s_nop 3
	v_cvt_f16_f32_e32 v4, v4
	v_cvt_f16_f32_e32 v5, v5
	v_cvt_f16_f32_e32 v6, v6
	v_cvt_f16_f32_e32 v7, v7
	s_waitcnt lgkmcnt(0)
	v_perm_b32 v23, v54, v23, s2
	v_perm_b32 v22, v41, v22, s2
	v_cvt_f32_f16_e32 v4, v4
	v_cvt_f32_f16_e32 v5, v5
	v_cvt_f32_f16_e32 v6, v6
	;; [unrolled: 18-line block ×3, first 2 shown]
	v_cvt_f32_f16_e32 v7, v7
	v_cvt_f32_f16_e32 v54, v9
	s_nop 0
	v_mfma_f32_16x16x16_f16 v[4:7], v[22:23], v[10:11], v[4:7]
	s_nop 7
	v_cvt_f16_f32_e32 v6, v6
	v_cvt_f16_f32_e32 v7, v7
	v_perm_b32 v22, v7, v6, s2
	ds_read_u16 v6, v80 offset:64
	ds_read_u16 v23, v80 offset:208
	;; [unrolled: 1-line block ×4, first 2 shown]
	s_waitcnt lgkmcnt(2)
	v_perm_b32 v6, v23, v6, s2
	s_waitcnt lgkmcnt(0)
	v_perm_b32 v7, v41, v7, s2
	s_nop 1
	v_mfma_f32_16x16x16_f16 v[6:9], v[6:7], v[18:19], v[54:57]
	ds_read_u16 v23, v80 offset:2368
	ds_read_u16 v41, v80 offset:2512
	s_nop 0
	ds_read_u16 v54, v40 offset:2368
	ds_read_u16 v55, v28 offset:2368
	v_cvt_f32_f16_e32 v56, v24
	v_cvt_f32_f16_sdwa v57, v24 dst_sel:DWORD dst_unused:UNUSED_PAD src0_sel:WORD_1
	s_nop 0
	v_cvt_f16_f32_e32 v6, v6
	v_cvt_f16_f32_e32 v7, v7
	;; [unrolled: 1-line block ×4, first 2 shown]
	s_waitcnt lgkmcnt(0)
	v_perm_b32 v55, v55, v54, s2
	v_perm_b32 v54, v41, v23, s2
	v_cvt_f32_f16_e32 v6, v6
	v_cvt_f32_f16_e32 v7, v7
	;; [unrolled: 1-line block ×4, first 2 shown]
	s_nop 1
	v_mfma_f32_16x16x16_f16 v[6:9], v[54:55], v[14:15], v[6:9]
	ds_read_u16 v23, v80 offset:4672
	ds_read_u16 v41, v80 offset:4816
	;; [unrolled: 1-line block ×4, first 2 shown]
	s_nop 3
	v_cvt_f16_f32_e32 v6, v6
	v_cvt_f16_f32_e32 v7, v7
	;; [unrolled: 1-line block ×4, first 2 shown]
	s_waitcnt lgkmcnt(0)
	v_perm_b32 v55, v55, v54, s2
	v_perm_b32 v54, v41, v23, s2
	v_cvt_f32_f16_e32 v6, v6
	v_cvt_f32_f16_e32 v7, v7
	;; [unrolled: 1-line block ×4, first 2 shown]
	s_nop 1
	v_mfma_f32_16x16x16_f16 v[6:9], v[54:55], v[16:17], v[6:9]
	ds_read_u16 v23, v80 offset:6976
	ds_read_u16 v41, v80 offset:7120
	ds_read_u16 v54, v40 offset:6976
	ds_read_u16 v55, v28 offset:6976
	s_nop 3
	v_cvt_f16_f32_e32 v6, v6
	v_cvt_f16_f32_e32 v7, v7
	;; [unrolled: 1-line block ×4, first 2 shown]
	s_waitcnt lgkmcnt(0)
	v_perm_b32 v55, v55, v54, s2
	v_perm_b32 v54, v41, v23, s2
	v_cvt_f32_f16_e32 v6, v6
	v_cvt_f32_f16_e32 v7, v7
	;; [unrolled: 1-line block ×4, first 2 shown]
	s_nop 1
	v_mfma_f32_16x16x16_f16 v[6:9], v[54:55], v[10:11], v[6:9]
	v_cvt_f32_f16_e32 v54, v25
	v_cvt_f32_f16_sdwa v55, v25 dst_sel:DWORD dst_unused:UNUSED_PAD src0_sel:WORD_1
	s_nop 5
	v_cvt_f16_f32_e32 v8, v8
	v_cvt_f16_f32_e32 v9, v9
	v_perm_b32 v23, v9, v8, s2
	ds_read_u16 v8, v80 offset:96
	ds_read_u16 v41, v80 offset:240
	;; [unrolled: 1-line block ×4, first 2 shown]
	s_waitcnt lgkmcnt(2)
	v_perm_b32 v8, v41, v8, s2
	s_waitcnt lgkmcnt(0)
	v_perm_b32 v9, v58, v9, s2
	s_nop 1
	v_mfma_f32_16x16x16_f16 v[54:57], v[8:9], v[18:19], v[54:57]
	ds_read_u16 v8, v80 offset:2400
	ds_read_u16 v25, v80 offset:2544
	;; [unrolled: 1-line block ×4, first 2 shown]
	s_nop 3
	v_cvt_f16_f32_e32 v9, v54
	v_cvt_f16_f32_e32 v18, v55
	;; [unrolled: 1-line block ×4, first 2 shown]
	v_cvt_f32_f16_e32 v54, v9
	s_waitcnt lgkmcnt(0)
	v_perm_b32 v9, v58, v41, s2
	v_perm_b32 v8, v25, v8, s2
	v_cvt_f32_f16_e32 v55, v18
	v_cvt_f32_f16_e32 v56, v19
	;; [unrolled: 1-line block ×3, first 2 shown]
	ds_read_u16 v18, v80 offset:4704
	ds_read_u16 v19, v80 offset:4848
	ds_read_u16 v24, v40 offset:4704
	ds_read_u16 v25, v28 offset:4704
	v_mfma_f32_16x16x16_f16 v[54:57], v[8:9], v[14:15], v[54:57]
	s_nop 7
	v_cvt_f16_f32_e32 v8, v54
	v_cvt_f16_f32_e32 v9, v55
	;; [unrolled: 1-line block ×4, first 2 shown]
	v_cvt_f32_f16_e32 v54, v8
	v_cvt_f32_f16_e32 v55, v9
	s_waitcnt lgkmcnt(0)
	v_perm_b32 v9, v25, v24, s2
	v_perm_b32 v8, v19, v18, s2
	v_cvt_f32_f16_e32 v56, v14
	v_cvt_f32_f16_e32 v57, v15
	s_nop 1
	v_mfma_f32_16x16x16_f16 v[14:17], v[8:9], v[16:17], v[54:57]
	ds_read_u16 v8, v80 offset:7008
	ds_read_u16 v9, v80 offset:7152
	;; [unrolled: 1-line block ×4, first 2 shown]
	s_waitcnt lgkmcnt(0)
	s_barrier
	s_nop 1
	v_cvt_f16_f32_e32 v14, v14
	v_cvt_f16_f32_e32 v15, v15
	v_cvt_f16_f32_e32 v16, v16
	v_cvt_f16_f32_e32 v17, v17
	v_perm_b32 v19, v19, v18, s2
	v_perm_b32 v18, v9, v8, s2
	v_cvt_f32_f16_e32 v14, v14
	v_cvt_f32_f16_e32 v15, v15
	;; [unrolled: 1-line block ×4, first 2 shown]
	s_nop 1
	v_mfma_f32_16x16x16_f16 v[8:11], v[18:19], v[10:11], v[14:17]
	s_nop 7
	v_cvt_f16_f32_e32 v10, v10
	v_cvt_f16_f32_e32 v11, v11
	v_perm_b32 v10, v11, v10, s2
	ds_bpermute_b32 v11, v13, v21
	s_waitcnt lgkmcnt(0)
	v_add_f32_e32 v11, v21, v11
	ds_bpermute_b32 v13, v20, v11
	s_waitcnt lgkmcnt(0)
	v_add_f32_e32 v13, v11, v13
	s_cbranch_scc1 .LBB0_57
; %bb.56:                               ;   in Loop: Header=BB0_12 Depth=1
	v_cvt_pk_f16_f32 v3, v2, v3
	v_lshlrev_b32_e32 v2, 2, v42
	v_cvt_pk_f16_f32 v5, v4, v5
	global_load_dword v4, v2, s[70:71]
	v_cvt_pk_f16_f32 v6, v6, v7
	v_cvt_pk_f16_f32 v7, v8, v9
	v_max_f32_e32 v8, v12, v12
	s_waitcnt vmcnt(0)
	v_max_f32_e32 v2, v4, v4
	v_max_f32_e32 v2, v8, v2
	v_sub_f32_e32 v8, v12, v2
	v_mul_f32_e32 v9, 0x3fb8aa3b, v8
	v_fma_f32 v11, v8, s39, -v9
	v_rndne_f32_e32 v12, v9
	v_fmac_f32_e32 v11, 0x32a5705f, v8
	v_sub_f32_e32 v9, v9, v12
	v_add_f32_e32 v9, v9, v11
	v_exp_f32_e32 v9, v9
	v_cvt_i32_f32_e32 v11, v12
	v_cmp_ngt_f32_e32 vcc, s61, v8
	v_ldexp_f32 v9, v9, v11
	s_nop 0
	v_cndmask_b32_e32 v9, 0, v9, vcc
	v_cmp_nlt_f32_e32 vcc, s63, v8
	s_nop 1
	v_cndmask_b32_e32 v9, v121, v9, vcc
	v_cmp_le_f32_e32 vcc, s3, v8
	s_nop 1
	v_cndmask_b32_e32 v8, 0, v9, vcc
	v_sub_f32_e32 v9, v4, v2
	v_cvt_f16_f32_e32 v4, v8
	v_cmp_ngt_f32_e32 vcc, s61, v9
	v_mul_u32_u24_e32 v11, 0x10001, v4
	v_pk_mul_f16 v4, v3, v11
	v_mul_f32_e32 v3, 0x3fb8aa3b, v9
	v_pk_mul_f16 v1, v1, v11
	v_pk_mul_f16 v5, v5, v11
	;; [unrolled: 1-line block ×7, first 2 shown]
	v_fma_f32 v11, v9, s39, -v3
	v_rndne_f32_e32 v12, v3
	v_fmac_f32_e32 v11, 0x32a5705f, v9
	v_sub_f32_e32 v3, v3, v12
	v_add_f32_e32 v3, v3, v11
	v_exp_f32_e32 v3, v3
	v_cvt_i32_f32_e32 v11, v12
	v_ldexp_f32 v3, v3, v11
	v_cndmask_b32_e32 v3, 0, v3, vcc
	v_cmp_nlt_f32_e32 vcc, s63, v9
	s_nop 1
	v_cndmask_b32_e32 v3, v121, v3, vcc
	v_fmac_f32_e32 v3, v13, v8
	v_mov_b64_e32 v[12:13], v[2:3]
	s_branch .LBB0_58
.LBB0_57:                               ;   in Loop: Header=BB0_12 Depth=1
	v_cvt_f16_f32_e32 v2, v2
	v_cvt_f16_f32_e32 v3, v3
	v_cvt_f16_f32_e32 v11, v4
	v_cvt_f16_f32_e32 v5, v5
	v_cvt_f16_f32_e32 v6, v6
	v_cvt_f16_f32_e32 v7, v7
	v_cvt_f16_f32_e32 v8, v8
	v_cvt_f16_f32_e32 v9, v9
	v_perm_b32 v4, v3, v2, s2
	v_perm_b32 v5, v5, v11, s2
	;; [unrolled: 1-line block ×4, first 2 shown]
.LBB0_58:                               ;   in Loop: Header=BB0_12 Depth=1
	s_barrier
	s_mov_b64 s[4:5], exec
	v_readlane_b32 s6, v127, 18
	v_readlane_b32 s7, v127, 19
	s_and_b64 s[6:7], s[4:5], s[6:7]
	s_mov_b64 exec, s[6:7]
	s_cbranch_execz .LBB0_60
; %bb.59:                               ;   in Loop: Header=BB0_12 Depth=1
	scratch_load_dwordx2 v[2:3], off, off   ; 8-byte Folded Reload
	s_waitcnt vmcnt(0)
	global_store_dwordx2 v[2:3], v[12:13], off
.LBB0_60:                               ;   in Loop: Header=BB0_12 Depth=1
	s_or_b64 exec, exec, s[4:5]
	v_add_u32_e32 v2, v75, v90
	v_cmp_gt_i32_e64 s[4:5], s24, v104
	v_cmp_gt_i32_e64 s[6:7], s33, v51
	ds_write2_b32 v2, v4, v1 offset1:1
	ds_write2_b32 v2, v5, v22 offset0:8 offset1:9
	ds_write2_b32 v2, v6, v23 offset0:16 offset1:17
	;; [unrolled: 1-line block ×3, first 2 shown]
	v_cmp_le_i32_e32 vcc, s33, v51
	s_and_b64 s[6:7], s[4:5], s[6:7]
	v_mov_b32_e32 v1, 50
	s_waitcnt lgkmcnt(0)
	s_barrier
	s_and_saveexec_b64 s[4:5], s[6:7]
	s_cbranch_execz .LBB0_62
; %bb.61:                               ;   in Loop: Header=BB0_12 Depth=1
	v_add_u32_e32 v1, v31, v112
	ds_read_b32 v1, v1
	v_mad_u64_u32 v[2:3], s[6:7], v104, s25, v[48:49]
	v_lshl_or_b32 v2, v2, 5, v26
	v_ashrrev_i32_e32 v3, 31, v2
	s_waitcnt lgkmcnt(0)
	v_cvt_f32_f16_e32 v4, v1
	v_cvt_f32_f16_sdwa v5, v1 dst_sel:DWORD dst_unused:UNUSED_PAD src0_sel:WORD_1
	v_lshl_add_u64 v[2:3], v[2:3], 3, s[68:69]
	v_mov_b32_e32 v1, 0
	v_pk_add_f32 v[4:5], v[4:5], 0 op_sel_hi:[1,0]
	global_store_dwordx2 v[2:3], v[4:5], off
.LBB0_62:                               ;   in Loop: Header=BB0_12 Depth=1
	s_or_b64 exec, exec, s[4:5]
	v_cmp_gt_i32_e64 s[4:5], 50, v1
	s_mov_b64 s[82:83], -1
	s_and_saveexec_b64 s[6:7], s[4:5]
; %bb.63:                               ;   in Loop: Header=BB0_12 Depth=1
	v_cmp_eq_u32_e64 s[4:5], 0, v1
	s_orn2_b64 s[82:83], s[4:5], exec
; %bb.64:                               ;   in Loop: Header=BB0_12 Depth=1
	s_or_b64 exec, exec, s[6:7]
	s_mov_b64 s[78:79], 0
	s_mov_b64 s[6:7], 0
                                        ; implicit-def: $vgpr4_vgpr5
                                        ; implicit-def: $vgpr2
	s_and_saveexec_b64 s[80:81], s[82:83]
	s_cbranch_execz .LBB0_104
; %bb.65:                               ;   in Loop: Header=BB0_12 Depth=1
	v_cmp_gt_i32_e64 s[4:5], s24, v126
	s_xor_b64 s[82:83], vcc, -1
	s_and_b64 s[6:7], s[4:5], s[82:83]
	v_mov_b32_e32 v1, 50
	s_and_saveexec_b64 s[4:5], s[6:7]
	s_cbranch_execz .LBB0_67
; %bb.66:                               ;   in Loop: Header=BB0_12 Depth=1
	v_add_u32_e32 v1, v31, v112
	ds_read_b32 v1, v1 offset:1152
	v_mad_u64_u32 v[2:3], s[6:7], v126, s25, v[48:49]
	v_lshl_or_b32 v2, v2, 5, v26
	v_ashrrev_i32_e32 v3, 31, v2
	s_waitcnt lgkmcnt(0)
	v_cvt_f32_f16_e32 v4, v1
	v_cvt_f32_f16_sdwa v5, v1 dst_sel:DWORD dst_unused:UNUSED_PAD src0_sel:WORD_1
	v_lshl_add_u64 v[2:3], v[2:3], 3, s[68:69]
	v_mov_b32_e32 v1, 0
	v_pk_add_f32 v[4:5], v[4:5], 0 op_sel_hi:[1,0]
	global_store_dwordx2 v[2:3], v[4:5], off
.LBB0_67:                               ;   in Loop: Header=BB0_12 Depth=1
	s_or_b64 exec, exec, s[4:5]
	v_cmp_gt_i32_e32 vcc, 50, v1
	s_mov_b64 s[84:85], -1
	s_and_saveexec_b64 s[4:5], vcc
; %bb.68:                               ;   in Loop: Header=BB0_12 Depth=1
	v_cmp_eq_u32_e32 vcc, 0, v1
	s_orn2_b64 s[84:85], vcc, exec
; %bb.69:                               ;   in Loop: Header=BB0_12 Depth=1
	s_or_b64 exec, exec, s[4:5]
	s_mov_b64 s[6:7], 0
                                        ; implicit-def: $vgpr4_vgpr5
                                        ; implicit-def: $vgpr2
	s_and_saveexec_b64 s[4:5], s[84:85]
	s_cbranch_execz .LBB0_103
; %bb.70:                               ;   in Loop: Header=BB0_12 Depth=1
	v_cmp_gt_i32_e32 vcc, s24, v125
	s_and_b64 s[84:85], vcc, s[82:83]
	v_mov_b32_e32 v1, 50
	s_and_saveexec_b64 s[6:7], s[84:85]
	s_cbranch_execz .LBB0_72
; %bb.71:                               ;   in Loop: Header=BB0_12 Depth=1
	scratch_load_dword v1, off, off offset:56 ; 4-byte Folded Reload
	v_mad_u64_u32 v[2:3], s[84:85], v125, s25, v[48:49]
	v_lshl_or_b32 v2, v2, 5, v26
	v_ashrrev_i32_e32 v3, 31, v2
	v_lshl_add_u64 v[2:3], v[2:3], 3, s[68:69]
	s_waitcnt vmcnt(0)
	ds_read_b32 v1, v1
	s_waitcnt lgkmcnt(0)
	v_cvt_f32_f16_e32 v4, v1
	v_cvt_f32_f16_sdwa v5, v1 dst_sel:DWORD dst_unused:UNUSED_PAD src0_sel:WORD_1
	v_mov_b32_e32 v1, 0
	v_pk_add_f32 v[4:5], v[4:5], 0 op_sel_hi:[1,0]
	global_store_dwordx2 v[2:3], v[4:5], off
.LBB0_72:                               ;   in Loop: Header=BB0_12 Depth=1
	s_or_b64 exec, exec, s[6:7]
	v_cmp_gt_i32_e32 vcc, 50, v1
	s_mov_b64 s[86:87], -1
	s_and_saveexec_b64 s[6:7], vcc
; %bb.73:                               ;   in Loop: Header=BB0_12 Depth=1
	v_cmp_eq_u32_e32 vcc, 0, v1
	s_orn2_b64 s[86:87], vcc, exec
; %bb.74:                               ;   in Loop: Header=BB0_12 Depth=1
	s_or_b64 exec, exec, s[6:7]
	s_mov_b64 s[84:85], 0
                                        ; implicit-def: $vgpr4_vgpr5
                                        ; implicit-def: $vgpr2
	s_and_saveexec_b64 s[6:7], s[86:87]
	s_cbranch_execz .LBB0_102
; %bb.75:                               ;   in Loop: Header=BB0_12 Depth=1
	v_cmp_gt_i32_e32 vcc, s24, v124
	s_and_b64 s[86:87], vcc, s[82:83]
	v_mov_b32_e32 v1, 50
	s_and_saveexec_b64 s[84:85], s[86:87]
	s_cbranch_execz .LBB0_77
; %bb.76:                               ;   in Loop: Header=BB0_12 Depth=1
	v_add_u32_e32 v1, v31, v112
	ds_read_b32 v1, v1 offset:3456
	v_mad_u64_u32 v[2:3], s[86:87], v124, s25, v[48:49]
	v_lshl_or_b32 v2, v2, 5, v26
	v_ashrrev_i32_e32 v3, 31, v2
	s_waitcnt lgkmcnt(0)
	v_cvt_f32_f16_e32 v4, v1
	v_cvt_f32_f16_sdwa v5, v1 dst_sel:DWORD dst_unused:UNUSED_PAD src0_sel:WORD_1
	v_lshl_add_u64 v[2:3], v[2:3], 3, s[68:69]
	v_mov_b32_e32 v1, 0
	v_pk_add_f32 v[4:5], v[4:5], 0 op_sel_hi:[1,0]
	global_store_dwordx2 v[2:3], v[4:5], off
.LBB0_77:                               ;   in Loop: Header=BB0_12 Depth=1
	s_or_b64 exec, exec, s[84:85]
	v_cmp_gt_i32_e32 vcc, 50, v1
	s_mov_b64 s[88:89], -1
	s_and_saveexec_b64 s[84:85], vcc
; %bb.78:                               ;   in Loop: Header=BB0_12 Depth=1
	v_cmp_eq_u32_e32 vcc, 0, v1
	s_orn2_b64 s[88:89], vcc, exec
; %bb.79:                               ;   in Loop: Header=BB0_12 Depth=1
	s_or_b64 exec, exec, s[84:85]
	s_mov_b64 s[86:87], 0
                                        ; implicit-def: $vgpr4_vgpr5
                                        ; implicit-def: $vgpr2
	s_and_saveexec_b64 s[84:85], s[88:89]
	s_cbranch_execz .LBB0_101
; %bb.80:                               ;   in Loop: Header=BB0_12 Depth=1
	v_cmp_gt_i32_e32 vcc, s24, v123
	s_and_b64 s[88:89], vcc, s[82:83]
	v_mov_b32_e32 v1, 50
	s_and_saveexec_b64 s[86:87], s[88:89]
	s_cbranch_execz .LBB0_82
; %bb.81:                               ;   in Loop: Header=BB0_12 Depth=1
	scratch_load_dword v1, off, off offset:72 ; 4-byte Folded Reload
	v_mad_u64_u32 v[2:3], s[88:89], v123, s25, v[48:49]
	v_lshl_or_b32 v2, v2, 5, v26
	v_ashrrev_i32_e32 v3, 31, v2
	v_lshl_add_u64 v[2:3], v[2:3], 3, s[68:69]
	s_waitcnt vmcnt(0)
	ds_read_b32 v1, v1
	s_waitcnt lgkmcnt(0)
	v_cvt_f32_f16_e32 v4, v1
	v_cvt_f32_f16_sdwa v5, v1 dst_sel:DWORD dst_unused:UNUSED_PAD src0_sel:WORD_1
	v_mov_b32_e32 v1, 0
	v_pk_add_f32 v[4:5], v[4:5], 0 op_sel_hi:[1,0]
	global_store_dwordx2 v[2:3], v[4:5], off
.LBB0_82:                               ;   in Loop: Header=BB0_12 Depth=1
	s_or_b64 exec, exec, s[86:87]
	v_cmp_gt_i32_e32 vcc, 50, v1
	s_mov_b64 s[90:91], -1
	s_and_saveexec_b64 s[86:87], vcc
; %bb.83:                               ;   in Loop: Header=BB0_12 Depth=1
	v_cmp_eq_u32_e32 vcc, 0, v1
	s_orn2_b64 s[90:91], vcc, exec
; %bb.84:                               ;   in Loop: Header=BB0_12 Depth=1
	s_or_b64 exec, exec, s[86:87]
	s_mov_b64 s[88:89], 0
                                        ; implicit-def: $vgpr4_vgpr5
                                        ; implicit-def: $vgpr2
	s_and_saveexec_b64 s[86:87], s[90:91]
	s_cbranch_execz .LBB0_100
; %bb.85:                               ;   in Loop: Header=BB0_12 Depth=1
	v_cmp_gt_i32_e32 vcc, s24, v122
	s_and_b64 s[90:91], vcc, s[82:83]
	v_mov_b32_e32 v1, 50
	s_and_saveexec_b64 s[88:89], s[90:91]
	s_cbranch_execz .LBB0_87
; %bb.86:                               ;   in Loop: Header=BB0_12 Depth=1
	v_add_u32_e32 v1, v31, v112
	ds_read_b32 v1, v1 offset:5760
	v_mad_u64_u32 v[2:3], s[90:91], v122, s25, v[48:49]
	v_lshl_or_b32 v2, v2, 5, v26
	v_ashrrev_i32_e32 v3, 31, v2
	s_waitcnt lgkmcnt(0)
	v_cvt_f32_f16_e32 v4, v1
	v_cvt_f32_f16_sdwa v5, v1 dst_sel:DWORD dst_unused:UNUSED_PAD src0_sel:WORD_1
	v_lshl_add_u64 v[2:3], v[2:3], 3, s[68:69]
	v_mov_b32_e32 v1, 0
	v_pk_add_f32 v[4:5], v[4:5], 0 op_sel_hi:[1,0]
	global_store_dwordx2 v[2:3], v[4:5], off
.LBB0_87:                               ;   in Loop: Header=BB0_12 Depth=1
	s_or_b64 exec, exec, s[88:89]
	v_cmp_gt_i32_e32 vcc, 50, v1
	s_mov_b64 s[92:93], -1
	s_and_saveexec_b64 s[88:89], vcc
; %bb.88:                               ;   in Loop: Header=BB0_12 Depth=1
	v_cmp_eq_u32_e32 vcc, 0, v1
	s_orn2_b64 s[92:93], vcc, exec
; %bb.89:                               ;   in Loop: Header=BB0_12 Depth=1
	s_or_b64 exec, exec, s[88:89]
	s_mov_b64 s[90:91], 0
                                        ; implicit-def: $vgpr4_vgpr5
                                        ; implicit-def: $vgpr2
	s_and_saveexec_b64 s[88:89], s[92:93]
	s_cbranch_execz .LBB0_99
; %bb.90:                               ;   in Loop: Header=BB0_12 Depth=1
	v_cmp_gt_i32_e32 vcc, s24, v71
	s_and_b64 s[92:93], vcc, s[82:83]
	v_mov_b32_e32 v1, 50
	s_and_saveexec_b64 s[90:91], s[92:93]
	s_cbranch_execz .LBB0_92
; %bb.91:                               ;   in Loop: Header=BB0_12 Depth=1
	scratch_load_dword v1, off, off offset:88 ; 4-byte Folded Reload
	v_mad_u64_u32 v[2:3], s[92:93], v71, s25, v[48:49]
	v_lshl_or_b32 v2, v2, 5, v26
	v_ashrrev_i32_e32 v3, 31, v2
	v_lshl_add_u64 v[2:3], v[2:3], 3, s[68:69]
	s_waitcnt vmcnt(0)
	ds_read_b32 v1, v1
	s_waitcnt lgkmcnt(0)
	v_cvt_f32_f16_e32 v4, v1
	v_cvt_f32_f16_sdwa v5, v1 dst_sel:DWORD dst_unused:UNUSED_PAD src0_sel:WORD_1
	v_mov_b32_e32 v1, 0
	v_pk_add_f32 v[4:5], v[4:5], 0 op_sel_hi:[1,0]
	global_store_dwordx2 v[2:3], v[4:5], off
.LBB0_92:                               ;   in Loop: Header=BB0_12 Depth=1
	s_or_b64 exec, exec, s[90:91]
	v_cmp_gt_i32_e32 vcc, 50, v1
	s_mov_b64 s[94:95], -1
	s_and_saveexec_b64 s[90:91], vcc
; %bb.93:                               ;   in Loop: Header=BB0_12 Depth=1
	v_cmp_eq_u32_e32 vcc, 0, v1
	s_orn2_b64 s[94:95], vcc, exec
; %bb.94:                               ;   in Loop: Header=BB0_12 Depth=1
	s_or_b64 exec, exec, s[90:91]
	s_mov_b64 s[92:93], 0
                                        ; implicit-def: $vgpr4_vgpr5
                                        ; implicit-def: $vgpr2
	s_and_saveexec_b64 s[90:91], s[94:95]
	s_cbranch_execz .LBB0_98
; %bb.95:                               ;   in Loop: Header=BB0_12 Depth=1
	v_cmp_gt_i32_e32 vcc, s24, v70
	s_and_b64 s[92:93], vcc, s[82:83]
	s_mov_b64 s[82:83], 0
                                        ; implicit-def: $vgpr4_vgpr5
                                        ; implicit-def: $vgpr2
	s_and_saveexec_b64 s[94:95], s[92:93]
	s_xor_b64 s[92:93], exec, s[94:95]
	s_cbranch_execz .LBB0_97
; %bb.96:                               ;   in Loop: Header=BB0_12 Depth=1
	v_add_u32_e32 v1, v31, v112
	ds_read_b32 v1, v1 offset:8064
	v_mad_u64_u32 v[2:3], s[82:83], v70, s25, v[48:49]
	s_mov_b64 s[82:83], exec
	s_waitcnt lgkmcnt(0)
	v_cvt_f32_f16_e32 v4, v1
	v_cvt_f32_f16_sdwa v5, v1 dst_sel:DWORD dst_unused:UNUSED_PAD src0_sel:WORD_1
	v_pk_add_f32 v[4:5], v[4:5], 0 op_sel_hi:[1,0]
.LBB0_97:                               ;   in Loop: Header=BB0_12 Depth=1
	s_or_b64 exec, exec, s[92:93]
	s_and_b64 s[92:93], s[82:83], exec
.LBB0_98:                               ;   in Loop: Header=BB0_12 Depth=1
	s_or_b64 exec, exec, s[90:91]
	s_and_b64 s[90:91], s[92:93], exec
.LBB0_99:                               ;   in Loop: Header=BB0_12 Depth=1
	s_or_b64 exec, exec, s[88:89]
	s_and_b64 s[88:89], s[90:91], exec
.LBB0_100:                              ;   in Loop: Header=BB0_12 Depth=1
	s_or_b64 exec, exec, s[86:87]
	s_and_b64 s[86:87], s[88:89], exec
.LBB0_101:                              ;   in Loop: Header=BB0_12 Depth=1
	s_or_b64 exec, exec, s[84:85]
	s_and_b64 s[84:85], s[86:87], exec
.LBB0_102:                              ;   in Loop: Header=BB0_12 Depth=1
	s_or_b64 exec, exec, s[6:7]
	s_and_b64 s[6:7], s[84:85], exec
.LBB0_103:                              ;   in Loop: Header=BB0_12 Depth=1
	s_or_b64 exec, exec, s[4:5]
	s_and_b64 s[6:7], s[6:7], exec
.LBB0_104:                              ;   in Loop: Header=BB0_12 Depth=1
	s_or_b64 exec, exec, s[80:81]
	s_and_b64 vcc, exec, s[78:79]
	s_cbranch_vccz .LBB0_53
.LBB0_105:                              ;   in Loop: Header=BB0_12 Depth=1
	s_lshl_b32 s46, s46, 3
	v_add_u32_e32 v105, s46, v118
	v_cmp_gt_i32_e64 s[4:5], s24, v105
	v_cmp_gt_i32_e32 vcc, s33, v51
	s_and_b64 s[90:91], s[4:5], vcc
	s_xor_b64 s[4:5], s[90:91], -1
	s_and_saveexec_b64 s[78:79], s[4:5]
	s_xor_b64 s[4:5], exec, s[78:79]
; %bb.106:                              ;   in Loop: Header=BB0_12 Depth=1
	v_add_u32_e32 v1, v31, v112
	ds_write_b32 v1, v29
; %bb.107:                              ;   in Loop: Header=BB0_12 Depth=1
	s_andn2_saveexec_b64 s[4:5], s[4:5]
	s_cbranch_execz .LBB0_109
; %bb.108:                              ;   in Loop: Header=BB0_12 Depth=1
	v_mad_u64_u32 v[2:3], s[78:79], v105, s51, v[50:51]
	v_ashrrev_i32_e32 v3, 31, v2
	v_lshl_add_u64 v[2:3], v[2:3], 3, s[76:77]
	global_load_dwordx2 v[2:3], v[2:3], off
	s_waitcnt vmcnt(0)
	v_cvt_pk_f16_f32 v1, v2, v3
	v_pk_mul_f16 v1, v1, v111
	v_add_u32_e32 v2, v31, v112
	ds_write_b32 v2, v1
.LBB0_109:                              ;   in Loop: Header=BB0_12 Depth=1
	s_or_b64 exec, exec, s[4:5]
	v_add_u32_e32 v126, s46, v83
	v_cmp_gt_i32_e64 s[4:5], s24, v126
	s_and_b64 s[88:89], s[4:5], vcc
	s_xor_b64 s[4:5], s[88:89], -1
	s_and_saveexec_b64 s[78:79], s[4:5]
	s_xor_b64 s[4:5], exec, s[78:79]
; %bb.110:                              ;   in Loop: Header=BB0_12 Depth=1
	v_add_u32_e32 v1, v31, v112
	ds_write_b32 v1, v29 offset:1152
; %bb.111:                              ;   in Loop: Header=BB0_12 Depth=1
	s_andn2_saveexec_b64 s[4:5], s[4:5]
	s_cbranch_execz .LBB0_113
; %bb.112:                              ;   in Loop: Header=BB0_12 Depth=1
	v_mad_u64_u32 v[2:3], s[78:79], v126, s51, v[50:51]
	v_ashrrev_i32_e32 v3, 31, v2
	v_lshl_add_u64 v[2:3], v[2:3], 3, s[76:77]
	global_load_dwordx2 v[2:3], v[2:3], off
	s_waitcnt vmcnt(0)
	v_cvt_pk_f16_f32 v1, v2, v3
	v_pk_mul_f16 v1, v1, v111
	v_add_u32_e32 v2, v31, v112
	ds_write_b32 v2, v1 offset:1152
.LBB0_113:                              ;   in Loop: Header=BB0_12 Depth=1
	s_or_b64 exec, exec, s[4:5]
	v_add_u32_e32 v104, s46, v84
	v_cmp_gt_i32_e64 s[4:5], s24, v104
	s_and_b64 s[86:87], s[4:5], vcc
	s_xor_b64 s[4:5], s[86:87], -1
	s_and_saveexec_b64 s[78:79], s[4:5]
	s_xor_b64 s[4:5], exec, s[78:79]
; %bb.114:                              ;   in Loop: Header=BB0_12 Depth=1
	v_add_u32_e32 v1, v31, v112
	ds_write_b32 v1, v29 offset:2304
; %bb.115:                              ;   in Loop: Header=BB0_12 Depth=1
	s_andn2_saveexec_b64 s[4:5], s[4:5]
	s_cbranch_execz .LBB0_117
; %bb.116:                              ;   in Loop: Header=BB0_12 Depth=1
	v_mad_u64_u32 v[2:3], s[78:79], v104, s51, v[50:51]
	v_ashrrev_i32_e32 v3, 31, v2
	v_lshl_add_u64 v[2:3], v[2:3], 3, s[76:77]
	global_load_dwordx2 v[2:3], v[2:3], off
	s_waitcnt vmcnt(0)
	v_cvt_pk_f16_f32 v1, v2, v3
	v_pk_mul_f16 v1, v1, v111
	v_add_u32_e32 v2, v31, v112
	ds_write_b32 v2, v1 offset:2304
.LBB0_117:                              ;   in Loop: Header=BB0_12 Depth=1
	;; [unrolled: 24-line block ×7, first 2 shown]
	s_or_b64 exec, exec, s[92:93]
	s_waitcnt lgkmcnt(0)
	s_barrier
	ds_read2_b64 v[6:9], v43 offset1:4
	ds_read2_b64 v[2:5], v43 offset0:8 offset1:12
	s_cmp_gt_i32 s30, 1
	s_mov_b64 s[76:77], -1
	s_waitcnt lgkmcnt(0)
	s_barrier
                                        ; implicit-def: $vgpr100
                                        ; implicit-def: $vgpr103
                                        ; implicit-def: $vgpr120
                                        ; implicit-def: $vgpr108
	s_cbranch_scc1 .LBB0_139
; %bb.138:                              ;   in Loop: Header=BB0_12 Depth=1
	v_mbcnt_hi_u32_b32 v100, -1, v119
	v_and_b32_e32 v1, 64, v100
	v_add_u32_e32 v103, 64, v1
	v_xor_b32_e32 v120, 32, v100
	v_xor_b32_e32 v108, 16, v100
	s_mov_b64 s[76:77], 0
.LBB0_139:                              ;   in Loop: Header=BB0_12 Depth=1
	v_add_u32_e32 v1, s46, v27
	v_mul_hi_u32 v10, s40, v1
	v_add_u32_e32 v10, v1, v10
	v_lshrrev_b32_e32 v10, s41, v10
	v_mul_lo_u32 v10, v10, s24
	s_andn2_b64 vcc, exec, s[76:77]
	v_sub_u32_e32 v28, v1, v10
	s_cbranch_vccnz .LBB0_143
; %bb.140:                              ;   in Loop: Header=BB0_12 Depth=1
	scratch_load_dwordx2 v[12:13], off, off offset:8 ; 8-byte Folded Reload
	v_mov_b64_e32 v[10:11], s[74:75]
	v_readlane_b32 s74, v127, 27
	v_readlane_b32 s75, v127, 28
	s_add_i32 s30, s30, -1
	v_mad_i64_i32 v[10:11], s[74:75], s74, v28, v[10:11]
	s_add_u32 s74, s98, s99
	s_addc_u32 s75, s56, s38
	s_add_u32 s0, s0, s1
	s_addc_u32 s1, s47, s97
	v_mbcnt_hi_u32_b32 v100, -1, v119
	v_and_b32_e32 v1, 64, v100
	v_add_u32_e32 v103, 64, v1
	v_xor_b32_e32 v120, 32, v100
	v_cmp_lt_i32_e32 vcc, v120, v103
	v_xor_b32_e32 v108, 16, v100
	v_mov_b32_e32 v52, v47
	v_cndmask_b32_e32 v1, v100, v120, vcc
	v_cmp_lt_i32_e32 vcc, v108, v103
	v_lshlrev_b32_e32 v96, 2, v1
	v_mov_b32_e32 v47, v109
	v_cndmask_b32_e32 v1, v100, v108, vcc
	v_lshlrev_b32_e32 v99, 2, v1
	v_mov_b32_e32 v107, 0
	v_mov_b32_e32 v22, 0xfeffffff
	;; [unrolled: 1-line block ×10, first 2 shown]
	s_waitcnt vmcnt(0)
	v_lshl_add_u64 v[62:63], v[12:13], 0, v[10:11]
	scratch_load_dwordx2 v[10:11], off, off offset:20 ; 8-byte Folded Reload
	s_waitcnt vmcnt(0)
	v_lshl_add_u64 v[64:65], v[10:11], 0, s[74:75]
	scratch_load_dwordx2 v[10:11], off, off offset:28 ; 8-byte Folded Reload
	;; [unrolled: 3-line block ×4, first 2 shown]
	s_waitcnt vmcnt(0)
	v_lshl_add_u64 v[70:71], v[10:11], 0, s[0:1]
	s_mov_b32 s0, s30
.LBB0_141:                              ;   Parent Loop BB0_12 Depth=1
                                        ; =>  This Inner Loop Header: Depth=2
	global_load_dword v10, v[62:63], off
	s_nop 3
	v_lshl_add_u64 v[14:15], v[70:71], 0, v[44:45]
	v_add_u32_e32 v18, 0x800, v76
	v_mov_b32_e32 v109, v22
	v_mov_b32_e32 v41, v23
	v_add_u32_e32 v40, 0x1000, v76
	s_add_i32 s0, s0, -1
	s_mov_b64 s[46:47], 0x80
	v_lshl_add_u64 v[62:63], v[62:63], 0, s[46:47]
	v_lshl_add_u64 v[70:71], v[70:71], 0, s[66:67]
	s_cmp_lg_u32 s0, 0
	s_waitcnt vmcnt(0)
	ds_write_b32 v113, v10 offset:9216
	v_lshl_add_u64 v[10:11], v[68:69], 0, v[44:45]
	global_load_dwordx4 v[10:13], v[10:11], off
	v_lshl_add_u64 v[68:69], v[68:69], 0, s[66:67]
	s_waitcnt vmcnt(0)
	ds_write_b128 v74, v[10:13]
	global_load_dwordx4 v[10:13], v[14:15], off
	s_waitcnt vmcnt(0)
	ds_write_b128 v114, v[10:13]
	s_waitcnt lgkmcnt(0)
	s_barrier
	ds_read2_b64 v[10:13], v76 offset1:4
	s_waitcnt lgkmcnt(0)
	v_mfma_f32_16x16x16_f16 v[14:17], v[10:11], v[6:7], 0
	v_mfma_f32_16x16x16_f16 v[10:13], v[12:13], v[8:9], v[14:17]
	s_nop 6
	ds_read2_b64 v[14:17], v76 offset0:8 offset1:12
	s_waitcnt lgkmcnt(0)
	v_mfma_f32_16x16x16_f16 v[10:13], v[14:15], v[2:3], v[10:13]
	v_mfma_f32_16x16x16_f16 v[22:25], v[16:17], v[4:5], v[10:13]
	s_nop 6
	ds_read2_b64 v[10:13], v18 offset0:32 offset1:36
	;; [unrolled: 5-line block ×5, first 2 shown]
	s_waitcnt lgkmcnt(0)
	v_mfma_f32_16x16x16_f16 v[10:13], v[14:15], v[2:3], v[10:13]
	v_add_u32_e32 v40, 0x1800, v76
	v_mfma_f32_16x16x16_f16 v[14:17], v[16:17], v[4:5], v[10:13]
	s_nop 5
	ds_read2_b64 v[10:13], v40 offset0:96 offset1:100
	s_waitcnt lgkmcnt(0)
	v_mfma_f32_16x16x16_f16 v[54:57], v[10:11], v[6:7], 0
	v_mfma_f32_16x16x16_f16 v[10:13], v[12:13], v[8:9], v[54:57]
	s_nop 6
	ds_read2_b64 v[54:57], v40 offset0:104 offset1:108
	s_waitcnt lgkmcnt(0)
	s_barrier
	ds_read_b32 v40, v77 offset:9216
	v_mfma_f32_16x16x16_f16 v[10:13], v[54:55], v[2:3], v[10:13]
	s_waitcnt lgkmcnt(0)
	v_cvt_f32_f16_e32 v54, v40
	v_cvt_f32_f16_sdwa v40, v40 dst_sel:DWORD dst_unused:UNUSED_PAD src0_sel:WORD_1
	v_add_f32_e32 v54, v22, v54
	ds_read_b32 v22, v78 offset:9216
	v_add_f32_e32 v40, v23, v40
	v_mfma_f32_16x16x16_f16 v[10:13], v[56:57], v[4:5], v[10:13]
	s_waitcnt lgkmcnt(0)
	v_cvt_f32_f16_e32 v23, v22
	v_cvt_f32_f16_sdwa v22, v22 dst_sel:DWORD dst_unused:UNUSED_PAD src0_sel:WORD_1
	v_add_f32_e32 v24, v24, v23
	v_add_f32_e32 v25, v25, v22
	v_add_u32_e32 v22, 0x2400, v115
	ds_read2_b32 v[22:23], v22 offset1:1
	s_waitcnt lgkmcnt(0)
	v_cvt_f32_f16_e32 v55, v22
	v_cvt_f32_f16_sdwa v22, v22 dst_sel:DWORD dst_unused:UNUSED_PAD src0_sel:WORD_1
	v_add_f32_e32 v55, v18, v55
	v_cvt_f32_f16_e32 v18, v23
	v_add_f32_e32 v56, v19, v22
	v_cvt_f32_f16_sdwa v19, v23 dst_sel:DWORD dst_unused:UNUSED_PAD src0_sel:WORD_1
	v_add_f32_e32 v20, v20, v18
	v_add_u32_e32 v18, 0x2400, v116
	v_add_f32_e32 v21, v21, v19
	ds_read2_b32 v[18:19], v18 offset1:1
	s_waitcnt lgkmcnt(0)
	v_cvt_f32_f16_e32 v22, v18
	v_cvt_f32_f16_sdwa v18, v18 dst_sel:DWORD dst_unused:UNUSED_PAD src0_sel:WORD_1
	v_add_f32_e32 v23, v14, v22
	v_cvt_f32_f16_e32 v14, v19
	v_add_f32_e32 v57, v15, v18
	v_cvt_f32_f16_sdwa v15, v19 dst_sel:DWORD dst_unused:UNUSED_PAD src0_sel:WORD_1
	v_add_f32_e32 v58, v16, v14
	v_add_u32_e32 v14, 0x2400, v117
	v_add_f32_e32 v59, v17, v15
	ds_read2_b32 v[14:15], v14 offset1:1
	s_waitcnt lgkmcnt(0)
	v_cvt_f32_f16_e32 v16, v14
	v_cvt_f32_f16_sdwa v14, v14 dst_sel:DWORD dst_unused:UNUSED_PAD src0_sel:WORD_1
	v_add_f32_e32 v60, v10, v16
	v_add_f32_e32 v61, v11, v14
	v_cvt_f32_f16_e32 v10, v15
	v_cvt_f32_f16_sdwa v11, v15 dst_sel:DWORD dst_unused:UNUSED_PAD src0_sel:WORD_1
	v_add_f32_e32 v91, v12, v10
	v_add_f32_e32 v15, v13, v11
	;; [unrolled: 1-line block ×4, first 2 shown]
	v_max3_f32 v10, v109, v10, v11
	v_add_f32_e32 v11, 0x40051340, v24
	v_add_f32_e32 v12, 0x40051340, v25
	v_max3_f32 v10, v10, v11, v12
	v_add_f32_e32 v11, 0x40051340, v55
	v_add_f32_e32 v12, 0x40051340, v56
	;; [unrolled: 3-line block ×7, first 2 shown]
	v_max3_f32 v10, v10, v11, v12
	ds_bpermute_b32 v11, v96, v10
	s_waitcnt lgkmcnt(0)
	v_max_f32_e32 v11, v11, v11
	v_max_f32_e32 v10, v10, v11
	ds_bpermute_b32 v11, v99, v10
	s_waitcnt lgkmcnt(0)
	v_max_f32_e32 v11, v11, v11
	v_max_f32_e32 v22, v10, v11
	v_sub_f32_e32 v10, v54, v22
	v_mul_f32_e32 v11, 0x3fb8aa3b, v10
	v_fma_f32 v12, v10, s39, -v11
	v_rndne_f32_e32 v13, v11
	v_fmac_f32_e32 v12, 0x32a5705f, v10
	v_sub_f32_e32 v11, v11, v13
	v_add_f32_e32 v11, v11, v12
	v_exp_f32_e32 v11, v11
	v_cvt_i32_f32_e32 v12, v13
	v_cmp_ngt_f32_e32 vcc, s61, v10
	v_sub_f32_e32 v15, v15, v22
	v_ldexp_f32 v11, v11, v12
	v_cndmask_b32_e32 v11, 0, v11, vcc
	v_cmp_nlt_f32_e32 vcc, s63, v10
	s_nop 1
	v_cndmask_b32_e32 v10, v121, v11, vcc
	v_sub_f32_e32 v11, v40, v22
	v_mul_f32_e32 v12, 0x3fb8aa3b, v11
	v_fma_f32 v13, v11, s39, -v12
	v_rndne_f32_e32 v14, v12
	v_fmac_f32_e32 v13, 0x32a5705f, v11
	v_sub_f32_e32 v12, v12, v14
	v_add_f32_e32 v12, v12, v13
	v_exp_f32_e32 v12, v12
	v_cvt_i32_f32_e32 v13, v14
	v_cmp_ngt_f32_e32 vcc, s61, v11
	v_ldexp_f32 v12, v12, v13
	s_nop 0
	v_cndmask_b32_e32 v12, 0, v12, vcc
	v_cmp_nlt_f32_e32 vcc, s63, v11
	s_nop 1
	v_cndmask_b32_e32 v11, v121, v12, vcc
	v_sub_f32_e32 v12, v24, v22
	v_mul_f32_e32 v14, 0x3fb8aa3b, v12
	v_fma_f32 v16, v12, s39, -v14
	v_rndne_f32_e32 v17, v14
	v_fmac_f32_e32 v16, 0x32a5705f, v12
	v_sub_f32_e32 v14, v14, v17
	v_add_f32_e32 v14, v14, v16
	v_exp_f32_e32 v14, v14
	v_cvt_i32_f32_e32 v16, v17
	v_cmp_ngt_f32_e32 vcc, s61, v12
	v_add_f32_e32 v13, v10, v11
	v_ldexp_f32 v14, v14, v16
	v_cndmask_b32_e32 v14, 0, v14, vcc
	v_cmp_nlt_f32_e32 vcc, s63, v12
	s_nop 1
	v_cndmask_b32_e32 v12, v121, v14, vcc
	v_sub_f32_e32 v14, v25, v22
	v_mul_f32_e32 v16, 0x3fb8aa3b, v14
	v_fma_f32 v17, v14, s39, -v16
	v_rndne_f32_e32 v18, v16
	v_fmac_f32_e32 v17, 0x32a5705f, v14
	v_sub_f32_e32 v16, v16, v18
	v_add_f32_e32 v16, v16, v17
	v_exp_f32_e32 v16, v16
	v_cvt_i32_f32_e32 v17, v18
	v_cmp_ngt_f32_e32 vcc, s61, v14
	v_add_f32_e32 v13, v12, v13
	v_ldexp_f32 v16, v16, v17
	v_cndmask_b32_e32 v16, 0, v16, vcc
	v_cmp_nlt_f32_e32 vcc, s63, v14
	s_nop 1
	v_cndmask_b32_e32 v14, v121, v16, vcc
	v_add_f32_e32 v16, v14, v13
	v_sub_f32_e32 v13, v55, v22
	v_mul_f32_e32 v17, 0x3fb8aa3b, v13
	v_fma_f32 v18, v13, s39, -v17
	v_rndne_f32_e32 v19, v17
	v_fmac_f32_e32 v18, 0x32a5705f, v13
	v_sub_f32_e32 v17, v17, v19
	v_add_f32_e32 v17, v17, v18
	v_exp_f32_e32 v17, v17
	v_cvt_i32_f32_e32 v18, v19
	v_cmp_ngt_f32_e32 vcc, s61, v13
	v_ldexp_f32 v17, v17, v18
	s_nop 0
	v_cndmask_b32_e32 v17, 0, v17, vcc
	v_cmp_nlt_f32_e32 vcc, s63, v13
	s_nop 1
	v_cndmask_b32_e32 v13, v121, v17, vcc
	v_add_f32_e32 v17, v13, v16
	v_sub_f32_e32 v16, v56, v22
	v_mul_f32_e32 v18, 0x3fb8aa3b, v16
	v_fma_f32 v19, v16, s39, -v18
	v_rndne_f32_e32 v24, v18
	v_fmac_f32_e32 v19, 0x32a5705f, v16
	v_sub_f32_e32 v18, v18, v24
	v_add_f32_e32 v18, v18, v19
	v_exp_f32_e32 v18, v18
	v_cvt_i32_f32_e32 v19, v24
	v_cmp_ngt_f32_e32 vcc, s61, v16
	v_ldexp_f32 v18, v18, v19
	s_nop 0
	v_cndmask_b32_e32 v18, 0, v18, vcc
	v_cmp_nlt_f32_e32 vcc, s63, v16
	s_nop 1
	v_cndmask_b32_e32 v16, v121, v18, vcc
	v_add_f32_e32 v18, v16, v17
	v_sub_f32_e32 v17, v20, v22
	v_mul_f32_e32 v19, 0x3fb8aa3b, v17
	v_fma_f32 v20, v17, s39, -v19
	v_rndne_f32_e32 v24, v19
	v_fmac_f32_e32 v20, 0x32a5705f, v17
	v_sub_f32_e32 v19, v19, v24
	v_add_f32_e32 v19, v19, v20
	v_exp_f32_e32 v19, v19
	v_cvt_i32_f32_e32 v20, v24
	v_cmp_ngt_f32_e32 vcc, s61, v17
	v_cvt_pk_f16_f32 v16, v13, v16
	v_ldexp_f32 v19, v19, v20
	v_cndmask_b32_e32 v19, 0, v19, vcc
	v_cmp_nlt_f32_e32 vcc, s63, v17
	s_nop 1
	v_cndmask_b32_e32 v17, v121, v19, vcc
	v_sub_f32_e32 v19, v21, v22
	v_mul_f32_e32 v20, 0x3fb8aa3b, v19
	v_fma_f32 v21, v19, s39, -v20
	v_rndne_f32_e32 v24, v20
	v_fmac_f32_e32 v21, 0x32a5705f, v19
	v_sub_f32_e32 v20, v20, v24
	v_add_f32_e32 v20, v20, v21
	v_exp_f32_e32 v20, v20
	v_cvt_i32_f32_e32 v21, v24
	v_cmp_ngt_f32_e32 vcc, s61, v19
	v_add_f32_e32 v18, v17, v18
	v_ldexp_f32 v20, v20, v21
	v_cndmask_b32_e32 v20, 0, v20, vcc
	v_cmp_nlt_f32_e32 vcc, s63, v19
	s_nop 1
	v_cndmask_b32_e32 v19, v121, v20, vcc
	v_add_f32_e32 v20, v19, v18
	v_sub_f32_e32 v18, v23, v22
	v_mul_f32_e32 v21, 0x3fb8aa3b, v18
	v_fma_f32 v23, v18, s39, -v21
	v_rndne_f32_e32 v24, v21
	v_fmac_f32_e32 v23, 0x32a5705f, v18
	v_sub_f32_e32 v21, v21, v24
	v_add_f32_e32 v21, v21, v23
	v_exp_f32_e32 v21, v21
	v_cvt_i32_f32_e32 v23, v24
	v_cmp_ngt_f32_e32 vcc, s61, v18
	v_cvt_pk_f16_f32 v17, v17, v19
	v_ldexp_f32 v21, v21, v23
	v_cndmask_b32_e32 v21, 0, v21, vcc
	v_cmp_nlt_f32_e32 vcc, s63, v18
	s_nop 1
	v_cndmask_b32_e32 v18, v121, v21, vcc
	v_add_f32_e32 v21, v18, v20
	v_sub_f32_e32 v20, v57, v22
	v_mul_f32_e32 v23, 0x3fb8aa3b, v20
	v_fma_f32 v24, v20, s39, -v23
	v_rndne_f32_e32 v25, v23
	v_fmac_f32_e32 v24, 0x32a5705f, v20
	v_sub_f32_e32 v23, v23, v25
	v_add_f32_e32 v23, v23, v24
	v_exp_f32_e32 v23, v23
	v_cvt_i32_f32_e32 v24, v25
	v_cmp_ngt_f32_e32 vcc, s61, v20
	v_ldexp_f32 v23, v23, v24
	s_nop 0
	v_cndmask_b32_e32 v23, 0, v23, vcc
	v_cmp_nlt_f32_e32 vcc, s63, v20
	s_nop 1
	v_cndmask_b32_e32 v20, v121, v23, vcc
	v_add_f32_e32 v23, v20, v21
	v_sub_f32_e32 v21, v58, v22
	v_mul_f32_e32 v24, 0x3fb8aa3b, v21
	v_fma_f32 v25, v21, s39, -v24
	v_rndne_f32_e32 v40, v24
	v_fmac_f32_e32 v25, 0x32a5705f, v21
	v_sub_f32_e32 v24, v24, v40
	v_add_f32_e32 v24, v24, v25
	v_exp_f32_e32 v24, v24
	v_cvt_i32_f32_e32 v25, v40
	v_cmp_ngt_f32_e32 vcc, s61, v21
	v_cvt_pk_f16_f32 v18, v18, v20
	v_ldexp_f32 v24, v24, v25
	v_cndmask_b32_e32 v24, 0, v24, vcc
	v_cmp_nlt_f32_e32 vcc, s63, v21
	s_nop 1
	v_cndmask_b32_e32 v21, v121, v24, vcc
	v_sub_f32_e32 v24, v59, v22
	v_mul_f32_e32 v25, 0x3fb8aa3b, v24
	v_fma_f32 v40, v24, s39, -v25
	v_rndne_f32_e32 v54, v25
	v_fmac_f32_e32 v40, 0x32a5705f, v24
	v_sub_f32_e32 v25, v25, v54
	v_add_f32_e32 v25, v25, v40
	v_exp_f32_e32 v25, v25
	v_cvt_i32_f32_e32 v40, v54
	v_cmp_ngt_f32_e32 vcc, s61, v24
	v_add_f32_e32 v23, v21, v23
	v_lshl_add_u64 v[58:59], v[66:67], 0, v[44:45]
	v_ldexp_f32 v25, v25, v40
	v_cndmask_b32_e32 v25, 0, v25, vcc
	v_cmp_nlt_f32_e32 vcc, s63, v24
	v_sub_f32_e32 v24, v60, v22
	v_lshl_add_u64 v[66:67], v[66:67], 0, s[64:65]
	v_cndmask_b32_e32 v94, v121, v25, vcc
	v_mul_f32_e32 v25, 0x3fb8aa3b, v24
	v_fma_f32 v40, v24, s39, -v25
	v_rndne_f32_e32 v54, v25
	v_fmac_f32_e32 v40, 0x32a5705f, v24
	v_sub_f32_e32 v25, v25, v54
	v_add_f32_e32 v25, v25, v40
	v_exp_f32_e32 v25, v25
	v_cvt_i32_f32_e32 v40, v54
	v_cmp_ngt_f32_e32 vcc, s61, v24
	v_add_f32_e32 v23, v94, v23
	v_ldexp_f32 v25, v25, v40
	v_cndmask_b32_e32 v25, 0, v25, vcc
	v_cmp_nlt_f32_e32 vcc, s63, v24
	v_sub_f32_e32 v24, v61, v22
	v_mul_f32_e32 v40, 0x3fb8aa3b, v24
	v_fma_f32 v54, v24, s39, -v40
	v_rndne_f32_e32 v55, v40
	v_fmac_f32_e32 v54, 0x32a5705f, v24
	v_sub_f32_e32 v40, v40, v55
	v_add_f32_e32 v40, v40, v54
	v_exp_f32_e32 v40, v40
	v_cvt_i32_f32_e32 v54, v55
	v_cndmask_b32_e32 v25, v121, v25, vcc
	v_cmp_ngt_f32_e32 vcc, s61, v24
	v_add_f32_e32 v23, v25, v23
	v_ldexp_f32 v40, v40, v54
	v_cndmask_b32_e32 v40, 0, v40, vcc
	v_cmp_nlt_f32_e32 vcc, s63, v24
	v_sub_f32_e32 v24, v91, v22
	s_nop 0
	v_cndmask_b32_e32 v93, v121, v40, vcc
	v_mul_f32_e32 v40, 0x3fb8aa3b, v24
	v_fma_f32 v54, v24, s39, -v40
	v_rndne_f32_e32 v55, v40
	v_fmac_f32_e32 v54, 0x32a5705f, v24
	v_sub_f32_e32 v40, v40, v55
	v_add_f32_e32 v40, v40, v54
	v_exp_f32_e32 v40, v40
	v_cvt_i32_f32_e32 v54, v55
	v_cmp_ngt_f32_e32 vcc, s61, v24
	v_add_f32_e32 v23, v93, v23
	v_ldexp_f32 v40, v40, v54
	v_cndmask_b32_e32 v40, 0, v40, vcc
	v_cmp_nlt_f32_e32 vcc, s63, v24
	v_mul_f32_e32 v24, 0x3fb8aa3b, v15
	v_rndne_f32_e32 v54, v24
	v_cndmask_b32_e32 v91, v121, v40, vcc
	v_fma_f32 v40, v15, s39, -v24
	v_fmac_f32_e32 v40, 0x32a5705f, v15
	v_sub_f32_e32 v24, v24, v54
	v_add_f32_e32 v24, v24, v40
	v_exp_f32_e32 v24, v24
	v_cvt_i32_f32_e32 v40, v54
	v_cmp_ngt_f32_e32 vcc, s61, v15
	v_add_f32_e32 v23, v91, v23
	v_ldexp_f32 v24, v24, v40
	v_cndmask_b32_e32 v24, 0, v24, vcc
	v_cmp_nlt_f32_e32 vcc, s63, v15
	v_sub_f32_e32 v15, v109, v22
	s_nop 0
	v_cndmask_b32_e32 v40, v121, v24, vcc
	v_mul_f32_e32 v24, 0x3fb8aa3b, v15
	v_fma_f32 v54, v15, s39, -v24
	v_rndne_f32_e32 v55, v24
	v_fmac_f32_e32 v54, 0x32a5705f, v15
	v_sub_f32_e32 v24, v24, v55
	v_add_f32_e32 v24, v24, v54
	v_exp_f32_e32 v24, v24
	v_cvt_i32_f32_e32 v54, v55
	v_cmp_ngt_f32_e32 vcc, s61, v15
	v_add_f32_e32 v23, v40, v23
	v_ldexp_f32 v24, v24, v54
	v_cndmask_b32_e32 v24, 0, v24, vcc
	v_cmp_nlt_f32_e32 vcc, s63, v15
	s_nop 1
	v_cndmask_b32_e32 v24, v121, v24, vcc
	v_cmp_le_f32_e32 vcc, s3, v15
	s_nop 1
	v_cndmask_b32_e32 v15, 0, v24, vcc
	v_fmac_f32_e32 v23, v41, v15
	v_cvt_f16_f32_e32 v15, v15
	v_mul_u32_u24_e32 v54, 0x10001, v15
	v_pk_mul_f16 v107, v107, v54
	v_pk_mul_f16 v15, v1, v54
	;; [unrolled: 1-line block ×8, first 2 shown]
	v_lshl_add_u64 v[54:55], v[64:65], 0, v[44:45]
	global_load_dwordx4 v[54:57], v[54:55], off
	v_lshl_add_u64 v[64:65], v[64:65], 0, s[64:65]
	s_waitcnt vmcnt(0)
	ds_write_b128 v74, v[54:57]
	global_load_dwordx4 v[54:57], v[58:59], off
	s_waitcnt vmcnt(0)
	ds_write_b128 v114, v[54:57]
	s_waitcnt lgkmcnt(0)
	s_barrier
	ds_read_u16 v58, v80 offset:144
	v_cvt_f32_f16_e32 v56, v15
	v_cvt_f32_f16_sdwa v57, v15 dst_sel:DWORD dst_unused:UNUSED_PAD src0_sel:WORD_1
	ds_read_u16 v15, v81
	ds_read_u16 v60, v81 offset:32
	ds_read_u16 v59, v82
	ds_read_u16 v61, v82 offset:32
	v_cvt_f32_f16_e32 v54, v107
	v_cvt_f32_f16_sdwa v55, v107 dst_sel:DWORD dst_unused:UNUSED_PAD src0_sel:WORD_1
	s_waitcnt lgkmcnt(1)
	v_perm_b32 v59, v59, v15, s2
	ds_read_u16 v15, v80
	ds_read_u16 v97, v80 offset:32
	s_waitcnt lgkmcnt(1)
	v_perm_b32 v58, v58, v15, s2
	v_cvt_pk_f16_f32 v15, v12, v14
	v_cvt_pk_f16_f32 v14, v10, v11
	s_nop 1
	v_mfma_f32_16x16x16_f16 v[54:57], v[58:59], v[14:15], v[54:57]
	ds_read_u16 v58, v80 offset:2304
	ds_read_u16 v59, v80 offset:2448
	;; [unrolled: 1-line block ×4, first 2 shown]
	s_nop 3
	v_cvt_f16_f32_e32 v10, v54
	v_cvt_f16_f32_e32 v11, v55
	;; [unrolled: 1-line block ×4, first 2 shown]
	v_cvt_f32_f16_e32 v54, v10
	v_cvt_f32_f16_e32 v55, v11
	s_waitcnt lgkmcnt(0)
	v_perm_b32 v11, v102, v98, s2
	v_perm_b32 v10, v59, v58, s2
	v_cvt_f32_f16_e32 v56, v12
	v_cvt_f32_f16_e32 v57, v57
	s_nop 1
	v_mfma_f32_16x16x16_f16 v[10:13], v[10:11], v[16:17], v[54:57]
	ds_read_u16 v19, v80 offset:4608
	s_nop 1
	ds_read_u16 v54, v80 offset:4752
	ds_read_u16 v55, v81 offset:4608
	;; [unrolled: 1-line block ×3, first 2 shown]
	v_cvt_f32_f16_sdwa v57, v41 dst_sel:DWORD dst_unused:UNUSED_PAD src0_sel:WORD_1
	s_nop 0
	v_cvt_f16_f32_e32 v10, v10
	v_cvt_f16_f32_e32 v11, v11
	;; [unrolled: 1-line block ×4, first 2 shown]
	s_waitcnt lgkmcnt(0)
	v_perm_b32 v55, v56, v55, s2
	v_perm_b32 v54, v54, v19, s2
	v_cvt_f32_f16_e32 v10, v10
	v_cvt_f32_f16_e32 v11, v11
	;; [unrolled: 1-line block ×4, first 2 shown]
	v_cvt_pk_f16_f32 v19, v21, v94
	v_cvt_f32_f16_e32 v56, v41
	v_perm_b32 v41, v61, v60, s2
	v_mfma_f32_16x16x16_f16 v[10:13], v[54:55], v[18:19], v[10:13]
	ds_read_u16 v20, v80 offset:6912
	ds_read_u16 v21, v80 offset:7056
	ds_read_u16 v54, v81 offset:6912
	ds_read_u16 v55, v82 offset:6912
	s_waitcnt lgkmcnt(0)
	v_perm_b32 v55, v55, v54, s2
	s_nop 1
	v_cvt_f16_f32_e32 v10, v10
	v_cvt_f16_f32_e32 v11, v11
	;; [unrolled: 1-line block ×4, first 2 shown]
	v_perm_b32 v54, v21, v20, s2
	v_cvt_pk_f16_f32 v20, v25, v93
	ds_read_u16 v25, v80 offset:176
	v_cvt_f32_f16_e32 v10, v10
	v_cvt_f32_f16_e32 v11, v11
	;; [unrolled: 1-line block ×4, first 2 shown]
	v_cvt_pk_f16_f32 v21, v91, v40
	s_waitcnt lgkmcnt(0)
	v_perm_b32 v40, v25, v97, s2
	ds_read_u16 v58, v80 offset:2336
	ds_read_u16 v59, v80 offset:2480
	;; [unrolled: 1-line block ×4, first 2 shown]
	v_mfma_f32_16x16x16_f16 v[10:13], v[54:55], v[20:21], v[10:13]
	v_cvt_f32_f16_e32 v54, v106
	v_cvt_f32_f16_sdwa v55, v106 dst_sel:DWORD dst_unused:UNUSED_PAD src0_sel:WORD_1
	s_nop 1
	v_mfma_f32_16x16x16_f16 v[54:57], v[40:41], v[14:15], v[54:57]
	s_nop 2
	v_cvt_pk_f16_f32 v107, v10, v11
	s_nop 3
	v_cvt_f16_f32_e32 v40, v55
	v_cvt_f16_f32_e32 v41, v56
	;; [unrolled: 1-line block ×4, first 2 shown]
	v_cvt_f32_f16_e32 v55, v40
	v_cvt_f32_f16_e32 v56, v41
	s_waitcnt lgkmcnt(0)
	v_perm_b32 v41, v61, v60, s2
	v_perm_b32 v40, v59, v58, s2
	v_cvt_f32_f16_e32 v54, v25
	v_cvt_f32_f16_e32 v57, v57
	ds_read_u16 v58, v80 offset:4640
	ds_read_u16 v59, v80 offset:4784
	;; [unrolled: 1-line block ×4, first 2 shown]
	v_mfma_f32_16x16x16_f16 v[54:57], v[40:41], v[16:17], v[54:57]
	s_nop 7
	v_cvt_f16_f32_e32 v40, v55
	v_cvt_f16_f32_e32 v41, v56
	;; [unrolled: 1-line block ×4, first 2 shown]
	v_cvt_f32_f16_e32 v55, v40
	v_cvt_f32_f16_e32 v56, v41
	s_waitcnt lgkmcnt(0)
	v_perm_b32 v41, v61, v60, s2
	v_perm_b32 v40, v59, v58, s2
	v_cvt_f32_f16_e32 v54, v25
	v_cvt_f32_f16_e32 v57, v57
	ds_read_u16 v58, v80 offset:6944
	ds_read_u16 v59, v80 offset:7088
	;; [unrolled: 1-line block ×4, first 2 shown]
	v_mfma_f32_16x16x16_f16 v[54:57], v[40:41], v[18:19], v[54:57]
	s_nop 7
	v_cvt_f16_f32_e32 v40, v55
	v_cvt_f16_f32_e32 v41, v56
	v_cvt_f16_f32_e32 v25, v54
	v_cvt_f16_f32_e32 v57, v57
	v_cvt_f32_f16_e32 v55, v40
	v_cvt_f32_f16_e32 v56, v41
	s_waitcnt lgkmcnt(0)
	v_perm_b32 v41, v61, v60, s2
	v_perm_b32 v40, v59, v58, s2
	v_cvt_f32_f16_e32 v54, v25
	v_cvt_f32_f16_e32 v57, v57
	;; [unrolled: 1-line block ×3, first 2 shown]
	v_cvt_f32_f16_sdwa v59, v95 dst_sel:DWORD dst_unused:UNUSED_PAD src0_sel:WORD_1
	v_mfma_f32_16x16x16_f16 v[54:57], v[40:41], v[20:21], v[54:57]
	ds_read_u16 v25, v80 offset:64
	ds_read_u16 v40, v80 offset:208
	;; [unrolled: 1-line block ×4, first 2 shown]
	v_cvt_f32_f16_e32 v60, v92
	v_cvt_f32_f16_sdwa v61, v92 dst_sel:DWORD dst_unused:UNUSED_PAD src0_sel:WORD_1
	s_waitcnt lgkmcnt(2)
	v_perm_b32 v40, v40, v25, s2
	v_cvt_f32_f16_sdwa v95, v1 dst_sel:DWORD dst_unused:UNUSED_PAD src0_sel:WORD_1
	s_waitcnt lgkmcnt(0)
	v_perm_b32 v41, v91, v41, s2
	ds_read_u16 v91, v80 offset:2368
	ds_read_u16 v92, v80 offset:2512
	;; [unrolled: 1-line block ×4, first 2 shown]
	v_mfma_f32_16x16x16_f16 v[58:61], v[40:41], v[14:15], v[58:61]
	v_cvt_pk_f16_f32 v106, v54, v55
	s_nop 6
	v_cvt_f16_f32_e32 v40, v59
	v_cvt_f16_f32_e32 v41, v60
	;; [unrolled: 1-line block ×4, first 2 shown]
	v_cvt_f32_f16_e32 v59, v40
	v_cvt_f32_f16_e32 v60, v41
	s_waitcnt lgkmcnt(0)
	v_perm_b32 v41, v94, v93, s2
	v_perm_b32 v40, v92, v91, s2
	v_cvt_f32_f16_e32 v58, v25
	v_cvt_f32_f16_e32 v61, v61
	ds_read_u16 v91, v80 offset:4672
	ds_read_u16 v92, v80 offset:4816
	;; [unrolled: 1-line block ×4, first 2 shown]
	v_mfma_f32_16x16x16_f16 v[58:61], v[40:41], v[16:17], v[58:61]
	s_nop 7
	v_cvt_f16_f32_e32 v40, v59
	v_cvt_f16_f32_e32 v41, v60
	;; [unrolled: 1-line block ×4, first 2 shown]
	v_cvt_f32_f16_e32 v59, v40
	v_cvt_f32_f16_e32 v60, v41
	s_waitcnt lgkmcnt(0)
	v_perm_b32 v41, v94, v93, s2
	v_perm_b32 v40, v92, v91, s2
	v_cvt_f32_f16_e32 v58, v25
	v_cvt_f32_f16_e32 v61, v61
	ds_read_u16 v91, v80 offset:6976
	ds_read_u16 v92, v80 offset:7120
	ds_read_u16 v93, v81 offset:6976
	ds_read_u16 v94, v82 offset:6976
	v_mfma_f32_16x16x16_f16 v[58:61], v[40:41], v[18:19], v[58:61]
	s_nop 7
	v_cvt_f16_f32_e32 v40, v59
	v_cvt_f16_f32_e32 v41, v60
	v_cvt_f16_f32_e32 v25, v58
	v_cvt_f16_f32_e32 v61, v61
	v_cvt_f32_f16_e32 v59, v40
	v_cvt_f32_f16_e32 v60, v41
	s_waitcnt lgkmcnt(0)
	v_perm_b32 v41, v94, v93, s2
	v_perm_b32 v40, v92, v91, s2
	v_cvt_f32_f16_e32 v58, v25
	v_cvt_f32_f16_e32 v61, v61
	;; [unrolled: 1-line block ×3, first 2 shown]
	v_cvt_f32_f16_sdwa v93, v24 dst_sel:DWORD dst_unused:UNUSED_PAD src0_sel:WORD_1
	v_mfma_f32_16x16x16_f16 v[58:61], v[40:41], v[20:21], v[58:61]
	ds_read_u16 v40, v80 offset:96
	ds_read_u16 v41, v80 offset:240
	;; [unrolled: 1-line block ×4, first 2 shown]
	v_cvt_f32_f16_e32 v94, v1
	s_waitcnt lgkmcnt(2)
	v_perm_b32 v24, v41, v40, s2
	s_nop 0
	v_cvt_pk_f16_f32 v98, v60, v61
	s_waitcnt lgkmcnt(0)
	v_perm_b32 v25, v91, v25, s2
	s_nop 1
	v_mfma_f32_16x16x16_f16 v[92:95], v[24:25], v[14:15], v[92:95]
	ds_read_u16 v25, v80 offset:2400
	ds_read_u16 v40, v80 offset:2544
	;; [unrolled: 1-line block ×4, first 2 shown]
	s_nop 3
	v_cvt_f16_f32_e32 v14, v93
	v_cvt_f16_f32_e32 v15, v94
	;; [unrolled: 1-line block ×4, first 2 shown]
	v_cvt_f32_f16_e32 v93, v14
	v_cvt_f32_f16_e32 v94, v15
	s_waitcnt lgkmcnt(0)
	v_perm_b32 v15, v91, v41, s2
	v_perm_b32 v14, v40, v25, s2
	v_cvt_f32_f16_e32 v92, v1
	v_cvt_f32_f16_e32 v95, v24
	ds_read_u16 v24, v80 offset:4704
	ds_read_u16 v40, v80 offset:4848
	;; [unrolled: 1-line block ×4, first 2 shown]
	v_mfma_f32_16x16x16_f16 v[14:17], v[14:15], v[16:17], v[92:95]
	s_waitcnt lgkmcnt(2)
	v_perm_b32 v24, v40, v24, s2
	s_waitcnt lgkmcnt(0)
	v_perm_b32 v25, v41, v25, s2
	v_cvt_pk_f16_f32 v95, v56, v57
	s_nop 2
	v_cvt_f16_f32_e32 v1, v14
	v_cvt_f16_f32_e32 v15, v15
	;; [unrolled: 1-line block ×4, first 2 shown]
	v_cvt_f32_f16_e32 v14, v1
	v_cvt_f32_f16_e32 v15, v15
	;; [unrolled: 1-line block ×4, first 2 shown]
	v_cvt_pk_f16_f32 v92, v58, v59
	s_nop 0
	v_mfma_f32_16x16x16_f16 v[14:17], v[24:25], v[18:19], v[14:17]
	ds_read_u16 v18, v80 offset:7008
	ds_read_u16 v24, v80 offset:7152
	;; [unrolled: 1-line block ×4, first 2 shown]
	s_waitcnt lgkmcnt(0)
	s_barrier
	s_nop 1
	v_cvt_f16_f32_e32 v1, v14
	v_cvt_f16_f32_e32 v15, v15
	;; [unrolled: 1-line block ×4, first 2 shown]
	v_perm_b32 v19, v25, v19, s2
	v_perm_b32 v18, v24, v18, s2
	v_cvt_f32_f16_e32 v14, v1
	v_cvt_f32_f16_e32 v15, v15
	;; [unrolled: 1-line block ×4, first 2 shown]
	v_cvt_pk_f16_f32 v1, v12, v13
	s_nop 0
	v_mfma_f32_16x16x16_f16 v[14:17], v[18:19], v[20:21], v[14:17]
	s_nop 7
	v_cvt_pk_f16_f32 v102, v14, v15
	v_cvt_pk_f16_f32 v97, v16, v17
	s_cbranch_scc1 .LBB0_141
; %bb.142:                              ;   in Loop: Header=BB0_12 Depth=1
	v_readlane_b32 s92, v127, 29
	s_lshl_b32 s56, s30, 6
	v_readlane_b32 s93, v127, 30
	s_mov_b64 s[74:75], s[56:57]
	v_readlane_b32 s93, v127, 31
	v_mov_b32_e32 v109, v47
	v_mov_b32_e32 v47, v52
	s_branch .LBB0_144
.LBB0_143:                              ;   in Loop: Header=BB0_12 Depth=1
	v_readlane_b32 s92, v127, 29
	v_readlane_b32 s93, v127, 30
	v_mov_b32_e32 v22, 0xfeffffff
	v_mov_b32_e32 v23, 0
	s_mov_b64 s[74:75], 0
	v_mov_b32_e32 v97, 0
	v_mov_b32_e32 v102, 0
	v_mov_b32_e32 v98, 0
	v_mov_b32_e32 v92, 0
	v_mov_b32_e32 v95, 0
	v_mov_b32_e32 v106, 0
	v_mov_b32_e32 v1, 0
	v_mov_b32_e32 v107, 0
	v_readlane_b32 s93, v127, 31
.LBB0_144:                              ;   in Loop: Header=BB0_12 Depth=1
	v_readlane_b32 s0, v127, 12
	v_readlane_b32 s1, v127, 13
	v_add_u32_e32 v24, 0x800, v76
	v_mad_i64_i32 v[10:11], s[0:1], v28, s0, 0
	s_lshl_b64 s[0:1], s[74:75], 1
	s_add_u32 s0, s72, s0
	s_addc_u32 s1, s73, s1
	v_lshl_add_u64 v[10:11], v[10:11], 1, s[0:1]
	v_lshlrev_b32_e32 v28, 1, v46
	v_lshl_add_u64 v[10:11], v[10:11], 0, v[28:29]
	global_load_dword v10, v[10:11], off
	s_mul_i32 s0, s74, s27
	s_mul_hi_u32 s1, s74, s26
	s_add_i32 s1, s1, s0
	s_mul_i32 s0, s74, s26
	s_lshl_b64 s[0:1], s[0:1], 2
	s_add_u32 s0, s59, s0
	s_addc_u32 s1, s60, s1
	v_lshlrev_b32_e32 v28, 2, v30
	v_lshl_add_u64 v[12:13], v[34:35], 2, s[0:1]
	v_lshl_add_u64 v[14:15], v[12:13], 0, v[28:29]
	v_cmp_lt_i32_e32 vcc, v120, v103
	s_waitcnt vmcnt(0)
	ds_write_b32 v113, v10 offset:9216
	v_lshl_add_u64 v[10:11], v[32:33], 2, s[0:1]
	v_lshl_add_u64 v[10:11], v[10:11], 0, v[28:29]
	global_load_dwordx4 v[10:13], v[10:11], off
	s_mul_i32 s0, s74, s37
	s_mul_hi_u32 s1, s74, s36
	s_add_i32 s1, s1, s0
	s_mul_i32 s0, s74, s36
	s_lshl_b64 s[0:1], s[0:1], 2
	s_add_u32 s0, s96, s0
	s_addc_u32 s1, s58, s1
	s_cmp_eq_u64 s[70:71], 0
	s_waitcnt vmcnt(0)
	ds_write_b128 v74, v[10:13]
	global_load_dwordx4 v[10:13], v[14:15], off
	s_waitcnt vmcnt(0)
	ds_write_b128 v114, v[10:13]
	s_waitcnt lgkmcnt(0)
	s_barrier
	ds_read2_b64 v[10:13], v76 offset1:4
	s_waitcnt lgkmcnt(0)
	v_mfma_f32_16x16x16_f16 v[14:17], v[10:11], v[6:7], 0
	v_mfma_f32_16x16x16_f16 v[10:13], v[12:13], v[8:9], v[14:17]
	s_nop 6
	ds_read2_b64 v[14:17], v76 offset0:8 offset1:12
	s_waitcnt lgkmcnt(0)
	v_mfma_f32_16x16x16_f16 v[10:13], v[14:15], v[2:3], v[10:13]
	v_mfma_f32_16x16x16_f16 v[18:21], v[16:17], v[4:5], v[10:13]
	s_nop 6
	ds_read2_b64 v[10:13], v24 offset0:32 offset1:36
	;; [unrolled: 5-line block ×3, first 2 shown]
	s_waitcnt lgkmcnt(0)
	v_mfma_f32_16x16x16_f16 v[10:13], v[14:15], v[2:3], v[10:13]
	v_add_u32_e32 v24, 0x1000, v76
	v_mfma_f32_16x16x16_f16 v[14:17], v[16:17], v[4:5], v[10:13]
	s_nop 5
	ds_read2_b64 v[10:13], v24 offset0:64 offset1:68
	s_waitcnt lgkmcnt(0)
	v_mfma_f32_16x16x16_f16 v[54:57], v[10:11], v[6:7], 0
	v_mfma_f32_16x16x16_f16 v[10:13], v[12:13], v[8:9], v[54:57]
	s_nop 6
	ds_read2_b64 v[54:57], v24 offset0:72 offset1:76
	s_waitcnt lgkmcnt(0)
	v_mfma_f32_16x16x16_f16 v[10:13], v[54:55], v[2:3], v[10:13]
	v_add_u32_e32 v24, 0x1800, v76
	v_mfma_f32_16x16x16_f16 v[10:13], v[56:57], v[4:5], v[10:13]
	ds_read2_b64 v[54:57], v24 offset0:96 offset1:100
	s_waitcnt lgkmcnt(0)
	v_mfma_f32_16x16x16_f16 v[58:61], v[54:55], v[6:7], 0
	v_mfma_f32_16x16x16_f16 v[6:9], v[56:57], v[8:9], v[58:61]
	ds_read2_b64 v[54:57], v24 offset0:104 offset1:108
	s_waitcnt lgkmcnt(0)
	s_barrier
	v_mfma_f32_16x16x16_f16 v[6:9], v[54:55], v[2:3], v[6:9]
	v_mfma_f32_16x16x16_f16 v[2:5], v[56:57], v[4:5], v[6:9]
	s_nop 6
	ds_read_b32 v6, v77 offset:9216
	s_waitcnt lgkmcnt(0)
	v_cvt_f32_f16_e32 v7, v6
	v_cvt_f32_f16_sdwa v8, v6 dst_sel:DWORD dst_unused:UNUSED_PAD src0_sel:WORD_1
	v_add_f32_e32 v6, v18, v7
	v_add_f32_e32 v7, v19, v8
	ds_read_b32 v8, v78 offset:9216
	s_waitcnt lgkmcnt(0)
	v_cvt_f32_f16_e32 v9, v8
	v_cvt_f32_f16_sdwa v8, v8 dst_sel:DWORD dst_unused:UNUSED_PAD src0_sel:WORD_1
	v_add_f32_e32 v41, v20, v9
	v_add_f32_e32 v25, v21, v8
	v_add_u32_e32 v8, 0x2400, v115
	ds_read2_b32 v[8:9], v8 offset1:1
	s_waitcnt lgkmcnt(0)
	v_cvt_f32_f16_e32 v18, v8
	v_cvt_f32_f16_sdwa v8, v8 dst_sel:DWORD dst_unused:UNUSED_PAD src0_sel:WORD_1
	v_add_f32_e32 v40, v14, v18
	v_add_f32_e32 v24, v15, v8
	v_cvt_f32_f16_e32 v8, v9
	v_cvt_f32_f16_sdwa v9, v9 dst_sel:DWORD dst_unused:UNUSED_PAD src0_sel:WORD_1
	v_add_f32_e32 v15, v16, v8
	v_add_u32_e32 v8, 0x2400, v116
	v_add_f32_e32 v17, v17, v9
	ds_read2_b32 v[8:9], v8 offset1:1
	s_waitcnt lgkmcnt(0)
	v_cvt_f32_f16_e32 v14, v8
	v_cvt_f32_f16_sdwa v8, v8 dst_sel:DWORD dst_unused:UNUSED_PAD src0_sel:WORD_1
	v_add_f32_e32 v19, v10, v14
	v_add_f32_e32 v18, v11, v8
	v_cvt_f32_f16_e32 v8, v9
	v_cvt_f32_f16_sdwa v10, v9 dst_sel:DWORD dst_unused:UNUSED_PAD src0_sel:WORD_1
	v_add_f32_e32 v9, v12, v8
	v_add_f32_e32 v8, v13, v10
	v_add_u32_e32 v10, 0x2400, v117
	ds_read2_b32 v[10:11], v10 offset1:1
	s_waitcnt lgkmcnt(0)
	v_cvt_f32_f16_e32 v12, v10
	v_cvt_f32_f16_sdwa v10, v10 dst_sel:DWORD dst_unused:UNUSED_PAD src0_sel:WORD_1
	v_add_f32_e32 v21, v2, v12
	v_add_f32_e32 v2, v3, v10
	v_cvt_f32_f16_e32 v3, v11
	v_cvt_f32_f16_sdwa v10, v11 dst_sel:DWORD dst_unused:UNUSED_PAD src0_sel:WORD_1
	v_add_f32_e32 v11, 0x40051340, v25
	v_add_f32_e32 v4, v4, v3
	;; [unrolled: 1-line block ×5, first 2 shown]
	v_max3_f32 v5, v22, v5, v10
	v_add_f32_e32 v10, 0x40051340, v41
	v_max3_f32 v5, v5, v10, v11
	v_add_f32_e32 v10, 0x40051340, v40
	v_add_f32_e32 v11, 0x40051340, v24
	v_max3_f32 v5, v5, v10, v11
	v_add_f32_e32 v10, 0x40051340, v15
	;; [unrolled: 3-line block ×6, first 2 shown]
	v_add_f32_e32 v11, 0x40051340, v3
	v_max3_f32 v5, v5, v10, v11
	v_cndmask_b32_e32 v10, v100, v120, vcc
	v_lshlrev_b32_e32 v20, 2, v10
	ds_bpermute_b32 v10, v20, v5
	v_cmp_lt_i32_e32 vcc, v108, v103
	s_waitcnt lgkmcnt(0)
	v_max_f32_e32 v10, v10, v10
	v_max_f32_e32 v5, v5, v10
	v_cndmask_b32_e32 v10, v100, v108, vcc
	v_lshlrev_b32_e32 v13, 2, v10
	ds_bpermute_b32 v10, v13, v5
	s_waitcnt lgkmcnt(0)
	v_max_f32_e32 v10, v10, v10
	v_max_f32_e32 v12, v5, v10
	v_sub_f32_e32 v5, v6, v12
	v_mul_f32_e32 v6, 0x3fb8aa3b, v5
	v_fma_f32 v10, v5, s39, -v6
	v_rndne_f32_e32 v11, v6
	v_fmac_f32_e32 v10, 0x32a5705f, v5
	v_sub_f32_e32 v6, v6, v11
	v_add_f32_e32 v6, v6, v10
	v_exp_f32_e32 v6, v6
	v_cvt_i32_f32_e32 v10, v11
	v_cmp_ngt_f32_e32 vcc, s61, v5
	v_sub_f32_e32 v15, v15, v12
	v_sub_f32_e32 v17, v17, v12
	v_ldexp_f32 v6, v6, v10
	v_cndmask_b32_e32 v6, 0, v6, vcc
	v_cmp_nlt_f32_e32 vcc, s63, v5
	v_sub_f32_e32 v5, v7, v12
	v_mul_f32_e32 v7, 0x3fb8aa3b, v5
	v_fma_f32 v10, v5, s39, -v7
	v_rndne_f32_e32 v11, v7
	v_fmac_f32_e32 v10, 0x32a5705f, v5
	v_sub_f32_e32 v7, v7, v11
	v_add_f32_e32 v7, v7, v10
	v_exp_f32_e32 v7, v7
	v_cvt_i32_f32_e32 v10, v11
	v_cndmask_b32_e32 v6, v121, v6, vcc
	v_cmp_ngt_f32_e32 vcc, s61, v5
	v_sub_f32_e32 v19, v19, v12
	v_ldexp_f32 v7, v7, v10
	v_sub_f32_e32 v10, v41, v12
	v_mul_f32_e32 v11, 0x3fb8aa3b, v10
	v_fma_f32 v14, v10, s39, -v11
	v_rndne_f32_e32 v16, v11
	v_fmac_f32_e32 v14, 0x32a5705f, v10
	v_sub_f32_e32 v11, v11, v16
	v_add_f32_e32 v11, v11, v14
	v_exp_f32_e32 v11, v11
	v_cvt_i32_f32_e32 v14, v16
	v_cndmask_b32_e32 v7, 0, v7, vcc
	v_cmp_nlt_f32_e32 vcc, s63, v5
	v_sub_f32_e32 v18, v18, v12
	v_ldexp_f32 v11, v11, v14
	v_cndmask_b32_e32 v7, v121, v7, vcc
	v_cmp_ngt_f32_e32 vcc, s61, v10
	v_sub_f32_e32 v9, v9, v12
	v_sub_f32_e32 v8, v8, v12
	v_cndmask_b32_e32 v11, 0, v11, vcc
	v_cmp_nlt_f32_e32 vcc, s63, v10
	v_add_f32_e32 v5, v6, v7
	v_sub_f32_e32 v2, v2, v12
	v_cndmask_b32_e32 v10, v121, v11, vcc
	v_sub_f32_e32 v11, v25, v12
	v_mul_f32_e32 v14, 0x3fb8aa3b, v11
	v_fma_f32 v16, v11, s39, -v14
	v_rndne_f32_e32 v25, v14
	v_fmac_f32_e32 v16, 0x32a5705f, v11
	v_sub_f32_e32 v14, v14, v25
	v_add_f32_e32 v14, v14, v16
	v_exp_f32_e32 v14, v14
	v_cvt_i32_f32_e32 v16, v25
	v_cmp_ngt_f32_e32 vcc, s61, v11
	v_add_f32_e32 v5, v10, v5
	v_sub_f32_e32 v4, v4, v12
	v_ldexp_f32 v14, v14, v16
	v_cndmask_b32_e32 v14, 0, v14, vcc
	v_cmp_nlt_f32_e32 vcc, s63, v11
	v_sub_f32_e32 v11, v40, v12
	v_mul_f32_e32 v16, 0x3fb8aa3b, v11
	v_fma_f32 v25, v11, s39, -v16
	v_rndne_f32_e32 v40, v16
	v_fmac_f32_e32 v25, 0x32a5705f, v11
	v_sub_f32_e32 v16, v16, v40
	v_add_f32_e32 v16, v16, v25
	v_exp_f32_e32 v16, v16
	v_cvt_i32_f32_e32 v25, v40
	v_cndmask_b32_e32 v14, v121, v14, vcc
	v_cmp_ngt_f32_e32 vcc, s61, v11
	v_add_f32_e32 v5, v14, v5
	v_ldexp_f32 v16, v16, v25
	v_cndmask_b32_e32 v16, 0, v16, vcc
	v_cmp_nlt_f32_e32 vcc, s63, v11
	v_sub_f32_e32 v3, v3, v12
	s_nop 0
	v_cndmask_b32_e32 v11, v121, v16, vcc
	v_sub_f32_e32 v16, v24, v12
	v_mul_f32_e32 v24, 0x3fb8aa3b, v16
	v_fma_f32 v25, v16, s39, -v24
	v_rndne_f32_e32 v40, v24
	v_fmac_f32_e32 v25, 0x32a5705f, v16
	v_sub_f32_e32 v24, v24, v40
	v_add_f32_e32 v24, v24, v25
	v_exp_f32_e32 v24, v24
	v_cvt_i32_f32_e32 v25, v40
	v_cmp_ngt_f32_e32 vcc, s61, v16
	v_add_f32_e32 v5, v11, v5
	v_ldexp_f32 v24, v24, v25
	v_cndmask_b32_e32 v24, 0, v24, vcc
	v_cmp_nlt_f32_e32 vcc, s63, v16
	s_nop 1
	v_cndmask_b32_e32 v16, v121, v24, vcc
	v_mul_f32_e32 v24, 0x3fb8aa3b, v15
	v_fma_f32 v25, v15, s39, -v24
	v_rndne_f32_e32 v40, v24
	v_fmac_f32_e32 v25, 0x32a5705f, v15
	v_sub_f32_e32 v24, v24, v40
	v_add_f32_e32 v24, v24, v25
	v_exp_f32_e32 v24, v24
	v_cvt_i32_f32_e32 v25, v40
	v_cmp_ngt_f32_e32 vcc, s61, v15
	v_add_f32_e32 v5, v16, v5
	v_ldexp_f32 v24, v24, v25
	v_cndmask_b32_e32 v24, 0, v24, vcc
	v_cmp_nlt_f32_e32 vcc, s63, v15
	s_nop 1
	v_cndmask_b32_e32 v15, v121, v24, vcc
	v_mul_f32_e32 v24, 0x3fb8aa3b, v17
	v_fma_f32 v25, v17, s39, -v24
	v_rndne_f32_e32 v40, v24
	v_fmac_f32_e32 v25, 0x32a5705f, v17
	v_sub_f32_e32 v24, v24, v40
	v_add_f32_e32 v24, v24, v25
	v_exp_f32_e32 v24, v24
	v_cvt_i32_f32_e32 v25, v40
	v_cmp_ngt_f32_e32 vcc, s61, v17
	v_add_f32_e32 v5, v15, v5
	v_ldexp_f32 v24, v24, v25
	v_cndmask_b32_e32 v24, 0, v24, vcc
	v_cmp_nlt_f32_e32 vcc, s63, v17
	s_nop 1
	v_cndmask_b32_e32 v17, v121, v24, vcc
	v_mul_f32_e32 v24, 0x3fb8aa3b, v19
	v_fma_f32 v25, v19, s39, -v24
	v_rndne_f32_e32 v40, v24
	v_fmac_f32_e32 v25, 0x32a5705f, v19
	v_sub_f32_e32 v24, v24, v40
	v_add_f32_e32 v24, v24, v25
	v_exp_f32_e32 v24, v24
	v_cvt_i32_f32_e32 v25, v40
	v_cmp_ngt_f32_e32 vcc, s61, v19
	v_add_f32_e32 v5, v17, v5
	v_add_u32_e32 v40, v79, v49
	v_ldexp_f32 v24, v24, v25
	v_cndmask_b32_e32 v24, 0, v24, vcc
	v_cmp_nlt_f32_e32 vcc, s63, v19
	v_mul_f32_e32 v19, 0x3fb8aa3b, v18
	v_rndne_f32_e32 v25, v19
	v_cndmask_b32_e32 v41, v121, v24, vcc
	v_fma_f32 v24, v18, s39, -v19
	v_fmac_f32_e32 v24, 0x32a5705f, v18
	v_sub_f32_e32 v19, v19, v25
	v_add_f32_e32 v19, v19, v24
	v_exp_f32_e32 v19, v19
	v_cvt_i32_f32_e32 v24, v25
	v_cmp_ngt_f32_e32 vcc, s61, v18
	v_add_f32_e32 v5, v41, v5
	v_cvt_pk_f16_f32 v15, v15, v17
	v_ldexp_f32 v19, v19, v24
	v_cndmask_b32_e32 v19, 0, v19, vcc
	v_cmp_nlt_f32_e32 vcc, s63, v18
	v_mul_f32_e32 v18, 0x3fb8aa3b, v9
	v_rndne_f32_e32 v24, v18
	v_cndmask_b32_e32 v62, v121, v19, vcc
	v_fma_f32 v19, v9, s39, -v18
	v_fmac_f32_e32 v19, 0x32a5705f, v9
	v_sub_f32_e32 v18, v18, v24
	v_add_f32_e32 v18, v18, v19
	v_exp_f32_e32 v18, v18
	v_cvt_i32_f32_e32 v19, v24
	v_cmp_ngt_f32_e32 vcc, s61, v9
	v_add_f32_e32 v5, v62, v5
	v_ldexp_f32 v18, v18, v19
	v_cndmask_b32_e32 v18, 0, v18, vcc
	v_cmp_nlt_f32_e32 vcc, s63, v9
	v_mul_f32_e32 v9, 0x3fb8aa3b, v8
	v_rndne_f32_e32 v19, v9
	v_cndmask_b32_e32 v63, v121, v18, vcc
	v_fma_f32 v18, v8, s39, -v9
	v_fmac_f32_e32 v18, 0x32a5705f, v8
	v_sub_f32_e32 v9, v9, v19
	v_add_f32_e32 v9, v9, v18
	v_exp_f32_e32 v9, v9
	v_cvt_i32_f32_e32 v18, v19
	v_cmp_ngt_f32_e32 vcc, s61, v8
	v_add_f32_e32 v5, v63, v5
	v_ldexp_f32 v9, v9, v18
	v_cndmask_b32_e32 v9, 0, v9, vcc
	v_cmp_nlt_f32_e32 vcc, s63, v8
	v_sub_f32_e32 v8, v21, v12
	s_nop 0
	v_cndmask_b32_e32 v65, v121, v9, vcc
	v_mul_f32_e32 v9, 0x3fb8aa3b, v8
	v_fma_f32 v18, v8, s39, -v9
	v_rndne_f32_e32 v19, v9
	v_fmac_f32_e32 v18, 0x32a5705f, v8
	v_sub_f32_e32 v9, v9, v19
	v_add_f32_e32 v9, v9, v18
	v_exp_f32_e32 v9, v9
	v_cvt_i32_f32_e32 v18, v19
	v_cmp_ngt_f32_e32 vcc, s61, v8
	v_add_f32_e32 v5, v65, v5
	v_cvt_pk_f16_f32 v17, v63, v65
	v_ldexp_f32 v9, v9, v18
	v_cndmask_b32_e32 v9, 0, v9, vcc
	v_cmp_nlt_f32_e32 vcc, s63, v8
	v_mul_f32_e32 v8, 0x3fb8aa3b, v2
	v_rndne_f32_e32 v18, v8
	v_cndmask_b32_e32 v64, v121, v9, vcc
	v_fma_f32 v9, v2, s39, -v8
	v_fmac_f32_e32 v9, 0x32a5705f, v2
	v_sub_f32_e32 v8, v8, v18
	v_add_f32_e32 v8, v8, v9
	v_exp_f32_e32 v8, v8
	v_cvt_i32_f32_e32 v9, v18
	v_cmp_ngt_f32_e32 vcc, s61, v2
	v_add_f32_e32 v5, v64, v5
	v_ldexp_f32 v8, v8, v9
	v_cndmask_b32_e32 v8, 0, v8, vcc
	v_cmp_nlt_f32_e32 vcc, s63, v2
	s_nop 1
	v_cndmask_b32_e32 v66, v121, v8, vcc
	v_add_f32_e32 v2, v66, v5
	v_mul_f32_e32 v5, 0x3fb8aa3b, v4
	v_fma_f32 v8, v4, s39, -v5
	v_rndne_f32_e32 v9, v5
	v_fmac_f32_e32 v8, 0x32a5705f, v4
	v_sub_f32_e32 v5, v5, v9
	v_add_f32_e32 v5, v5, v8
	v_exp_f32_e32 v5, v5
	v_cvt_i32_f32_e32 v8, v9
	v_cmp_ngt_f32_e32 vcc, s61, v4
	v_ldexp_f32 v5, v5, v8
	s_nop 0
	v_cndmask_b32_e32 v5, 0, v5, vcc
	v_cmp_nlt_f32_e32 vcc, s63, v4
	v_mul_f32_e32 v4, 0x3fb8aa3b, v3
	v_rndne_f32_e32 v8, v4
	v_cndmask_b32_e32 v67, v121, v5, vcc
	v_fma_f32 v5, v3, s39, -v4
	v_fmac_f32_e32 v5, 0x32a5705f, v3
	v_sub_f32_e32 v4, v4, v8
	v_add_f32_e32 v4, v4, v5
	v_exp_f32_e32 v4, v4
	v_cvt_i32_f32_e32 v5, v8
	v_cmp_ngt_f32_e32 vcc, s61, v3
	v_add_f32_e32 v2, v67, v2
	v_ldexp_f32 v4, v4, v5
	v_cndmask_b32_e32 v4, 0, v4, vcc
	v_cmp_nlt_f32_e32 vcc, s63, v3
	s_nop 1
	v_cndmask_b32_e32 v68, v121, v4, vcc
	v_add_f32_e32 v21, v68, v2
	v_sub_f32_e32 v2, v22, v12
	v_mul_f32_e32 v3, 0x3fb8aa3b, v2
	v_fma_f32 v4, v2, s39, -v3
	v_rndne_f32_e32 v5, v3
	v_fmac_f32_e32 v4, 0x32a5705f, v2
	v_sub_f32_e32 v3, v3, v5
	v_add_f32_e32 v3, v3, v4
	v_exp_f32_e32 v3, v3
	v_cvt_i32_f32_e32 v4, v5
	v_cmp_ngt_f32_e32 vcc, s61, v2
	v_ldexp_f32 v3, v3, v4
	s_nop 0
	v_cndmask_b32_e32 v3, 0, v3, vcc
	v_cmp_nlt_f32_e32 vcc, s63, v2
	v_lshl_add_u64 v[4:5], v[38:39], 2, s[0:1]
	v_lshl_add_u64 v[54:55], v[4:5], 0, v[28:29]
	v_cndmask_b32_e32 v3, v121, v3, vcc
	v_cmp_le_f32_e32 vcc, s3, v2
	s_nop 1
	v_cndmask_b32_e32 v2, 0, v3, vcc
	v_fmac_f32_e32 v21, v23, v2
	v_cvt_f16_f32_e32 v2, v2
	v_mul_u32_u24_e32 v2, 0x10001, v2
	v_pk_mul_f16 v18, v107, v2
	v_pk_mul_f16 v1, v1, v2
	v_pk_mul_f16 v23, v106, v2
	v_pk_mul_f16 v22, v95, v2
	v_pk_mul_f16 v9, v92, v2
	v_pk_mul_f16 v8, v98, v2
	v_pk_mul_f16 v25, v102, v2
	v_pk_mul_f16 v24, v97, v2
	v_lshl_add_u64 v[2:3], v[36:37], 2, s[0:1]
	v_lshl_add_u64 v[2:3], v[2:3], 0, v[28:29]
	global_load_dwordx4 v[2:5], v[2:3], off
	v_add_u32_e32 v28, v79, v72
	s_waitcnt vmcnt(0)
	ds_write_b128 v74, v[2:5]
	global_load_dwordx4 v[2:5], v[54:55], off
	s_waitcnt vmcnt(0)
	ds_write_b128 v114, v[2:5]
	s_waitcnt lgkmcnt(0)
	s_barrier
	ds_read_u16 v19, v80 offset:144
	v_cvt_f32_f16_e32 v2, v18
	v_cvt_f32_f16_sdwa v3, v18 dst_sel:DWORD dst_unused:UNUSED_PAD src0_sel:WORD_1
	v_cvt_f32_f16_e32 v4, v1
	v_cvt_f32_f16_sdwa v5, v1 dst_sel:DWORD dst_unused:UNUSED_PAD src0_sel:WORD_1
	ds_read_u16 v1, v40
	ds_read_u16 v56, v40 offset:32
	ds_read_u16 v18, v28
	ds_read_u16 v57, v28 offset:32
	s_waitcnt lgkmcnt(1)
	v_perm_b32 v55, v18, v1, s2
	ds_read_u16 v1, v80
	ds_read_u16 v58, v80 offset:32
	v_cvt_pk_f16_f32 v18, v6, v7
	s_waitcnt lgkmcnt(1)
	v_perm_b32 v54, v19, v1, s2
	v_cvt_pk_f16_f32 v19, v10, v14
	ds_read_u16 v6, v80 offset:2304
	ds_read_u16 v10, v80 offset:2448
	;; [unrolled: 1-line block ×4, first 2 shown]
	v_mfma_f32_16x16x16_f16 v[2:5], v[54:55], v[18:19], v[2:5]
	s_waitcnt lgkmcnt(2)
	v_perm_b32 v6, v10, v6, s2
	s_waitcnt lgkmcnt(0)
	v_perm_b32 v7, v14, v7, s2
	v_cvt_pk_f16_f32 v14, v11, v16
	s_nop 2
	v_cvt_f16_f32_e32 v1, v2
	v_cvt_f16_f32_e32 v3, v3
	;; [unrolled: 1-line block ×4, first 2 shown]
	v_cvt_f32_f16_e32 v2, v1
	v_cvt_f32_f16_e32 v3, v3
	;; [unrolled: 1-line block ×4, first 2 shown]
	v_cvt_pk_f16_f32 v16, v41, v62
	v_cvt_f32_f16_sdwa v55, v9 dst_sel:DWORD dst_unused:UNUSED_PAD src0_sel:WORD_1
	v_mfma_f32_16x16x16_f16 v[2:5], v[6:7], v[14:15], v[2:5]
	ds_read_u16 v6, v80 offset:4608
	ds_read_u16 v10, v80 offset:4752
	;; [unrolled: 1-line block ×4, first 2 shown]
	s_nop 3
	v_cvt_f16_f32_e32 v1, v2
	v_cvt_f16_f32_e32 v3, v3
	;; [unrolled: 1-line block ×4, first 2 shown]
	s_waitcnt lgkmcnt(0)
	v_perm_b32 v7, v11, v7, s2
	v_perm_b32 v6, v10, v6, s2
	v_cvt_f32_f16_e32 v2, v1
	v_cvt_f32_f16_e32 v3, v3
	;; [unrolled: 1-line block ×4, first 2 shown]
	s_nop 1
	v_mfma_f32_16x16x16_f16 v[2:5], v[6:7], v[16:17], v[2:5]
	ds_read_u16 v6, v80 offset:6912
	ds_read_u16 v10, v80 offset:7056
	;; [unrolled: 1-line block ×5, first 2 shown]
	s_nop 2
	v_cvt_f16_f32_e32 v1, v2
	v_cvt_f16_f32_e32 v3, v3
	;; [unrolled: 1-line block ×4, first 2 shown]
	s_waitcnt lgkmcnt(1)
	v_perm_b32 v7, v11, v7, s2
	v_perm_b32 v6, v10, v6, s2
	v_cvt_f32_f16_e32 v2, v1
	v_cvt_f32_f16_e32 v3, v3
	v_cvt_f32_f16_e32 v4, v4
	v_cvt_f32_f16_e32 v5, v5
	v_cvt_pk_f16_f32 v11, v67, v68
	v_cvt_pk_f16_f32 v10, v64, v66
	s_nop 1
	v_mfma_f32_16x16x16_f16 v[2:5], v[6:7], v[10:11], v[2:5]
	v_cvt_f32_f16_e32 v6, v22
	v_cvt_f32_f16_sdwa v7, v22 dst_sel:DWORD dst_unused:UNUSED_PAD src0_sel:WORD_1
	s_waitcnt lgkmcnt(0)
	v_perm_b32 v22, v41, v58, s2
	s_nop 3
	v_cvt_f16_f32_e32 v1, v4
	v_cvt_f16_f32_e32 v4, v5
	v_cvt_f32_f16_sdwa v5, v23 dst_sel:DWORD dst_unused:UNUSED_PAD src0_sel:WORD_1
	v_perm_b32 v1, v4, v1, s2
	v_cvt_f32_f16_e32 v4, v23
	v_perm_b32 v23, v57, v56, s2
	v_cvt_f32_f16_e32 v56, v8
	v_cvt_f32_f16_sdwa v57, v8 dst_sel:DWORD dst_unused:UNUSED_PAD src0_sel:WORD_1
	v_mfma_f32_16x16x16_f16 v[4:7], v[22:23], v[18:19], v[4:7]
	ds_read_u16 v22, v80 offset:2336
	ds_read_u16 v41, v80 offset:2480
	;; [unrolled: 1-line block ×4, first 2 shown]
	s_nop 3
	v_cvt_f16_f32_e32 v4, v4
	v_cvt_f16_f32_e32 v5, v5
	;; [unrolled: 1-line block ×4, first 2 shown]
	s_waitcnt lgkmcnt(0)
	v_perm_b32 v23, v54, v23, s2
	v_perm_b32 v22, v41, v22, s2
	v_cvt_f32_f16_e32 v4, v4
	v_cvt_f32_f16_e32 v5, v5
	;; [unrolled: 1-line block ×4, first 2 shown]
	s_nop 1
	v_mfma_f32_16x16x16_f16 v[4:7], v[22:23], v[14:15], v[4:7]
	ds_read_u16 v22, v80 offset:4640
	ds_read_u16 v41, v80 offset:4784
	;; [unrolled: 1-line block ×4, first 2 shown]
	s_nop 3
	v_cvt_f16_f32_e32 v4, v4
	v_cvt_f16_f32_e32 v5, v5
	;; [unrolled: 1-line block ×4, first 2 shown]
	s_waitcnt lgkmcnt(0)
	v_perm_b32 v23, v54, v23, s2
	v_perm_b32 v22, v41, v22, s2
	v_cvt_f32_f16_e32 v4, v4
	v_cvt_f32_f16_e32 v5, v5
	;; [unrolled: 1-line block ×4, first 2 shown]
	s_nop 1
	v_mfma_f32_16x16x16_f16 v[4:7], v[22:23], v[16:17], v[4:7]
	ds_read_u16 v22, v80 offset:6944
	ds_read_u16 v41, v80 offset:7088
	ds_read_u16 v23, v40 offset:6944
	ds_read_u16 v54, v28 offset:6944
	s_nop 3
	v_cvt_f16_f32_e32 v4, v4
	v_cvt_f16_f32_e32 v5, v5
	v_cvt_f16_f32_e32 v6, v6
	v_cvt_f16_f32_e32 v7, v7
	s_waitcnt lgkmcnt(0)
	v_perm_b32 v23, v54, v23, s2
	v_perm_b32 v22, v41, v22, s2
	v_cvt_f32_f16_e32 v4, v4
	v_cvt_f32_f16_e32 v5, v5
	v_cvt_f32_f16_e32 v6, v6
	v_cvt_f32_f16_e32 v7, v7
	v_cvt_f32_f16_e32 v54, v9
	s_nop 0
	v_mfma_f32_16x16x16_f16 v[4:7], v[22:23], v[10:11], v[4:7]
	s_nop 7
	v_cvt_f16_f32_e32 v6, v6
	v_cvt_f16_f32_e32 v7, v7
	v_perm_b32 v22, v7, v6, s2
	ds_read_u16 v6, v80 offset:64
	ds_read_u16 v23, v80 offset:208
	;; [unrolled: 1-line block ×4, first 2 shown]
	s_waitcnt lgkmcnt(2)
	v_perm_b32 v6, v23, v6, s2
	s_waitcnt lgkmcnt(0)
	v_perm_b32 v7, v41, v7, s2
	s_nop 1
	v_mfma_f32_16x16x16_f16 v[6:9], v[6:7], v[18:19], v[54:57]
	ds_read_u16 v23, v80 offset:2368
	ds_read_u16 v41, v80 offset:2512
	s_nop 0
	ds_read_u16 v54, v40 offset:2368
	ds_read_u16 v55, v28 offset:2368
	v_cvt_f32_f16_e32 v56, v24
	v_cvt_f32_f16_sdwa v57, v24 dst_sel:DWORD dst_unused:UNUSED_PAD src0_sel:WORD_1
	s_nop 0
	v_cvt_f16_f32_e32 v6, v6
	v_cvt_f16_f32_e32 v7, v7
	v_cvt_f16_f32_e32 v8, v8
	v_cvt_f16_f32_e32 v9, v9
	s_waitcnt lgkmcnt(0)
	v_perm_b32 v55, v55, v54, s2
	v_perm_b32 v54, v41, v23, s2
	v_cvt_f32_f16_e32 v6, v6
	v_cvt_f32_f16_e32 v7, v7
	;; [unrolled: 1-line block ×4, first 2 shown]
	s_nop 1
	v_mfma_f32_16x16x16_f16 v[6:9], v[54:55], v[14:15], v[6:9]
	ds_read_u16 v23, v80 offset:4672
	ds_read_u16 v41, v80 offset:4816
	ds_read_u16 v54, v40 offset:4672
	ds_read_u16 v55, v28 offset:4672
	s_nop 3
	v_cvt_f16_f32_e32 v6, v6
	v_cvt_f16_f32_e32 v7, v7
	;; [unrolled: 1-line block ×4, first 2 shown]
	s_waitcnt lgkmcnt(0)
	v_perm_b32 v55, v55, v54, s2
	v_perm_b32 v54, v41, v23, s2
	v_cvt_f32_f16_e32 v6, v6
	v_cvt_f32_f16_e32 v7, v7
	;; [unrolled: 1-line block ×4, first 2 shown]
	s_nop 1
	v_mfma_f32_16x16x16_f16 v[6:9], v[54:55], v[16:17], v[6:9]
	ds_read_u16 v23, v80 offset:6976
	ds_read_u16 v41, v80 offset:7120
	;; [unrolled: 1-line block ×4, first 2 shown]
	s_nop 3
	v_cvt_f16_f32_e32 v6, v6
	v_cvt_f16_f32_e32 v7, v7
	;; [unrolled: 1-line block ×4, first 2 shown]
	s_waitcnt lgkmcnt(0)
	v_perm_b32 v55, v55, v54, s2
	v_perm_b32 v54, v41, v23, s2
	v_cvt_f32_f16_e32 v6, v6
	v_cvt_f32_f16_e32 v7, v7
	;; [unrolled: 1-line block ×4, first 2 shown]
	s_nop 1
	v_mfma_f32_16x16x16_f16 v[6:9], v[54:55], v[10:11], v[6:9]
	v_cvt_f32_f16_e32 v54, v25
	v_cvt_f32_f16_sdwa v55, v25 dst_sel:DWORD dst_unused:UNUSED_PAD src0_sel:WORD_1
	s_nop 5
	v_cvt_f16_f32_e32 v8, v8
	v_cvt_f16_f32_e32 v9, v9
	v_perm_b32 v23, v9, v8, s2
	ds_read_u16 v8, v80 offset:96
	ds_read_u16 v41, v80 offset:240
	;; [unrolled: 1-line block ×4, first 2 shown]
	s_waitcnt lgkmcnt(2)
	v_perm_b32 v8, v41, v8, s2
	s_waitcnt lgkmcnt(0)
	v_perm_b32 v9, v58, v9, s2
	s_nop 1
	v_mfma_f32_16x16x16_f16 v[54:57], v[8:9], v[18:19], v[54:57]
	ds_read_u16 v8, v80 offset:2400
	ds_read_u16 v25, v80 offset:2544
	;; [unrolled: 1-line block ×4, first 2 shown]
	s_nop 3
	v_cvt_f16_f32_e32 v9, v54
	v_cvt_f16_f32_e32 v18, v55
	;; [unrolled: 1-line block ×4, first 2 shown]
	v_cvt_f32_f16_e32 v54, v9
	s_waitcnt lgkmcnt(0)
	v_perm_b32 v9, v58, v41, s2
	v_perm_b32 v8, v25, v8, s2
	v_cvt_f32_f16_e32 v55, v18
	v_cvt_f32_f16_e32 v56, v19
	;; [unrolled: 1-line block ×3, first 2 shown]
	ds_read_u16 v18, v80 offset:4704
	ds_read_u16 v19, v80 offset:4848
	;; [unrolled: 1-line block ×4, first 2 shown]
	v_mfma_f32_16x16x16_f16 v[54:57], v[8:9], v[14:15], v[54:57]
	s_nop 7
	v_cvt_f16_f32_e32 v8, v54
	v_cvt_f16_f32_e32 v9, v55
	;; [unrolled: 1-line block ×4, first 2 shown]
	v_cvt_f32_f16_e32 v54, v8
	v_cvt_f32_f16_e32 v55, v9
	s_waitcnt lgkmcnt(0)
	v_perm_b32 v9, v25, v24, s2
	v_perm_b32 v8, v19, v18, s2
	v_cvt_f32_f16_e32 v56, v14
	v_cvt_f32_f16_e32 v57, v15
	s_nop 1
	v_mfma_f32_16x16x16_f16 v[14:17], v[8:9], v[16:17], v[54:57]
	ds_read_u16 v8, v80 offset:7008
	ds_read_u16 v9, v80 offset:7152
	;; [unrolled: 1-line block ×4, first 2 shown]
	s_waitcnt lgkmcnt(0)
	s_barrier
	s_nop 1
	v_cvt_f16_f32_e32 v14, v14
	v_cvt_f16_f32_e32 v15, v15
	;; [unrolled: 1-line block ×4, first 2 shown]
	v_perm_b32 v19, v19, v18, s2
	v_perm_b32 v18, v9, v8, s2
	v_cvt_f32_f16_e32 v14, v14
	v_cvt_f32_f16_e32 v15, v15
	;; [unrolled: 1-line block ×4, first 2 shown]
	s_nop 1
	v_mfma_f32_16x16x16_f16 v[8:11], v[18:19], v[10:11], v[14:17]
	s_nop 7
	v_cvt_f16_f32_e32 v10, v10
	v_cvt_f16_f32_e32 v11, v11
	v_perm_b32 v10, v11, v10, s2
	ds_bpermute_b32 v11, v20, v21
	s_waitcnt lgkmcnt(0)
	v_add_f32_e32 v11, v21, v11
	ds_bpermute_b32 v13, v13, v11
	s_waitcnt lgkmcnt(0)
	v_add_f32_e32 v13, v11, v13
	s_cbranch_scc1 .LBB0_146
; %bb.145:                              ;   in Loop: Header=BB0_12 Depth=1
	v_cvt_pk_f16_f32 v3, v2, v3
	v_lshlrev_b32_e32 v2, 2, v42
	v_cvt_pk_f16_f32 v5, v4, v5
	global_load_dword v4, v2, s[70:71]
	v_cvt_pk_f16_f32 v6, v6, v7
	v_cvt_pk_f16_f32 v7, v8, v9
	v_max_f32_e32 v8, v12, v12
	s_waitcnt vmcnt(0)
	v_max_f32_e32 v2, v4, v4
	v_max_f32_e32 v2, v8, v2
	v_sub_f32_e32 v8, v12, v2
	v_mul_f32_e32 v9, 0x3fb8aa3b, v8
	v_fma_f32 v11, v8, s39, -v9
	v_rndne_f32_e32 v12, v9
	v_fmac_f32_e32 v11, 0x32a5705f, v8
	v_sub_f32_e32 v9, v9, v12
	v_add_f32_e32 v9, v9, v11
	v_exp_f32_e32 v9, v9
	v_cvt_i32_f32_e32 v11, v12
	v_cmp_ngt_f32_e32 vcc, s61, v8
	v_ldexp_f32 v9, v9, v11
	s_nop 0
	v_cndmask_b32_e32 v9, 0, v9, vcc
	v_cmp_nlt_f32_e32 vcc, s63, v8
	s_nop 1
	v_cndmask_b32_e32 v9, v121, v9, vcc
	v_cmp_le_f32_e32 vcc, s3, v8
	s_nop 1
	v_cndmask_b32_e32 v8, 0, v9, vcc
	v_sub_f32_e32 v9, v4, v2
	v_cvt_f16_f32_e32 v4, v8
	v_cmp_ngt_f32_e32 vcc, s61, v9
	v_mul_u32_u24_e32 v11, 0x10001, v4
	v_pk_mul_f16 v4, v3, v11
	v_mul_f32_e32 v3, 0x3fb8aa3b, v9
	v_pk_mul_f16 v1, v1, v11
	v_pk_mul_f16 v5, v5, v11
	;; [unrolled: 1-line block ×7, first 2 shown]
	v_fma_f32 v11, v9, s39, -v3
	v_rndne_f32_e32 v12, v3
	v_fmac_f32_e32 v11, 0x32a5705f, v9
	v_sub_f32_e32 v3, v3, v12
	v_add_f32_e32 v3, v3, v11
	v_exp_f32_e32 v3, v3
	v_cvt_i32_f32_e32 v11, v12
	v_ldexp_f32 v3, v3, v11
	v_cndmask_b32_e32 v3, 0, v3, vcc
	v_cmp_nlt_f32_e32 vcc, s63, v9
	s_nop 1
	v_cndmask_b32_e32 v3, v121, v3, vcc
	v_fmac_f32_e32 v3, v13, v8
	v_mov_b64_e32 v[12:13], v[2:3]
	s_branch .LBB0_147
.LBB0_146:                              ;   in Loop: Header=BB0_12 Depth=1
	v_cvt_f16_f32_e32 v2, v2
	v_cvt_f16_f32_e32 v3, v3
	;; [unrolled: 1-line block ×8, first 2 shown]
	v_perm_b32 v4, v3, v2, s2
	v_perm_b32 v5, v5, v11, s2
	;; [unrolled: 1-line block ×4, first 2 shown]
.LBB0_147:                              ;   in Loop: Header=BB0_12 Depth=1
	s_mov_b64 s[70:71], exec
	v_readlane_b32 s0, v127, 18
	v_readlane_b32 s1, v127, 19
	s_and_b64 s[0:1], s[70:71], s[0:1]
	s_mov_b64 exec, s[0:1]
	s_cbranch_execz .LBB0_149
; %bb.148:                              ;   in Loop: Header=BB0_12 Depth=1
	scratch_load_dword v2, off, off offset:16 ; 4-byte Folded Reload
	s_waitcnt vmcnt(0)
	ds_write2_b32 v2, v12, v13 offset0:32 offset1:33
.LBB0_149:                              ;   in Loop: Header=BB0_12 Depth=1
	s_or_b64 exec, exec, s[70:71]
	v_add_u32_e32 v2, v75, v90
	s_waitcnt lgkmcnt(0)
	s_barrier
	ds_write2_b32 v2, v4, v1 offset1:1
	ds_write2_b32 v2, v5, v22 offset0:8 offset1:9
	ds_write2_b32 v2, v6, v23 offset0:16 offset1:17
	;; [unrolled: 1-line block ×3, first 2 shown]
	v_mov_b32_e32 v1, 50
	s_waitcnt lgkmcnt(0)
	s_barrier
	s_and_saveexec_b64 s[70:71], s[90:91]
	s_cbranch_execz .LBB0_151
; %bb.150:                              ;   in Loop: Header=BB0_12 Depth=1
	ds_read_b32 v1, v73 offset:132
	ds_read_b32 v4, v53
	v_mad_u64_u32 v[2:3], s[0:1], v105, s25, v[48:49]
	v_lshl_or_b32 v2, v2, 5, v26
	v_ashrrev_i32_e32 v3, 31, v2
	s_waitcnt lgkmcnt(0)
	v_cvt_f32_f16_sdwa v5, v4 dst_sel:DWORD dst_unused:UNUSED_PAD src0_sel:WORD_1
	v_cvt_f32_f16_e32 v4, v4
	v_lshl_add_u64 v[2:3], v[2:3], 3, s[68:69]
	v_pk_add_f32 v[4:5], v[4:5], 0 op_sel_hi:[1,0]
	s_nop 0
	v_div_scale_f32 v6, s[0:1], v1, v1, v5
	v_rcp_f32_e32 v7, v6
	s_nop 0
	v_fma_f32 v8, -v6, v7, 1.0
	v_fmac_f32_e32 v7, v8, v7
	v_div_scale_f32 v8, vcc, v5, v1, v5
	v_mul_f32_e32 v9, v8, v7
	v_fma_f32 v10, -v6, v9, v8
	v_fmac_f32_e32 v9, v10, v7
	v_fma_f32 v6, -v6, v9, v8
	v_div_fmas_f32 v6, v6, v7, v9
	v_div_fixup_f32 v5, v6, v1, v5
	v_div_scale_f32 v6, s[0:1], v1, v1, v4
	v_rcp_f32_e32 v7, v6
	s_nop 0
	v_fma_f32 v8, -v6, v7, 1.0
	v_fmac_f32_e32 v7, v8, v7
	v_div_scale_f32 v8, vcc, v4, v1, v4
	v_mul_f32_e32 v9, v8, v7
	v_fma_f32 v10, -v6, v9, v8
	v_fmac_f32_e32 v9, v10, v7
	v_fma_f32 v6, -v6, v9, v8
	v_div_fmas_f32 v6, v6, v7, v9
	v_div_fixup_f32 v4, v6, v1, v4
	v_mov_b32_e32 v1, 0
	global_store_dwordx2 v[2:3], v[4:5], off
.LBB0_151:                              ;   in Loop: Header=BB0_12 Depth=1
	s_or_b64 exec, exec, s[70:71]
	v_cmp_gt_i32_e32 vcc, 50, v1
	s_mov_b64 s[72:73], -1
	s_and_saveexec_b64 s[70:71], vcc
; %bb.152:                              ;   in Loop: Header=BB0_12 Depth=1
	v_cmp_eq_u32_e32 vcc, 0, v1
	s_orn2_b64 s[72:73], vcc, exec
; %bb.153:                              ;   in Loop: Header=BB0_12 Depth=1
	s_or_b64 exec, exec, s[70:71]
                                        ; implicit-def: $vgpr4_vgpr5
                                        ; implicit-def: $vgpr2
	s_and_saveexec_b64 s[70:71], s[72:73]
	s_cbranch_execz .LBB0_193
; %bb.154:                              ;   in Loop: Header=BB0_12 Depth=1
	v_mov_b32_e32 v1, 50
	s_and_saveexec_b64 s[72:73], s[88:89]
	s_cbranch_execz .LBB0_156
; %bb.155:                              ;   in Loop: Header=BB0_12 Depth=1
	v_mad_u64_u32 v[2:3], s[0:1], v126, s25, v[48:49]
	scratch_load_dword v3, off, off offset:52 ; 4-byte Folded Reload
	v_add_u32_e32 v1, 0x480, v73
	ds_read_b32 v1, v1 offset:132
	v_lshl_or_b32 v2, v2, 5, v26
	s_waitcnt vmcnt(0)
	ds_read_b32 v4, v3
	v_ashrrev_i32_e32 v3, 31, v2
	v_lshl_add_u64 v[2:3], v[2:3], 3, s[68:69]
	s_waitcnt lgkmcnt(0)
	v_cvt_f32_f16_sdwa v5, v4 dst_sel:DWORD dst_unused:UNUSED_PAD src0_sel:WORD_1
	v_cvt_f32_f16_e32 v4, v4
	v_pk_add_f32 v[4:5], v[4:5], 0 op_sel_hi:[1,0]
	s_nop 0
	v_div_scale_f32 v6, s[0:1], v1, v1, v5
	v_rcp_f32_e32 v7, v6
	s_nop 0
	v_fma_f32 v8, -v6, v7, 1.0
	v_fmac_f32_e32 v7, v8, v7
	v_div_scale_f32 v8, vcc, v5, v1, v5
	v_mul_f32_e32 v9, v8, v7
	v_fma_f32 v10, -v6, v9, v8
	v_fmac_f32_e32 v9, v10, v7
	v_fma_f32 v6, -v6, v9, v8
	v_div_fmas_f32 v6, v6, v7, v9
	v_div_fixup_f32 v5, v6, v1, v5
	v_div_scale_f32 v6, s[0:1], v1, v1, v4
	v_rcp_f32_e32 v7, v6
	s_nop 0
	v_fma_f32 v8, -v6, v7, 1.0
	v_fmac_f32_e32 v7, v8, v7
	v_div_scale_f32 v8, vcc, v4, v1, v4
	v_mul_f32_e32 v9, v8, v7
	v_fma_f32 v10, -v6, v9, v8
	v_fmac_f32_e32 v9, v10, v7
	v_fma_f32 v6, -v6, v9, v8
	v_div_fmas_f32 v6, v6, v7, v9
	v_div_fixup_f32 v4, v6, v1, v4
	v_mov_b32_e32 v1, 0
	global_store_dwordx2 v[2:3], v[4:5], off
.LBB0_156:                              ;   in Loop: Header=BB0_12 Depth=1
	s_or_b64 exec, exec, s[72:73]
	v_cmp_gt_i32_e32 vcc, 50, v1
	s_mov_b64 s[76:77], -1
	s_and_saveexec_b64 s[72:73], vcc
; %bb.157:                              ;   in Loop: Header=BB0_12 Depth=1
	v_cmp_eq_u32_e32 vcc, 0, v1
	s_orn2_b64 s[76:77], vcc, exec
; %bb.158:                              ;   in Loop: Header=BB0_12 Depth=1
	s_or_b64 exec, exec, s[72:73]
	s_mov_b64 s[74:75], s[6:7]
                                        ; implicit-def: $vgpr4_vgpr5
                                        ; implicit-def: $vgpr2
	s_and_saveexec_b64 s[72:73], s[76:77]
	s_cbranch_execz .LBB0_192
; %bb.159:                              ;   in Loop: Header=BB0_12 Depth=1
	v_mov_b32_e32 v1, 50
	s_and_saveexec_b64 s[74:75], s[86:87]
	s_cbranch_execz .LBB0_161
; %bb.160:                              ;   in Loop: Header=BB0_12 Depth=1
	v_mad_u64_u32 v[2:3], s[0:1], v104, s25, v[48:49]
	scratch_load_dword v1, off, off offset:60 ; 4-byte Folded Reload
	scratch_load_dword v3, off, off offset:64 ; 4-byte Folded Reload
	v_lshl_or_b32 v2, v2, 5, v26
	s_waitcnt vmcnt(1)
	ds_read_b32 v1, v1 offset:132
	s_waitcnt vmcnt(0)
	ds_read_b32 v4, v3
	v_ashrrev_i32_e32 v3, 31, v2
	v_lshl_add_u64 v[2:3], v[2:3], 3, s[68:69]
	s_waitcnt lgkmcnt(0)
	v_cvt_f32_f16_sdwa v5, v4 dst_sel:DWORD dst_unused:UNUSED_PAD src0_sel:WORD_1
	v_cvt_f32_f16_e32 v4, v4
	v_pk_add_f32 v[4:5], v[4:5], 0 op_sel_hi:[1,0]
	s_nop 0
	v_div_scale_f32 v6, s[0:1], v1, v1, v5
	v_rcp_f32_e32 v7, v6
	s_nop 0
	v_fma_f32 v8, -v6, v7, 1.0
	v_fmac_f32_e32 v7, v8, v7
	v_div_scale_f32 v8, vcc, v5, v1, v5
	v_mul_f32_e32 v9, v8, v7
	v_fma_f32 v10, -v6, v9, v8
	v_fmac_f32_e32 v9, v10, v7
	v_fma_f32 v6, -v6, v9, v8
	v_div_fmas_f32 v6, v6, v7, v9
	v_div_fixup_f32 v5, v6, v1, v5
	v_div_scale_f32 v6, s[0:1], v1, v1, v4
	v_rcp_f32_e32 v7, v6
	s_nop 0
	v_fma_f32 v8, -v6, v7, 1.0
	v_fmac_f32_e32 v7, v8, v7
	v_div_scale_f32 v8, vcc, v4, v1, v4
	v_mul_f32_e32 v9, v8, v7
	v_fma_f32 v10, -v6, v9, v8
	v_fmac_f32_e32 v9, v10, v7
	v_fma_f32 v6, -v6, v9, v8
	v_div_fmas_f32 v6, v6, v7, v9
	v_div_fixup_f32 v4, v6, v1, v4
	v_mov_b32_e32 v1, 0
	global_store_dwordx2 v[2:3], v[4:5], off
.LBB0_161:                              ;   in Loop: Header=BB0_12 Depth=1
	s_or_b64 exec, exec, s[74:75]
	v_cmp_gt_i32_e32 vcc, 50, v1
	s_mov_b64 s[86:87], -1
	s_and_saveexec_b64 s[74:75], vcc
; %bb.162:                              ;   in Loop: Header=BB0_12 Depth=1
	v_cmp_eq_u32_e32 vcc, 0, v1
	s_orn2_b64 s[86:87], vcc, exec
; %bb.163:                              ;   in Loop: Header=BB0_12 Depth=1
	s_or_b64 exec, exec, s[74:75]
	s_mov_b64 s[76:77], s[6:7]
                                        ; implicit-def: $vgpr4_vgpr5
                                        ; implicit-def: $vgpr2
	s_and_saveexec_b64 s[74:75], s[86:87]
	s_cbranch_execz .LBB0_191
; %bb.164:                              ;   in Loop: Header=BB0_12 Depth=1
	v_mov_b32_e32 v1, 50
	s_and_saveexec_b64 s[76:77], s[84:85]
	s_cbranch_execz .LBB0_166
; %bb.165:                              ;   in Loop: Header=BB0_12 Depth=1
	v_mad_u64_u32 v[2:3], s[0:1], v125, s25, v[48:49]
	scratch_load_dword v3, off, off offset:68 ; 4-byte Folded Reload
	v_add_u32_e32 v1, 0xd80, v73
	ds_read_b32 v1, v1 offset:132
	v_lshl_or_b32 v2, v2, 5, v26
	s_waitcnt vmcnt(0)
	ds_read_b32 v4, v3
	v_ashrrev_i32_e32 v3, 31, v2
	v_lshl_add_u64 v[2:3], v[2:3], 3, s[68:69]
	s_waitcnt lgkmcnt(0)
	v_cvt_f32_f16_sdwa v5, v4 dst_sel:DWORD dst_unused:UNUSED_PAD src0_sel:WORD_1
	v_cvt_f32_f16_e32 v4, v4
	v_pk_add_f32 v[4:5], v[4:5], 0 op_sel_hi:[1,0]
	s_nop 0
	v_div_scale_f32 v6, s[0:1], v1, v1, v5
	v_rcp_f32_e32 v7, v6
	s_nop 0
	v_fma_f32 v8, -v6, v7, 1.0
	v_fmac_f32_e32 v7, v8, v7
	v_div_scale_f32 v8, vcc, v5, v1, v5
	v_mul_f32_e32 v9, v8, v7
	v_fma_f32 v10, -v6, v9, v8
	v_fmac_f32_e32 v9, v10, v7
	v_fma_f32 v6, -v6, v9, v8
	v_div_fmas_f32 v6, v6, v7, v9
	v_div_fixup_f32 v5, v6, v1, v5
	v_div_scale_f32 v6, s[0:1], v1, v1, v4
	v_rcp_f32_e32 v7, v6
	s_nop 0
	v_fma_f32 v8, -v6, v7, 1.0
	v_fmac_f32_e32 v7, v8, v7
	v_div_scale_f32 v8, vcc, v4, v1, v4
	v_mul_f32_e32 v9, v8, v7
	v_fma_f32 v10, -v6, v9, v8
	v_fmac_f32_e32 v9, v10, v7
	v_fma_f32 v6, -v6, v9, v8
	v_div_fmas_f32 v6, v6, v7, v9
	v_div_fixup_f32 v4, v6, v1, v4
	v_mov_b32_e32 v1, 0
	global_store_dwordx2 v[2:3], v[4:5], off
.LBB0_166:                              ;   in Loop: Header=BB0_12 Depth=1
	s_or_b64 exec, exec, s[76:77]
	v_cmp_gt_i32_e32 vcc, 50, v1
	s_mov_b64 s[86:87], -1
	s_and_saveexec_b64 s[76:77], vcc
; %bb.167:                              ;   in Loop: Header=BB0_12 Depth=1
	v_cmp_eq_u32_e32 vcc, 0, v1
	s_orn2_b64 s[86:87], vcc, exec
; %bb.168:                              ;   in Loop: Header=BB0_12 Depth=1
	s_or_b64 exec, exec, s[76:77]
	s_mov_b64 s[84:85], s[6:7]
                                        ; implicit-def: $vgpr4_vgpr5
                                        ; implicit-def: $vgpr2
	s_and_saveexec_b64 s[76:77], s[86:87]
	s_cbranch_execz .LBB0_190
; %bb.169:                              ;   in Loop: Header=BB0_12 Depth=1
	v_mov_b32_e32 v1, 50
	s_and_saveexec_b64 s[84:85], s[82:83]
	s_cbranch_execz .LBB0_171
; %bb.170:                              ;   in Loop: Header=BB0_12 Depth=1
	v_mad_u64_u32 v[2:3], s[0:1], v124, s25, v[48:49]
	scratch_load_dword v1, off, off offset:76 ; 4-byte Folded Reload
	scratch_load_dword v3, off, off offset:80 ; 4-byte Folded Reload
	v_lshl_or_b32 v2, v2, 5, v26
	s_waitcnt vmcnt(1)
	ds_read_b32 v1, v1 offset:132
	s_waitcnt vmcnt(0)
	ds_read_b32 v4, v3
	v_ashrrev_i32_e32 v3, 31, v2
	v_lshl_add_u64 v[2:3], v[2:3], 3, s[68:69]
	s_waitcnt lgkmcnt(0)
	v_cvt_f32_f16_sdwa v5, v4 dst_sel:DWORD dst_unused:UNUSED_PAD src0_sel:WORD_1
	v_cvt_f32_f16_e32 v4, v4
	v_pk_add_f32 v[4:5], v[4:5], 0 op_sel_hi:[1,0]
	s_nop 0
	v_div_scale_f32 v6, s[0:1], v1, v1, v5
	v_rcp_f32_e32 v7, v6
	s_nop 0
	v_fma_f32 v8, -v6, v7, 1.0
	v_fmac_f32_e32 v7, v8, v7
	v_div_scale_f32 v8, vcc, v5, v1, v5
	v_mul_f32_e32 v9, v8, v7
	v_fma_f32 v10, -v6, v9, v8
	v_fmac_f32_e32 v9, v10, v7
	v_fma_f32 v6, -v6, v9, v8
	v_div_fmas_f32 v6, v6, v7, v9
	v_div_fixup_f32 v5, v6, v1, v5
	v_div_scale_f32 v6, s[0:1], v1, v1, v4
	v_rcp_f32_e32 v7, v6
	s_nop 0
	v_fma_f32 v8, -v6, v7, 1.0
	v_fmac_f32_e32 v7, v8, v7
	v_div_scale_f32 v8, vcc, v4, v1, v4
	v_mul_f32_e32 v9, v8, v7
	v_fma_f32 v10, -v6, v9, v8
	v_fmac_f32_e32 v9, v10, v7
	v_fma_f32 v6, -v6, v9, v8
	v_div_fmas_f32 v6, v6, v7, v9
	v_div_fixup_f32 v4, v6, v1, v4
	v_mov_b32_e32 v1, 0
	global_store_dwordx2 v[2:3], v[4:5], off
.LBB0_171:                              ;   in Loop: Header=BB0_12 Depth=1
	s_or_b64 exec, exec, s[84:85]
	v_cmp_gt_i32_e32 vcc, 50, v1
	s_mov_b64 s[86:87], -1
	s_and_saveexec_b64 s[82:83], vcc
; %bb.172:                              ;   in Loop: Header=BB0_12 Depth=1
	v_cmp_eq_u32_e32 vcc, 0, v1
	s_orn2_b64 s[86:87], vcc, exec
; %bb.173:                              ;   in Loop: Header=BB0_12 Depth=1
	s_or_b64 exec, exec, s[82:83]
	s_mov_b64 s[84:85], s[6:7]
                                        ; implicit-def: $vgpr4_vgpr5
                                        ; implicit-def: $vgpr2
	s_and_saveexec_b64 s[82:83], s[86:87]
	s_cbranch_execz .LBB0_189
; %bb.174:                              ;   in Loop: Header=BB0_12 Depth=1
	v_mov_b32_e32 v1, 50
	s_and_saveexec_b64 s[84:85], s[80:81]
	s_cbranch_execz .LBB0_176
; %bb.175:                              ;   in Loop: Header=BB0_12 Depth=1
	v_mad_u64_u32 v[2:3], s[0:1], v123, s25, v[48:49]
	scratch_load_dword v3, off, off offset:84 ; 4-byte Folded Reload
	v_add_u32_e32 v1, 0x1680, v73
	ds_read_b32 v1, v1 offset:132
	v_lshl_or_b32 v2, v2, 5, v26
	s_waitcnt vmcnt(0)
	ds_read_b32 v4, v3
	v_ashrrev_i32_e32 v3, 31, v2
	v_lshl_add_u64 v[2:3], v[2:3], 3, s[68:69]
	s_waitcnt lgkmcnt(0)
	v_cvt_f32_f16_sdwa v5, v4 dst_sel:DWORD dst_unused:UNUSED_PAD src0_sel:WORD_1
	v_cvt_f32_f16_e32 v4, v4
	v_pk_add_f32 v[4:5], v[4:5], 0 op_sel_hi:[1,0]
	s_nop 0
	v_div_scale_f32 v6, s[0:1], v1, v1, v5
	v_rcp_f32_e32 v7, v6
	s_nop 0
	v_fma_f32 v8, -v6, v7, 1.0
	v_fmac_f32_e32 v7, v8, v7
	v_div_scale_f32 v8, vcc, v5, v1, v5
	v_mul_f32_e32 v9, v8, v7
	v_fma_f32 v10, -v6, v9, v8
	v_fmac_f32_e32 v9, v10, v7
	v_fma_f32 v6, -v6, v9, v8
	v_div_fmas_f32 v6, v6, v7, v9
	v_div_fixup_f32 v5, v6, v1, v5
	v_div_scale_f32 v6, s[0:1], v1, v1, v4
	v_rcp_f32_e32 v7, v6
	s_nop 0
	v_fma_f32 v8, -v6, v7, 1.0
	v_fmac_f32_e32 v7, v8, v7
	v_div_scale_f32 v8, vcc, v4, v1, v4
	v_mul_f32_e32 v9, v8, v7
	v_fma_f32 v10, -v6, v9, v8
	v_fmac_f32_e32 v9, v10, v7
	v_fma_f32 v6, -v6, v9, v8
	v_div_fmas_f32 v6, v6, v7, v9
	v_div_fixup_f32 v4, v6, v1, v4
	v_mov_b32_e32 v1, 0
	global_store_dwordx2 v[2:3], v[4:5], off
.LBB0_176:                              ;   in Loop: Header=BB0_12 Depth=1
	s_or_b64 exec, exec, s[84:85]
	v_cmp_gt_i32_e32 vcc, 50, v1
	s_mov_b64 s[86:87], -1
	s_and_saveexec_b64 s[80:81], vcc
; %bb.177:                              ;   in Loop: Header=BB0_12 Depth=1
	v_cmp_eq_u32_e32 vcc, 0, v1
	s_orn2_b64 s[86:87], vcc, exec
; %bb.178:                              ;   in Loop: Header=BB0_12 Depth=1
	s_or_b64 exec, exec, s[80:81]
	s_mov_b64 s[84:85], s[6:7]
                                        ; implicit-def: $vgpr4_vgpr5
                                        ; implicit-def: $vgpr2
	s_and_saveexec_b64 s[80:81], s[86:87]
	s_cbranch_execz .LBB0_188
; %bb.179:                              ;   in Loop: Header=BB0_12 Depth=1
	v_mov_b32_e32 v1, 50
	s_and_saveexec_b64 s[84:85], s[78:79]
	s_cbranch_execz .LBB0_181
; %bb.180:                              ;   in Loop: Header=BB0_12 Depth=1
	v_mad_u64_u32 v[2:3], s[0:1], v122, s25, v[48:49]
	scratch_load_dword v1, off, off offset:92 ; 4-byte Folded Reload
	scratch_load_dword v3, off, off offset:96 ; 4-byte Folded Reload
	v_lshl_or_b32 v2, v2, 5, v26
	s_waitcnt vmcnt(1)
	ds_read_b32 v1, v1 offset:132
	s_waitcnt vmcnt(0)
	ds_read_b32 v4, v3
	v_ashrrev_i32_e32 v3, 31, v2
	v_lshl_add_u64 v[2:3], v[2:3], 3, s[68:69]
	s_waitcnt lgkmcnt(0)
	v_cvt_f32_f16_sdwa v5, v4 dst_sel:DWORD dst_unused:UNUSED_PAD src0_sel:WORD_1
	v_cvt_f32_f16_e32 v4, v4
	v_pk_add_f32 v[4:5], v[4:5], 0 op_sel_hi:[1,0]
	s_nop 0
	v_div_scale_f32 v6, s[0:1], v1, v1, v5
	v_rcp_f32_e32 v7, v6
	s_nop 0
	v_fma_f32 v8, -v6, v7, 1.0
	v_fmac_f32_e32 v7, v8, v7
	v_div_scale_f32 v8, vcc, v5, v1, v5
	v_mul_f32_e32 v9, v8, v7
	v_fma_f32 v10, -v6, v9, v8
	v_fmac_f32_e32 v9, v10, v7
	v_fma_f32 v6, -v6, v9, v8
	v_div_fmas_f32 v6, v6, v7, v9
	v_div_fixup_f32 v5, v6, v1, v5
	v_div_scale_f32 v6, s[0:1], v1, v1, v4
	v_rcp_f32_e32 v7, v6
	s_nop 0
	v_fma_f32 v8, -v6, v7, 1.0
	v_fmac_f32_e32 v7, v8, v7
	v_div_scale_f32 v8, vcc, v4, v1, v4
	v_mul_f32_e32 v9, v8, v7
	v_fma_f32 v10, -v6, v9, v8
	v_fmac_f32_e32 v9, v10, v7
	v_fma_f32 v6, -v6, v9, v8
	v_div_fmas_f32 v6, v6, v7, v9
	v_div_fixup_f32 v4, v6, v1, v4
	v_mov_b32_e32 v1, 0
	global_store_dwordx2 v[2:3], v[4:5], off
.LBB0_181:                              ;   in Loop: Header=BB0_12 Depth=1
	s_or_b64 exec, exec, s[84:85]
	v_cmp_gt_i32_e32 vcc, 50, v1
	s_mov_b64 s[86:87], -1
	s_and_saveexec_b64 s[78:79], vcc
; %bb.182:                              ;   in Loop: Header=BB0_12 Depth=1
	v_cmp_eq_u32_e32 vcc, 0, v1
	s_orn2_b64 s[86:87], vcc, exec
; %bb.183:                              ;   in Loop: Header=BB0_12 Depth=1
	s_or_b64 exec, exec, s[78:79]
	s_mov_b64 s[84:85], s[6:7]
                                        ; implicit-def: $vgpr4_vgpr5
                                        ; implicit-def: $vgpr2
	s_and_saveexec_b64 s[78:79], s[86:87]
	s_cbranch_execz .LBB0_187
; %bb.184:                              ;   in Loop: Header=BB0_12 Depth=1
	s_mov_b64 s[86:87], s[6:7]
                                        ; implicit-def: $vgpr4_vgpr5
                                        ; implicit-def: $vgpr2
	s_and_saveexec_b64 s[84:85], s[4:5]
	s_cbranch_execz .LBB0_186
; %bb.185:                              ;   in Loop: Header=BB0_12 Depth=1
	v_mad_u64_u32 v[2:3], s[0:1], v51, s25, v[48:49]
	scratch_load_dword v3, off, off offset:100 ; 4-byte Folded Reload
	v_add_u32_e32 v1, 0x1f80, v73
	ds_read_b32 v1, v1 offset:132
	s_or_b64 s[86:87], s[6:7], exec
	s_waitcnt vmcnt(0)
	ds_read_b32 v3, v3
	s_waitcnt lgkmcnt(0)
	v_cvt_f32_f16_sdwa v5, v3 dst_sel:DWORD dst_unused:UNUSED_PAD src0_sel:WORD_1
	v_cvt_f32_f16_e32 v4, v3
	v_pk_add_f32 v[4:5], v[4:5], 0 op_sel_hi:[1,0]
	s_nop 0
	v_div_scale_f32 v3, s[0:1], v1, v1, v5
	v_rcp_f32_e32 v6, v3
	s_nop 0
	v_fma_f32 v7, -v3, v6, 1.0
	v_fmac_f32_e32 v6, v7, v6
	v_div_scale_f32 v7, vcc, v5, v1, v5
	v_mul_f32_e32 v8, v7, v6
	v_fma_f32 v9, -v3, v8, v7
	v_fmac_f32_e32 v8, v9, v6
	v_fma_f32 v3, -v3, v8, v7
	v_div_fmas_f32 v3, v3, v6, v8
	v_div_fixup_f32 v5, v3, v1, v5
	v_div_scale_f32 v3, s[0:1], v1, v1, v4
	v_rcp_f32_e32 v6, v3
	s_nop 0
	v_fma_f32 v7, -v3, v6, 1.0
	v_fmac_f32_e32 v6, v7, v6
	v_div_scale_f32 v7, vcc, v4, v1, v4
	v_mul_f32_e32 v8, v7, v6
	v_fma_f32 v9, -v3, v8, v7
	v_fmac_f32_e32 v8, v9, v6
	v_fma_f32 v3, -v3, v8, v7
	v_div_fmas_f32 v3, v3, v6, v8
	v_div_fixup_f32 v4, v3, v1, v4
.LBB0_186:                              ;   in Loop: Header=BB0_12 Depth=1
	s_or_b64 exec, exec, s[84:85]
	s_andn2_b64 s[0:1], s[6:7], exec
	s_and_b64 s[4:5], s[86:87], exec
	s_or_b64 s[84:85], s[0:1], s[4:5]
.LBB0_187:                              ;   in Loop: Header=BB0_12 Depth=1
	s_or_b64 exec, exec, s[78:79]
	s_andn2_b64 s[0:1], s[6:7], exec
	s_and_b64 s[4:5], s[84:85], exec
	s_or_b64 s[84:85], s[0:1], s[4:5]
.LBB0_188:                              ;   in Loop: Header=BB0_12 Depth=1
	s_or_b64 exec, exec, s[80:81]
	s_andn2_b64 s[0:1], s[6:7], exec
	s_and_b64 s[4:5], s[84:85], exec
	s_or_b64 s[84:85], s[0:1], s[4:5]
.LBB0_189:                              ;   in Loop: Header=BB0_12 Depth=1
	s_or_b64 exec, exec, s[82:83]
	s_andn2_b64 s[0:1], s[6:7], exec
	s_and_b64 s[4:5], s[84:85], exec
	s_or_b64 s[84:85], s[0:1], s[4:5]
.LBB0_190:                              ;   in Loop: Header=BB0_12 Depth=1
	s_or_b64 exec, exec, s[76:77]
	s_andn2_b64 s[0:1], s[6:7], exec
	s_and_b64 s[4:5], s[84:85], exec
	s_or_b64 s[76:77], s[0:1], s[4:5]
.LBB0_191:                              ;   in Loop: Header=BB0_12 Depth=1
	s_or_b64 exec, exec, s[74:75]
	s_andn2_b64 s[0:1], s[6:7], exec
	s_and_b64 s[4:5], s[76:77], exec
	s_or_b64 s[74:75], s[0:1], s[4:5]
.LBB0_192:                              ;   in Loop: Header=BB0_12 Depth=1
	s_or_b64 exec, exec, s[72:73]
	s_andn2_b64 s[0:1], s[6:7], exec
	s_and_b64 s[4:5], s[74:75], exec
	s_or_b64 s[6:7], s[0:1], s[4:5]
.LBB0_193:                              ;   in Loop: Header=BB0_12 Depth=1
	s_or_b64 exec, exec, s[70:71]
	s_and_saveexec_b64 s[4:5], s[6:7]
	s_cbranch_execz .LBB0_11
.LBB0_194:                              ;   in Loop: Header=BB0_12 Depth=1
	v_lshl_or_b32 v2, v2, 5, v26
	v_ashrrev_i32_e32 v3, 31, v2
	v_lshl_add_u64 v[2:3], v[2:3], 3, s[68:69]
	global_store_dwordx2 v[2:3], v[4:5], off
	s_branch .LBB0_11
.LBB0_195:
	v_writelane_b32 v127, s38, 12
	s_nop 1
	v_writelane_b32 v127, s39, 13
.LBB0_196:
	s_andn2_b64 vcc, exec, s[4:5]
	s_cbranch_vccnz .LBB0_241
; %bb.197:
	v_readlane_b32 s6, v127, 3
	s_abs_i32 s0, s6
	v_cvt_f32_u32_e32 v1, s0
	s_sub_i32 s3, 0, s0
	s_abs_i32 s2, s50
	s_xor_b32 s1, s50, s6
	v_rcp_iflag_f32_e32 v1, v1
	s_ashr_i32 s1, s1, 31
	v_readlane_b32 s16, v127, 2
	v_readlane_b32 s17, v127, 1
	v_mul_f32_e32 v1, 0x4f7ffffe, v1
	v_cvt_u32_f32_e32 v1, v1
	v_mov_b32_e32 v8, s30
	v_readfirstlane_b32 s4, v1
	s_mul_i32 s3, s3, s4
	s_mul_hi_u32 s3, s4, s3
	s_add_i32 s4, s4, s3
	s_mul_hi_u32 s3, s2, s4
	s_mul_i32 s4, s3, s0
	s_sub_i32 s2, s2, s4
	s_add_i32 s5, s3, 1
	s_sub_i32 s4, s2, s0
	s_cmp_ge_u32 s2, s0
	s_cselect_b32 s3, s5, s3
	s_cselect_b32 s2, s4, s2
	s_add_i32 s4, s3, 1
	s_cmp_ge_u32 s2, s0
	s_cselect_b32 s0, s4, s3
	s_abs_i32 s3, s16
	v_cvt_f32_u32_e32 v1, s3
	s_xor_b32 s0, s0, s1
	s_sub_i32 s2, s0, s1
	s_sub_i32 s4, 0, s3
	v_rcp_iflag_f32_e32 v1, v1
	s_mul_i32 s0, s2, s6
	s_sub_i32 s0, s50, s0
	s_abs_i32 s5, s0
	v_mul_f32_e32 v1, 0x4f7ffffe, v1
	v_cvt_u32_f32_e32 v1, v1
	s_xor_b32 s1, s0, s16
	s_ashr_i32 s1, s1, 31
	v_readfirstlane_b32 s6, v1
	s_mul_i32 s4, s4, s6
	s_mul_hi_u32 s4, s6, s4
	s_add_i32 s6, s6, s4
	s_mul_hi_u32 s4, s5, s6
	s_mul_i32 s6, s4, s3
	s_sub_i32 s5, s5, s6
	s_add_i32 s7, s4, 1
	s_sub_i32 s6, s5, s3
	s_cmp_ge_u32 s5, s3
	s_cselect_b32 s4, s7, s4
	s_cselect_b32 s5, s6, s5
	s_add_i32 s6, s4, 1
	s_cmp_ge_u32 s5, s3
	s_cselect_b32 s3, s6, s4
	s_abs_i32 s4, s17
	v_cvt_f32_u32_e32 v1, s4
	s_xor_b32 s3, s3, s1
	s_sub_i32 s5, 0, s4
	s_sub_i32 s3, s3, s1
	v_rcp_iflag_f32_e32 v1, v1
	s_mul_i32 s1, s3, s16
	s_sub_i32 s1, s0, s1
	s_abs_i32 s6, s1
	v_mul_f32_e32 v1, 0x4f7ffffe, v1
	v_cvt_u32_f32_e32 v1, v1
	s_xor_b32 s0, s1, s17
	s_ashr_i32 s0, s0, 31
	v_readfirstlane_b32 s7, v1
	s_mul_i32 s5, s5, s7
	s_mul_hi_u32 s5, s7, s5
	s_add_i32 s7, s7, s5
	s_mul_hi_u32 s5, s6, s7
	s_mul_i32 s7, s5, s4
	s_sub_i32 s6, s6, s7
	s_add_i32 s16, s5, 1
	s_sub_i32 s7, s6, s4
	s_cmp_ge_u32 s6, s4
	s_cselect_b32 s5, s16, s5
	s_cselect_b32 s6, s7, s6
	s_add_i32 s7, s5, 1
	s_cmp_ge_u32 s6, s4
	s_cselect_b32 s4, s7, s5
	s_xor_b32 s4, s4, s0
	s_sub_i32 s0, s4, s0
	s_mul_i32 s4, s0, s17
	s_sub_i32 s1, s1, s4
	s_ashr_i32 s4, s1, 31
	v_readlane_b32 s5, v127, 10
	s_abs_i32 s1, s1
	s_xor_b32 s4, s4, s5
	s_mul_hi_u32 s5, s1, s93
	s_mul_i32 s6, s5, s53
	s_sub_i32 s1, s1, s6
	s_add_i32 s6, s5, 1
	s_sub_i32 s7, s1, s53
	s_cmp_ge_u32 s1, s53
	s_cselect_b32 s5, s6, s5
	s_cselect_b32 s1, s7, s1
	s_add_i32 s6, s5, 1
	s_cmp_ge_u32 s1, s53
	s_cselect_b32 s1, s6, s5
	s_abs_i32 s16, s92
	v_cvt_f32_u32_e32 v1, s16
	s_xor_b32 s1, s1, s4
	s_sub_i32 s1, s1, s4
	s_cmp_eq_u64 s[18:19], 0
	v_rcp_iflag_f32_e32 v1, v1
	s_nop 0
	v_mul_f32_e32 v1, 0x4f7ffffe, v1
	v_cvt_u32_f32_e32 v1, v1
	s_nop 0
	v_readfirstlane_b32 s17, v1
	s_cbranch_scc1 .LBB0_199
; %bb.198:
	v_readlane_b32 s4, v127, 0
	s_mul_i32 s4, s2, s4
	s_add_i32 s4, s1, s4
	s_ashr_i32 s5, s4, 31
	s_lshl_b64 s[4:5], s[4:5], 2
	s_add_u32 s4, s18, s4
	s_addc_u32 s5, s19, s5
	v_mov_b32_e32 v1, 0
	global_load_dword v1, v1, s[4:5]
	s_waitcnt vmcnt(0)
	v_ashrrev_i32_e32 v2, 31, v1
	v_lshrrev_b32_e32 v2, 26, v2
	v_add_u32_e32 v1, v1, v2
	v_ashrrev_i32_e32 v1, 6, v1
	v_min_i32_e32 v8, s30, v1
.LBB0_199:
	s_mul_i32 s4, s3, s33
	s_lshl_b32 s5, s0, 3
	s_add_i32 s0, s5, s4
	s_mul_i32 s4, s2, s49
	s_ashr_i32 s6, s4, 31
	s_add_u32 s4, s8, s4
	s_mul_i32 s0, s0, s48
	s_addc_u32 s7, s9, s6
	s_ashr_i32 s8, s0, 31
	s_add_u32 s6, s4, s0
	s_addc_u32 s7, s7, s8
	s_lshl_b32 s8, s1, 3
	v_lshrrev_b32_e32 v2, 3, v27
	v_and_b32_e32 v1, 7, v27
	v_add_u32_e32 v3, s8, v2
	v_or_b32_e32 v2, s5, v1
	v_cmp_le_i32_e64 s[0:1], s24, v3
	v_cmp_le_i32_e64 s[4:5], s33, v2
	s_mov_b32 s9, 0x10001
	v_lshl_add_u32 v48, v26, 2, 0
	v_cmp_gt_i32_e32 vcc, s33, v2
	s_or_b64 s[0:1], s[0:1], s[4:5]
	s_and_saveexec_b64 s[4:5], s[0:1]
	s_xor_b64 s[0:1], exec, s[4:5]
; %bb.200:
	s_movk_i32 s4, 0x90
	v_mad_u32_u24 v2, v27, s4, v48
	v_mov_b32_e32 v3, 0
	ds_write_b32 v2, v3
                                        ; implicit-def: $vgpr3
; %bb.201:
	s_or_saveexec_b64 s[0:1], s[0:1]
	v_readlane_b32 s4, v127, 12
	v_mul_lo_u32 v2, v109, s9
	v_readlane_b32 s25, v127, 6
	s_mov_b32 s30, s4
	v_readlane_b32 s27, v127, 11
	v_readlane_b32 s5, v127, 13
	s_xor_b64 exec, exec, s[0:1]
	s_cbranch_execz .LBB0_203
; %bb.202:
	v_mul_lo_u32 v3, v3, s51
	v_mul_lo_u32 v4, v1, s27
	v_add3_u32 v4, v4, v26, v3
	v_ashrrev_i32_e32 v5, 31, v4
	v_lshl_add_u64 v[4:5], v[4:5], 3, s[6:7]
	global_load_dwordx2 v[4:5], v[4:5], off
	s_movk_i32 s4, 0x90
	s_waitcnt vmcnt(0)
	v_cvt_pk_f16_f32 v3, v4, v5
	v_pk_mul_f16 v3, v3, v2
	v_mad_u32_u24 v4, v27, s4, v48
	ds_write_b32 v4, v3
.LBB0_203:
	s_or_b64 exec, exec, s[0:1]
	v_add_u32_e32 v49, 8, v27
	v_lshrrev_b32_e32 v3, 3, v49
	v_add_u32_e32 v3, s8, v3
	v_cmp_le_i32_e64 s[0:1], s24, v3
	s_xor_b64 s[4:5], vcc, -1
	s_or_b64 s[0:1], s[0:1], s[4:5]
	s_and_saveexec_b64 s[18:19], s[0:1]
	s_xor_b64 s[0:1], exec, s[18:19]
; %bb.204:
	s_movk_i32 s9, 0x90
	v_mad_u32_u24 v3, v49, s9, v48
	v_mov_b32_e32 v4, 0
	ds_write_b32 v3, v4
                                        ; implicit-def: $vgpr3
; %bb.205:
	s_andn2_saveexec_b64 s[0:1], s[0:1]
	s_cbranch_execz .LBB0_207
; %bb.206:
	v_mul_lo_u32 v3, v3, s51
	v_mul_lo_u32 v4, v1, s27
	v_add3_u32 v4, v4, v26, v3
	v_ashrrev_i32_e32 v5, 31, v4
	v_lshl_add_u64 v[4:5], v[4:5], 3, s[6:7]
	global_load_dwordx2 v[4:5], v[4:5], off
	s_movk_i32 s9, 0x90
	s_waitcnt vmcnt(0)
	v_cvt_pk_f16_f32 v3, v4, v5
	v_pk_mul_f16 v3, v3, v2
	v_mad_u32_u24 v4, v49, s9, v48
	ds_write_b32 v4, v3
.LBB0_207:
	s_or_b64 exec, exec, s[0:1]
	v_add_u32_e32 v50, 16, v27
	v_lshrrev_b32_e32 v3, 3, v50
	v_add_u32_e32 v3, s8, v3
	v_cmp_le_i32_e32 vcc, s24, v3
	s_or_b64 s[0:1], vcc, s[4:5]
	s_and_saveexec_b64 s[18:19], s[0:1]
	s_xor_b64 s[0:1], exec, s[18:19]
; %bb.208:
	s_movk_i32 s9, 0x90
	v_mad_u32_u24 v3, v50, s9, v48
	v_mov_b32_e32 v4, 0
	ds_write_b32 v3, v4
                                        ; implicit-def: $vgpr3
; %bb.209:
	s_andn2_saveexec_b64 s[0:1], s[0:1]
	s_cbranch_execz .LBB0_211
; %bb.210:
	v_mul_lo_u32 v3, v3, s51
	v_mul_lo_u32 v4, v1, s27
	v_add3_u32 v4, v4, v26, v3
	v_ashrrev_i32_e32 v5, 31, v4
	v_lshl_add_u64 v[4:5], v[4:5], 3, s[6:7]
	global_load_dwordx2 v[4:5], v[4:5], off
	s_movk_i32 s9, 0x90
	s_waitcnt vmcnt(0)
	v_cvt_pk_f16_f32 v3, v4, v5
	v_pk_mul_f16 v3, v3, v2
	v_mad_u32_u24 v4, v50, s9, v48
	ds_write_b32 v4, v3
.LBB0_211:
	s_or_b64 exec, exec, s[0:1]
	v_add_u32_e32 v51, 24, v27
	v_lshrrev_b32_e32 v3, 3, v51
	v_add_u32_e32 v3, s8, v3
	v_cmp_le_i32_e32 vcc, s24, v3
	s_or_b64 s[0:1], vcc, s[4:5]
	;; [unrolled: 31-line block ×3, first 2 shown]
	s_and_saveexec_b64 s[18:19], s[0:1]
	s_xor_b64 s[0:1], exec, s[18:19]
; %bb.216:
	s_movk_i32 s9, 0x90
	v_mad_u32_u24 v3, v52, s9, v48
	v_mov_b32_e32 v4, 0
	ds_write_b32 v3, v4
                                        ; implicit-def: $vgpr3
; %bb.217:
	s_andn2_saveexec_b64 s[0:1], s[0:1]
	s_cbranch_execz .LBB0_219
; %bb.218:
	v_mul_lo_u32 v3, v3, s51
	v_mul_lo_u32 v4, v1, s27
	v_add3_u32 v4, v4, v26, v3
	v_ashrrev_i32_e32 v5, 31, v4
	v_lshl_add_u64 v[4:5], v[4:5], 3, s[6:7]
	global_load_dwordx2 v[4:5], v[4:5], off
	s_movk_i32 s9, 0x90
	s_waitcnt vmcnt(0)
	v_cvt_pk_f16_f32 v3, v4, v5
	v_pk_mul_f16 v3, v3, v2
	v_mad_u32_u24 v4, v52, s9, v48
	ds_write_b32 v4, v3
.LBB0_219:
	s_or_b64 exec, exec, s[0:1]
	v_add_u32_e32 v53, 40, v27
	v_lshrrev_b32_e32 v3, 3, v53
	v_add_u32_e32 v3, s8, v3
	v_cmp_le_i32_e32 vcc, s24, v3
	s_sub_i32 s9, 0, s16
	s_or_b64 s[0:1], vcc, s[4:5]
	s_and_saveexec_b64 s[18:19], s[0:1]
	s_xor_b64 s[0:1], exec, s[18:19]
; %bb.220:
	s_movk_i32 s18, 0x90
	v_mad_u32_u24 v3, v53, s18, v48
	v_mov_b32_e32 v4, 0
	ds_write_b32 v3, v4
                                        ; implicit-def: $vgpr3
; %bb.221:
	s_or_saveexec_b64 s[0:1], s[0:1]
	s_mul_i32 s9, s9, s17
	s_xor_b64 exec, exec, s[0:1]
	s_cbranch_execz .LBB0_223
; %bb.222:
	v_mul_lo_u32 v3, v3, s51
	v_mul_lo_u32 v4, v1, s27
	v_add3_u32 v4, v4, v26, v3
	v_ashrrev_i32_e32 v5, 31, v4
	v_lshl_add_u64 v[4:5], v[4:5], 3, s[6:7]
	global_load_dwordx2 v[4:5], v[4:5], off
	s_movk_i32 s18, 0x90
	s_waitcnt vmcnt(0)
	v_cvt_pk_f16_f32 v3, v4, v5
	v_pk_mul_f16 v3, v3, v2
	v_mad_u32_u24 v4, v53, s18, v48
	ds_write_b32 v4, v3
.LBB0_223:
	s_or_b64 exec, exec, s[0:1]
	v_add_u32_e32 v54, 48, v27
	v_lshrrev_b32_e32 v3, 3, v54
	v_add_u32_e32 v3, s8, v3
	v_cmp_le_i32_e32 vcc, s24, v3
	s_mul_hi_u32 s18, s17, s9
	s_or_b64 s[0:1], vcc, s[4:5]
	s_and_saveexec_b64 s[20:21], s[0:1]
	s_xor_b64 s[0:1], exec, s[20:21]
; %bb.224:
	s_movk_i32 s9, 0x90
	v_mad_u32_u24 v3, v54, s9, v48
	v_mov_b32_e32 v4, 0
	ds_write_b32 v3, v4
                                        ; implicit-def: $vgpr3
; %bb.225:
	s_or_saveexec_b64 s[0:1], s[0:1]
	s_abs_i32 s9, s2
	s_add_i32 s17, s17, s18
	s_xor_b64 exec, exec, s[0:1]
	s_cbranch_execz .LBB0_227
; %bb.226:
	v_mul_lo_u32 v3, v3, s51
	v_mul_lo_u32 v4, v1, s27
	v_add3_u32 v4, v4, v26, v3
	v_ashrrev_i32_e32 v5, 31, v4
	v_lshl_add_u64 v[4:5], v[4:5], 3, s[6:7]
	global_load_dwordx2 v[4:5], v[4:5], off
	s_movk_i32 s18, 0x90
	s_waitcnt vmcnt(0)
	v_cvt_pk_f16_f32 v3, v4, v5
	v_pk_mul_f16 v3, v3, v2
	v_mad_u32_u24 v4, v54, s18, v48
	ds_write_b32 v4, v3
.LBB0_227:
	s_or_b64 exec, exec, s[0:1]
	v_add_u32_e32 v55, 56, v27
	v_lshrrev_b32_e32 v3, 3, v55
	v_add_u32_e32 v3, s8, v3
	v_cmp_le_i32_e32 vcc, s24, v3
	s_mul_hi_u32 s17, s9, s17
	s_or_b64 s[0:1], vcc, s[4:5]
	s_and_saveexec_b64 s[4:5], s[0:1]
	s_xor_b64 s[0:1], exec, s[4:5]
; %bb.228:
	s_movk_i32 s4, 0x90
	v_mad_u32_u24 v1, v55, s4, v48
	v_mov_b32_e32 v2, 0
	ds_write_b32 v1, v2
                                        ; implicit-def: $vgpr3
                                        ; implicit-def: $vgpr1
                                        ; implicit-def: $vgpr2
; %bb.229:
	s_or_saveexec_b64 s[0:1], s[0:1]
	s_ashr_i32 s18, s2, 31
	v_and_b32_e32 v56, 0x3ff, v0
	s_xor_b64 exec, exec, s[0:1]
	s_cbranch_execz .LBB0_231
; %bb.230:
	v_mul_lo_u32 v0, v3, s51
	v_mul_lo_u32 v1, v1, s27
	v_add3_u32 v0, v1, v26, v0
	v_ashrrev_i32_e32 v1, 31, v0
	v_lshl_add_u64 v[0:1], v[0:1], 3, s[6:7]
	global_load_dwordx2 v[0:1], v[0:1], off
	s_movk_i32 s4, 0x90
	s_waitcnt vmcnt(0)
	v_cvt_pk_f16_f32 v0, v0, v1
	v_pk_mul_f16 v0, v0, v2
	v_mad_u32_u24 v1, v55, s4, v48
	ds_write_b32 v1, v0
.LBB0_231:
	s_or_b64 exec, exec, s[0:1]
	s_mul_hi_u32 s0, s28, s2
	s_mul_i32 s1, s28, s18
	s_add_i32 s0, s0, s1
	s_mul_i32 s1, s29, s2
	v_readlane_b32 s4, v127, 8
	s_add_i32 s0, s0, s1
	s_mul_i32 s1, s28, s2
	v_readlane_b32 s5, v127, 9
	s_add_u32 s1, s10, s1
	s_mul_i32 s4, s3, s5
	s_addc_u32 s0, s11, s0
	s_ashr_i32 s5, s4, 31
	s_add_u32 s4, s1, s4
	s_mul_i32 s17, s17, s16
	s_addc_u32 s5, s0, s5
	s_sub_i32 s0, s9, s17
	s_sub_i32 s1, s0, s16
	s_cmp_ge_u32 s0, s16
	s_cselect_b32 s0, s1, s0
	s_sub_i32 s1, s0, s16
	s_cmp_ge_u32 s0, s16
	s_cselect_b32 s0, s1, s0
	s_xor_b32 s0, s0, s18
	s_sub_i32 s0, s0, s18
	s_ashr_i32 s1, s0, 31
	s_mul_i32 s1, s44, s1
	s_mul_hi_u32 s6, s44, s0
	s_add_i32 s1, s6, s1
	s_mul_i32 s6, s45, s0
	s_add_i32 s1, s1, s6
	s_mul_i32 s0, s44, s0
	s_add_u32 s6, s14, s0
	s_addc_u32 s7, s15, s1
	s_mul_hi_u32 s0, s42, s2
	s_mul_i32 s1, s42, s18
	s_add_i32 s0, s0, s1
	s_mul_i32 s1, s43, s2
	s_add_i32 s0, s0, s1
	s_mul_i32 s1, s42, s2
	s_add_u32 s1, s12, s1
	s_mul_i32 s3, s3, s31
	s_addc_u32 s2, s13, s0
	s_ashr_i32 s9, s3, 31
	s_add_u32 s0, s1, s3
	v_lshrrev_b32_e32 v12, 3, v56
	s_addc_u32 s1, s2, s9
	s_movk_i32 s2, 0x900
	v_and_b32_e32 v57, 15, v56
	v_and_b32_e32 v1, 0x7e, v12
	v_mad_u32_u24 v0, v47, s2, 0
	v_mul_u32_u24_e32 v68, 0x90, v57
	v_lshlrev_b32_e32 v58, 2, v1
	v_add3_u32 v0, v0, v68, v58
	v_add_u32_e32 v83, -1, v8
	v_add_u32_e32 v8, s8, v27
	s_waitcnt lgkmcnt(0)
	s_barrier
	ds_read2_b64 v[4:7], v0 offset1:4
	ds_read2_b64 v[0:3], v0 offset0:8 offset1:12
	v_mul_hi_u32 v9, s40, v8
	v_add_u32_e32 v9, v8, v9
	v_lshrrev_b32_e32 v9, s41, v9
	v_cmp_lt_i32_e32 vcc, s78, v83
	v_mul_lo_u32 v9, v9, s24
	s_movk_i32 s2, 0x90
	v_sub_u32_e32 v13, v8, v9
	s_waitcnt lgkmcnt(0)
	s_barrier
	s_cbranch_vccnz .LBB0_234
; %bb.232:
	v_lshlrev_b32_e32 v8, 1, v56
	v_lshlrev_b32_e32 v9, 2, v56
	v_and_b32_e32 v30, 62, v8
	v_lshl_add_u32 v8, v47, 3, v12
	v_and_b32_e32 v34, 28, v9
	v_mov_b32_e32 v9, 0x1200
	v_lshlrev_b32_e32 v59, 4, v47
	v_mad_u32_u24 v82, v8, s2, v9
	v_lshrrev_b32_e32 v9, 2, v56
	v_and_or_b32 v10, v56, 8, v59
	v_and_b32_e32 v9, 0xfc, v9
	v_lshrrev_b32_e32 v10, 3, v10
	v_mul_u32_u24_e32 v78, 0x90, v10
	v_add_u32_e32 v10, 16, v9
	v_lshrrev_b32_e32 v80, 1, v10
	v_add_u32_e32 v10, 18, v9
	v_lshrrev_b32_e32 v77, 1, v10
	;; [unrolled: 2-line block ×4, first 2 shown]
	v_lshrrev_b32_e32 v75, 1, v10
	v_add_u32_e32 v10, 48, v9
	v_add_u32_e32 v9, 50, v9
	v_lshrrev_b32_e32 v73, 1, v9
	v_mbcnt_lo_u32_b32 v9, -1, 0
	v_mbcnt_hi_u32_b32 v67, -1, v9
	v_mul_u32_u24_e32 v72, 0x90, v8
	v_mul_lo_u32 v36, s26, v8
	v_and_b32_e32 v9, 64, v67
	v_mul_lo_u32 v24, s36, v8
	v_lshlrev_b32_e32 v8, 1, v12
	v_add_u32_e32 v69, 64, v9
	v_and_b32_e32 v9, 0xfc, v8
	v_mov_b32_e32 v31, 0
	v_mad_i64_i32 v[32:33], s[8:9], v13, s30, 0
	s_ashr_i32 s27, s26, 31
	v_lshl_add_u32 v38, s26, 5, v36
	s_ashr_i32 s37, s36, 31
	v_lshl_add_u32 v28, s36, 5, v24
	v_mul_u32_u24_e32 v62, 0x90, v9
	v_or_b32_e32 v9, 2, v8
	v_or_b32_e32 v8, 3, v8
	v_mov_b32_e32 v35, v31
	v_ashrrev_i32_e32 v37, 31, v36
	v_ashrrev_i32_e32 v39, 31, v38
	v_or_b32_e32 v79, 1, v12
	v_lshrrev_b32_e32 v74, 1, v10
	v_xor_b32_e32 v70, 32, v67
	v_xor_b32_e32 v71, 16, v67
	v_ashrrev_i32_e32 v25, 31, v24
	v_ashrrev_i32_e32 v29, 31, v28
	v_mul_u32_u24_e32 v63, 0x90, v9
	v_mul_u32_u24_e32 v64, 0x90, v8
	v_mov_b64_e32 v[8:9], s[36:37]
	v_mov_b64_e32 v[10:11], s[26:27]
	v_mul_u32_u24_e32 v60, 0x90, v27
	v_lshlrev_b32_e32 v61, 1, v57
	s_cbranch_execz .LBB0_235
; %bb.233:
	v_mov_b32_e32 v66, 0xfeffffff
	v_mov_b32_e32 v65, 0
	;; [unrolled: 1-line block ×10, first 2 shown]
	s_branch .LBB0_238
.LBB0_234:
                                        ; implicit-def: $vgpr30
                                        ; implicit-def: $vgpr32_vgpr33
                                        ; implicit-def: $vgpr10_vgpr11
                                        ; implicit-def: $vgpr72
                                        ; implicit-def: $vgpr34
                                        ; implicit-def: $vgpr36_vgpr37
                                        ; implicit-def: $vgpr82
                                        ; implicit-def: $vgpr38_vgpr39
                                        ; implicit-def: $vgpr59
                                        ; implicit-def: $vgpr78
                                        ; implicit-def: $vgpr81
                                        ; implicit-def: $vgpr79
                                        ; implicit-def: $vgpr80
                                        ; implicit-def: $vgpr77
                                        ; implicit-def: $vgpr76
                                        ; implicit-def: $vgpr75
                                        ; implicit-def: $vgpr74
                                        ; implicit-def: $vgpr73
                                        ; implicit-def: $vgpr67
                                        ; implicit-def: $vgpr69
                                        ; implicit-def: $vgpr70
                                        ; implicit-def: $vgpr71
                                        ; implicit-def: $vgpr8_vgpr9
                                        ; implicit-def: $vgpr24_vgpr25
                                        ; implicit-def: $vgpr28_vgpr29
                                        ; implicit-def: $vgpr62
                                        ; implicit-def: $vgpr63
                                        ; implicit-def: $vgpr64
	v_mul_u32_u24_e32 v60, 0x90, v27
	v_lshlrev_b32_e32 v61, 1, v57
.LBB0_235:
	v_lshlrev_b32_e32 v8, 1, v56
	v_and_b32_e32 v30, 62, v8
	v_mad_i64_i32 v[32:33], s[2:3], v13, s30, 0
	v_mov_b32_e32 v41, 0
	v_lshlrev_b32_e32 v40, 1, v30
	v_lshl_add_u64 v[8:9], v[32:33], 1, s[6:7]
	v_lshl_add_u64 v[42:43], v[8:9], 0, v[40:41]
	v_lshlrev_b32_e32 v9, 2, v56
	v_lshl_add_u32 v8, v47, 3, v12
	v_and_b32_e32 v34, 28, v9
	v_mul_u32_u24_e32 v72, 0x90, v8
	v_lshlrev_b32_e32 v9, 2, v34
	s_movk_i32 s2, 0x90
	v_add3_u32 v85, 0, v72, v9
	v_mov_b32_e32 v9, 0x1200
	v_lshlrev_b32_e32 v59, 4, v47
	v_mad_u32_u24 v82, v8, s2, v9
	v_lshrrev_b32_e32 v9, 2, v56
	v_and_or_b32 v10, v56, 8, v59
	v_and_b32_e32 v9, 0xfc, v9
	v_lshrrev_b32_e32 v10, 3, v10
	v_mul_u32_u24_e32 v78, 0x90, v10
	v_mad_u32_u24 v10, v10, s2, 0
	v_add_u32_e32 v13, 18, v9
	v_add_u32_e32 v14, 34, v9
	v_lshrrev_b32_e32 v81, 1, v9
	v_lshl_add_u32 v88, v9, 1, v10
	v_add_u32_e32 v11, 16, v9
	v_lshrrev_b32_e32 v77, 1, v13
	v_add_u32_e32 v13, 32, v9
	v_lshrrev_b32_e32 v75, 1, v14
	v_add_u32_e32 v14, 48, v9
	v_add_u32_e32 v9, 50, v9
	v_lshrrev_b32_e32 v73, 1, v9
	v_mbcnt_lo_u32_b32 v9, -1, 0
	v_mbcnt_hi_u32_b32 v67, -1, v9
	v_and_b32_e32 v9, 64, v67
	v_add_u32_e32 v69, 64, v9
	v_xor_b32_e32 v70, 32, v67
	v_cmp_lt_i32_e32 vcc, v70, v69
	v_xor_b32_e32 v71, 16, v67
	v_mul_lo_u32 v36, s26, v8
	v_cndmask_b32_e32 v9, v67, v70, vcc
	v_cmp_lt_i32_e32 vcc, v71, v69
	v_lshlrev_b32_e32 v90, 2, v9
	v_mul_lo_u32 v24, s36, v8
	v_cndmask_b32_e32 v9, v67, v71, vcc
	v_lshlrev_b32_e32 v8, 1, v12
	v_lshlrev_b32_e32 v91, 2, v9
	v_and_b32_e32 v9, 0xfc, v8
	v_or_b32_e32 v79, 1, v12
	v_mul_u32_u24_e32 v62, 0x90, v9
	v_or_b32_e32 v9, 2, v8
	v_or_b32_e32 v8, 3, v8
	v_lshl_add_u32 v38, s26, 5, v36
	v_lshl_add_u32 v89, v79, 2, v10
	v_lshrrev_b32_e32 v80, 1, v11
	v_lshl_add_u32 v11, v11, 1, v10
	v_lshrrev_b32_e32 v76, 1, v13
	v_lshl_add_u32 v13, v13, 1, v10
	v_lshl_add_u32 v10, v14, 1, v10
	;; [unrolled: 1-line block ×3, first 2 shown]
	v_mul_u32_u24_e32 v63, 0x90, v9
	v_mul_u32_u24_e32 v64, 0x90, v8
	v_mov_b32_e32 v31, v41
	v_add3_u32 v84, 0, v60, v40
	s_ashr_i32 s27, s26, 31
	v_mov_b32_e32 v35, v41
	v_ashrrev_i32_e32 v37, 31, v36
	v_add_u32_e32 v86, 0x1200, v85
	v_ashrrev_i32_e32 v39, 31, v38
	v_add3_u32 v87, 0, v68, v58
	v_lshrrev_b32_e32 v74, 1, v14
	s_ashr_i32 s37, s36, 31
	v_ashrrev_i32_e32 v25, 31, v24
	v_ashrrev_i32_e32 v29, 31, v28
	v_add3_u32 v92, 0, v62, v61
	v_add3_u32 v93, 0, v63, v61
	;; [unrolled: 1-line block ×3, first 2 shown]
	s_lshl_b32 s8, s78, 6
	v_mov_b32_e32 v66, 0xfeffffff
	v_lshlrev_b32_e32 v40, 2, v34
	v_add_u32_e32 v95, 0x2400, v11
	v_add_u32_e32 v96, 0x2400, v13
	;; [unrolled: 1-line block ×3, first 2 shown]
	s_mov_b32 s2, 0x3fb8aa3b
	s_mov_b32 s3, 0xc2ce8ed0
	;; [unrolled: 1-line block ×5, first 2 shown]
	v_mov_b32_e32 v98, 0x7f800000
	v_mov_b32_e32 v65, v41
	;; [unrolled: 1-line block ×10, first 2 shown]
.LBB0_236:                              ; =>This Inner Loop Header: Depth=1
	s_ashr_i32 s9, s8, 31
	v_lshl_add_u64 v[8:9], s[8:9], 1, v[42:43]
	global_load_dword v8, v[8:9], off
	s_mul_hi_i32 s15, s8, s26
	s_mul_i32 s14, s8, s26
	s_lshl_b64 s[14:15], s[14:15], 2
	s_add_u32 s14, s4, s14
	s_addc_u32 s15, s5, s15
	v_lshl_add_u64 v[10:11], v[38:39], 2, s[14:15]
	v_lshl_add_u64 v[12:13], v[10:11], 0, v[40:41]
	v_add_u32_e32 v16, 0x800, v87
	v_mov_b32_e32 v20, v65
	v_mov_b32_e32 v21, v66
	s_waitcnt vmcnt(0)
	ds_write_b32 v84, v8 offset:9216
	v_lshl_add_u64 v[8:9], v[36:37], 2, s[14:15]
	v_lshl_add_u64 v[8:9], v[8:9], 0, v[40:41]
	global_load_dwordx4 v[8:11], v[8:9], off
	s_mul_hi_i32 s15, s8, s36
	s_mul_i32 s14, s8, s36
	s_lshl_b64 s[14:15], s[14:15], 2
	s_add_u32 s14, s0, s14
	s_addc_u32 s15, s1, s15
	s_add_i32 s78, s78, 1
	s_add_i32 s8, s8, 64
	s_waitcnt vmcnt(0)
	ds_write_b128 v85, v[8:11]
	global_load_dwordx4 v[8:11], v[12:13], off
	s_waitcnt vmcnt(0)
	ds_write_b128 v86, v[8:11]
	s_waitcnt lgkmcnt(0)
	s_barrier
	ds_read2_b64 v[8:11], v87 offset1:4
	s_waitcnt lgkmcnt(0)
	v_mfma_f32_16x16x16_f16 v[12:15], v[8:9], v[4:5], 0
	v_mfma_f32_16x16x16_f16 v[8:11], v[10:11], v[6:7], v[12:15]
	s_nop 6
	ds_read2_b64 v[12:15], v87 offset0:8 offset1:12
	s_waitcnt lgkmcnt(0)
	v_mfma_f32_16x16x16_f16 v[8:11], v[12:13], v[0:1], v[8:11]
	v_mfma_f32_16x16x16_f16 v[8:11], v[14:15], v[2:3], v[8:11]
	ds_read2_b64 v[12:15], v16 offset0:32 offset1:36
	s_waitcnt lgkmcnt(0)
	v_mfma_f32_16x16x16_f16 v[102:105], v[12:13], v[4:5], 0
	v_mfma_f32_16x16x16_f16 v[12:15], v[14:15], v[6:7], v[102:105]
	s_nop 6
	ds_read2_b64 v[102:105], v16 offset0:40 offset1:44
	s_waitcnt lgkmcnt(0)
	v_mfma_f32_16x16x16_f16 v[12:15], v[102:103], v[0:1], v[12:15]
	v_add_u32_e32 v16, 0x1000, v87
	v_mfma_f32_16x16x16_f16 v[12:15], v[104:105], v[2:3], v[12:15]
	ds_read2_b64 v[102:105], v16 offset0:64 offset1:68
	s_waitcnt lgkmcnt(0)
	v_mfma_f32_16x16x16_f16 v[106:109], v[102:103], v[4:5], 0
	v_mfma_f32_16x16x16_f16 v[102:105], v[104:105], v[6:7], v[106:109]
	s_nop 6
	ds_read2_b64 v[106:109], v16 offset0:72 offset1:76
	s_waitcnt lgkmcnt(0)
	v_mfma_f32_16x16x16_f16 v[102:105], v[106:107], v[0:1], v[102:105]
	v_add_u32_e32 v16, 0x1800, v87
	v_mfma_f32_16x16x16_f16 v[102:105], v[108:109], v[2:3], v[102:105]
	ds_read2_b64 v[106:109], v16 offset0:96 offset1:100
	s_waitcnt lgkmcnt(0)
	v_mfma_f32_16x16x16_f16 v[110:113], v[106:107], v[4:5], 0
	v_mfma_f32_16x16x16_f16 v[106:109], v[108:109], v[6:7], v[110:113]
	s_nop 6
	ds_read2_b64 v[110:113], v16 offset0:104 offset1:108
	s_waitcnt lgkmcnt(0)
	s_barrier
	ds_read_b32 v16, v88 offset:9216
	v_mfma_f32_16x16x16_f16 v[106:109], v[110:111], v[0:1], v[106:109]
	s_waitcnt lgkmcnt(0)
	v_cvt_f32_f16_e32 v18, v16
	v_cvt_f32_f16_sdwa v16, v16 dst_sel:DWORD dst_unused:UNUSED_PAD src0_sel:WORD_1
	v_add_f32_e32 v18, v8, v18
	ds_read_b32 v8, v89 offset:9216
	v_add_f32_e32 v16, v9, v16
	v_mfma_f32_16x16x16_f16 v[106:109], v[112:113], v[2:3], v[106:109]
	s_waitcnt lgkmcnt(0)
	v_cvt_f32_f16_e32 v9, v8
	v_cvt_f32_f16_sdwa v8, v8 dst_sel:DWORD dst_unused:UNUSED_PAD src0_sel:WORD_1
	v_add_f32_e32 v10, v10, v9
	v_add_f32_e32 v11, v11, v8
	ds_read2_b32 v[8:9], v95 offset1:1
	s_waitcnt lgkmcnt(0)
	v_cvt_f32_f16_e32 v19, v8
	v_cvt_f32_f16_sdwa v8, v8 dst_sel:DWORD dst_unused:UNUSED_PAD src0_sel:WORD_1
	v_add_f32_e32 v19, v12, v19
	v_add_f32_e32 v13, v13, v8
	v_cvt_f32_f16_e32 v8, v9
	v_cvt_f32_f16_sdwa v9, v9 dst_sel:DWORD dst_unused:UNUSED_PAD src0_sel:WORD_1
	v_add_f32_e32 v14, v14, v8
	v_add_f32_e32 v15, v15, v9
	ds_read2_b32 v[8:9], v96 offset1:1
	s_waitcnt lgkmcnt(0)
	v_cvt_f32_f16_e32 v12, v8
	v_cvt_f32_f16_sdwa v8, v8 dst_sel:DWORD dst_unused:UNUSED_PAD src0_sel:WORD_1
	v_add_f32_e32 v23, v102, v12
	v_add_f32_e32 v65, v103, v8
	;; [unrolled: 10-line block ×3, first 2 shown]
	v_cvt_f32_f16_e32 v8, v9
	v_cvt_f32_f16_sdwa v9, v9 dst_sel:DWORD dst_unused:UNUSED_PAD src0_sel:WORD_1
	v_add_f32_e32 v12, 0x40051340, v11
	v_add_f32_e32 v106, v108, v8
	;; [unrolled: 1-line block ×5, first 2 shown]
	v_max3_f32 v8, v21, v8, v9
	v_add_f32_e32 v9, 0x40051340, v10
	v_max3_f32 v8, v8, v9, v12
	v_add_f32_e32 v9, 0x40051340, v19
	v_add_f32_e32 v12, 0x40051340, v13
	v_max3_f32 v8, v8, v9, v12
	v_add_f32_e32 v9, 0x40051340, v14
	;; [unrolled: 3-line block ×6, first 2 shown]
	v_add_f32_e32 v12, 0x40051340, v22
	v_max3_f32 v8, v8, v9, v12
	ds_bpermute_b32 v9, v90, v8
	s_waitcnt lgkmcnt(0)
	v_max_f32_e32 v9, v9, v9
	v_max_f32_e32 v8, v8, v9
	ds_bpermute_b32 v9, v91, v8
	s_waitcnt lgkmcnt(0)
	v_max_f32_e32 v9, v9, v9
	v_max_f32_e32 v66, v8, v9
	v_sub_f32_e32 v8, v18, v66
	v_mul_f32_e32 v9, 0x3fb8aa3b, v8
	v_fma_f32 v12, v8, s2, -v9
	v_rndne_f32_e32 v18, v9
	v_fmac_f32_e32 v12, 0x32a5705f, v8
	v_sub_f32_e32 v9, v9, v18
	v_add_f32_e32 v9, v9, v12
	v_exp_f32_e32 v9, v9
	v_cvt_i32_f32_e32 v12, v18
	v_cmp_ngt_f32_e32 vcc, s3, v8
	v_sub_f32_e32 v10, v10, v66
	v_sub_f32_e32 v11, v11, v66
	v_ldexp_f32 v9, v9, v12
	v_cndmask_b32_e32 v9, 0, v9, vcc
	v_cmp_nlt_f32_e32 vcc, s10, v8
	v_sub_f32_e32 v13, v13, v66
	v_sub_f32_e32 v14, v14, v66
	v_cndmask_b32_e32 v8, v98, v9, vcc
	v_sub_f32_e32 v9, v16, v66
	v_mul_f32_e32 v12, 0x3fb8aa3b, v9
	v_fma_f32 v16, v9, s2, -v12
	v_rndne_f32_e32 v18, v12
	v_fmac_f32_e32 v16, 0x32a5705f, v9
	v_sub_f32_e32 v12, v12, v18
	v_add_f32_e32 v12, v12, v16
	v_exp_f32_e32 v12, v12
	v_cvt_i32_f32_e32 v16, v18
	v_cmp_ngt_f32_e32 vcc, s3, v9
	v_sub_f32_e32 v15, v15, v66
	v_sub_f32_e32 v22, v22, v66
	v_ldexp_f32 v12, v12, v16
	v_mul_f32_e32 v16, 0x3fb8aa3b, v10
	v_fma_f32 v18, v10, s2, -v16
	v_rndne_f32_e32 v107, v16
	v_fmac_f32_e32 v18, 0x32a5705f, v10
	v_sub_f32_e32 v16, v16, v107
	v_add_f32_e32 v16, v16, v18
	v_exp_f32_e32 v16, v16
	v_cvt_i32_f32_e32 v18, v107
	v_cndmask_b32_e32 v12, 0, v12, vcc
	v_cmp_nlt_f32_e32 vcc, s10, v9
	v_sub_f32_e32 v21, v21, v66
	v_ldexp_f32 v16, v16, v18
	v_cndmask_b32_e32 v9, v98, v12, vcc
	v_cmp_ngt_f32_e32 vcc, s3, v10
	v_add_f32_e32 v12, v8, v9
	s_nop 0
	v_cndmask_b32_e32 v16, 0, v16, vcc
	v_cmp_nlt_f32_e32 vcc, s10, v10
	s_nop 1
	v_cndmask_b32_e32 v10, v98, v16, vcc
	v_add_f32_e32 v16, v10, v12
	v_mul_f32_e32 v12, 0x3fb8aa3b, v11
	v_fma_f32 v18, v11, s2, -v12
	v_rndne_f32_e32 v107, v12
	v_fmac_f32_e32 v18, 0x32a5705f, v11
	v_sub_f32_e32 v12, v12, v107
	v_add_f32_e32 v12, v12, v18
	v_exp_f32_e32 v12, v12
	v_cvt_i32_f32_e32 v18, v107
	v_cmp_ngt_f32_e32 vcc, s3, v11
	v_ldexp_f32 v12, v12, v18
	s_nop 0
	v_cndmask_b32_e32 v12, 0, v12, vcc
	v_cmp_nlt_f32_e32 vcc, s10, v11
	v_sub_f32_e32 v11, v19, v66
	v_mul_f32_e32 v18, 0x3fb8aa3b, v11
	v_fma_f32 v19, v11, s2, -v18
	v_rndne_f32_e32 v107, v18
	v_fmac_f32_e32 v19, 0x32a5705f, v11
	v_sub_f32_e32 v18, v18, v107
	v_add_f32_e32 v18, v18, v19
	v_exp_f32_e32 v18, v18
	v_cvt_i32_f32_e32 v19, v107
	v_cndmask_b32_e32 v12, v98, v12, vcc
	v_cmp_ngt_f32_e32 vcc, s3, v11
	v_add_f32_e32 v16, v12, v16
	v_ldexp_f32 v18, v18, v19
	v_cndmask_b32_e32 v18, 0, v18, vcc
	v_cmp_nlt_f32_e32 vcc, s10, v11
	s_nop 1
	v_cndmask_b32_e32 v11, v98, v18, vcc
	v_mul_f32_e32 v18, 0x3fb8aa3b, v13
	v_fma_f32 v19, v13, s2, -v18
	v_rndne_f32_e32 v107, v18
	v_fmac_f32_e32 v19, 0x32a5705f, v13
	v_sub_f32_e32 v18, v18, v107
	v_add_f32_e32 v18, v18, v19
	v_exp_f32_e32 v18, v18
	v_cvt_i32_f32_e32 v19, v107
	v_cmp_ngt_f32_e32 vcc, s3, v13
	v_add_f32_e32 v16, v11, v16
	v_ldexp_f32 v18, v18, v19
	v_cndmask_b32_e32 v18, 0, v18, vcc
	v_cmp_nlt_f32_e32 vcc, s10, v13
	s_nop 1
	v_cndmask_b32_e32 v13, v98, v18, vcc
	v_mul_f32_e32 v18, 0x3fb8aa3b, v14
	v_fma_f32 v19, v14, s2, -v18
	v_rndne_f32_e32 v107, v18
	v_fmac_f32_e32 v19, 0x32a5705f, v14
	v_sub_f32_e32 v18, v18, v107
	v_add_f32_e32 v18, v18, v19
	v_exp_f32_e32 v18, v18
	v_cvt_i32_f32_e32 v19, v107
	v_cmp_ngt_f32_e32 vcc, s3, v14
	v_add_f32_e32 v16, v13, v16
	v_ldexp_f32 v18, v18, v19
	v_cndmask_b32_e32 v18, 0, v18, vcc
	v_cmp_nlt_f32_e32 vcc, s10, v14
	s_nop 1
	v_cndmask_b32_e32 v14, v98, v18, vcc
	v_add_f32_e32 v18, v14, v16
	v_mul_f32_e32 v16, 0x3fb8aa3b, v15
	v_fma_f32 v19, v15, s2, -v16
	v_rndne_f32_e32 v107, v16
	v_fmac_f32_e32 v19, 0x32a5705f, v15
	v_sub_f32_e32 v16, v16, v107
	v_add_f32_e32 v16, v16, v19
	v_exp_f32_e32 v16, v16
	v_cvt_i32_f32_e32 v19, v107
	v_cmp_ngt_f32_e32 vcc, s3, v15
	v_ldexp_f32 v16, v16, v19
	s_nop 0
	v_cndmask_b32_e32 v16, 0, v16, vcc
	v_cmp_nlt_f32_e32 vcc, s10, v15
	v_sub_f32_e32 v15, v23, v66
	v_mul_f32_e32 v19, 0x3fb8aa3b, v15
	v_fma_f32 v23, v15, s2, -v19
	v_rndne_f32_e32 v107, v19
	v_fmac_f32_e32 v23, 0x32a5705f, v15
	v_sub_f32_e32 v19, v19, v107
	v_add_f32_e32 v19, v19, v23
	v_exp_f32_e32 v19, v19
	v_cvt_i32_f32_e32 v23, v107
	v_cndmask_b32_e32 v16, v98, v16, vcc
	v_cmp_ngt_f32_e32 vcc, s3, v15
	v_add_f32_e32 v18, v16, v18
	v_ldexp_f32 v19, v19, v23
	v_cndmask_b32_e32 v19, 0, v19, vcc
	v_cmp_nlt_f32_e32 vcc, s10, v15
	s_nop 1
	v_cndmask_b32_e32 v15, v98, v19, vcc
	v_add_f32_e32 v19, v15, v18
	v_sub_f32_e32 v18, v65, v66
	v_mul_f32_e32 v23, 0x3fb8aa3b, v18
	v_fma_f32 v65, v18, s2, -v23
	v_rndne_f32_e32 v107, v23
	v_fmac_f32_e32 v65, 0x32a5705f, v18
	v_sub_f32_e32 v23, v23, v107
	v_add_f32_e32 v23, v23, v65
	v_exp_f32_e32 v23, v23
	v_cvt_i32_f32_e32 v65, v107
	v_cmp_ngt_f32_e32 vcc, s3, v18
	v_ldexp_f32 v23, v23, v65
	s_nop 0
	v_cndmask_b32_e32 v23, 0, v23, vcc
	v_cmp_nlt_f32_e32 vcc, s10, v18
	s_nop 1
	v_cndmask_b32_e32 v18, v98, v23, vcc
	v_add_f32_e32 v23, v18, v19
	v_sub_f32_e32 v19, v102, v66
	v_mul_f32_e32 v65, 0x3fb8aa3b, v19
	v_fma_f32 v102, v19, s2, -v65
	v_rndne_f32_e32 v107, v65
	v_fmac_f32_e32 v102, 0x32a5705f, v19
	v_sub_f32_e32 v65, v65, v107
	v_add_f32_e32 v65, v65, v102
	v_exp_f32_e32 v65, v65
	v_cvt_i32_f32_e32 v102, v107
	v_cmp_ngt_f32_e32 vcc, s3, v19
	v_ldexp_f32 v65, v65, v102
	s_nop 0
	v_cndmask_b32_e32 v65, 0, v65, vcc
	v_cmp_nlt_f32_e32 vcc, s10, v19
	s_nop 1
	v_cndmask_b32_e32 v19, v98, v65, vcc
	v_sub_f32_e32 v65, v103, v66
	v_mul_f32_e32 v102, 0x3fb8aa3b, v65
	v_fma_f32 v103, v65, s2, -v102
	v_rndne_f32_e32 v107, v102
	v_fmac_f32_e32 v103, 0x32a5705f, v65
	v_sub_f32_e32 v102, v102, v107
	v_add_f32_e32 v102, v102, v103
	v_exp_f32_e32 v102, v102
	v_cvt_i32_f32_e32 v103, v107
	v_cmp_ngt_f32_e32 vcc, s3, v65
	v_add_f32_e32 v23, v19, v23
	v_ldexp_f32 v102, v102, v103
	v_cndmask_b32_e32 v102, 0, v102, vcc
	v_cmp_nlt_f32_e32 vcc, s10, v65
	v_sub_f32_e32 v65, v104, v66
	s_nop 0
	v_cndmask_b32_e32 v103, v98, v102, vcc
	v_mul_f32_e32 v102, 0x3fb8aa3b, v65
	v_fma_f32 v104, v65, s2, -v102
	v_rndne_f32_e32 v107, v102
	v_fmac_f32_e32 v104, 0x32a5705f, v65
	v_sub_f32_e32 v102, v102, v107
	v_add_f32_e32 v102, v102, v104
	v_exp_f32_e32 v102, v102
	v_cvt_i32_f32_e32 v104, v107
	v_cmp_ngt_f32_e32 vcc, s3, v65
	v_add_f32_e32 v23, v103, v23
	v_ldexp_f32 v102, v102, v104
	v_cndmask_b32_e32 v102, 0, v102, vcc
	v_cmp_nlt_f32_e32 vcc, s10, v65
	v_sub_f32_e32 v65, v105, v66
	v_mul_f32_e32 v104, 0x3fb8aa3b, v65
	v_fma_f32 v105, v65, s2, -v104
	v_rndne_f32_e32 v107, v104
	v_fmac_f32_e32 v105, 0x32a5705f, v65
	v_sub_f32_e32 v104, v104, v107
	v_add_f32_e32 v104, v104, v105
	v_exp_f32_e32 v104, v104
	v_cvt_i32_f32_e32 v105, v107
	v_cndmask_b32_e32 v102, v98, v102, vcc
	v_cmp_ngt_f32_e32 vcc, s3, v65
	v_add_f32_e32 v23, v102, v23
	v_ldexp_f32 v104, v104, v105
	v_cndmask_b32_e32 v104, 0, v104, vcc
	v_cmp_nlt_f32_e32 vcc, s10, v65
	v_sub_f32_e32 v65, v106, v66
	s_nop 0
	v_cndmask_b32_e32 v105, v98, v104, vcc
	v_mul_f32_e32 v104, 0x3fb8aa3b, v65
	v_fma_f32 v106, v65, s2, -v104
	v_rndne_f32_e32 v107, v104
	v_fmac_f32_e32 v106, 0x32a5705f, v65
	v_sub_f32_e32 v104, v104, v107
	v_add_f32_e32 v104, v104, v106
	v_exp_f32_e32 v104, v104
	v_cvt_i32_f32_e32 v106, v107
	v_cmp_ngt_f32_e32 vcc, s3, v65
	v_add_f32_e32 v23, v105, v23
	v_ldexp_f32 v104, v104, v106
	v_cndmask_b32_e32 v104, 0, v104, vcc
	v_cmp_nlt_f32_e32 vcc, s10, v65
	v_mul_f32_e32 v65, 0x3fb8aa3b, v22
	v_rndne_f32_e32 v107, v65
	v_cndmask_b32_e32 v106, v98, v104, vcc
	v_fma_f32 v104, v22, s2, -v65
	v_fmac_f32_e32 v104, 0x32a5705f, v22
	v_sub_f32_e32 v65, v65, v107
	v_add_f32_e32 v65, v65, v104
	v_exp_f32_e32 v65, v65
	v_cvt_i32_f32_e32 v104, v107
	v_cmp_ngt_f32_e32 vcc, s3, v22
	v_add_f32_e32 v23, v106, v23
	v_ldexp_f32 v65, v65, v104
	v_cndmask_b32_e32 v65, 0, v65, vcc
	v_cmp_nlt_f32_e32 vcc, s10, v22
	v_mul_f32_e32 v22, 0x3fb8aa3b, v21
	v_rndne_f32_e32 v104, v22
	v_cndmask_b32_e32 v107, v98, v65, vcc
	v_add_f32_e32 v65, v107, v23
	v_fma_f32 v23, v21, s2, -v22
	v_fmac_f32_e32 v23, 0x32a5705f, v21
	v_sub_f32_e32 v22, v22, v104
	v_add_f32_e32 v22, v22, v23
	v_exp_f32_e32 v22, v22
	v_cvt_i32_f32_e32 v23, v104
	v_cmp_ngt_f32_e32 vcc, s3, v21
	v_ldexp_f32 v22, v22, v23
	s_nop 0
	v_cndmask_b32_e32 v22, 0, v22, vcc
	v_cmp_nlt_f32_e32 vcc, s10, v21
	s_nop 1
	v_cndmask_b32_e32 v22, v98, v22, vcc
	v_cmp_le_f32_e32 vcc, s11, v21
	s_nop 1
	v_cndmask_b32_e32 v21, 0, v22, vcc
	v_fmac_f32_e32 v65, v20, v21
	v_cvt_f16_f32_e32 v20, v21
	v_cmp_lt_i32_e32 vcc, s78, v83
	s_and_b64 vcc, exec, vcc
	v_mul_u32_u24_e32 v22, 0x10001, v20
	v_pk_mul_f16 v21, v101, v22
	v_pk_mul_f16 v20, v100, v22
	;; [unrolled: 1-line block ×8, first 2 shown]
	v_lshl_add_u64 v[22:23], v[24:25], 2, s[14:15]
	v_lshl_add_u64 v[22:23], v[22:23], 0, v[40:41]
	;; [unrolled: 1-line block ×4, first 2 shown]
	global_load_dwordx4 v[44:47], v[22:23], off
	s_waitcnt vmcnt(0)
	ds_write_b128 v85, v[44:47]
	global_load_dwordx4 v[44:47], v[110:111], off
	s_waitcnt vmcnt(0)
	ds_write_b128 v86, v[44:47]
	s_waitcnt lgkmcnt(0)
	s_barrier
	ds_read_u16 v17, v92 offset:144
	v_cvt_f32_f16_e32 v44, v21
	v_cvt_f32_f16_sdwa v45, v21 dst_sel:DWORD dst_unused:UNUSED_PAD src0_sel:WORD_1
	v_cvt_f32_f16_e32 v46, v20
	v_cvt_f32_f16_sdwa v47, v20 dst_sel:DWORD dst_unused:UNUSED_PAD src0_sel:WORD_1
	ds_read_u16 v20, v93
	ds_read_u16 v110, v93 offset:32
	ds_read_u16 v21, v94
	ds_read_u16 v111, v94 offset:32
	s_waitcnt lgkmcnt(1)
	v_perm_b32 v23, v21, v20, s12
	ds_read_u16 v20, v92
	ds_read_u16 v112, v92 offset:32
	v_cvt_pk_f16_f32 v21, v10, v12
	s_waitcnt lgkmcnt(1)
	v_perm_b32 v22, v17, v20, s12
	v_cvt_pk_f16_f32 v20, v8, v9
	s_nop 1
	v_mfma_f32_16x16x16_f16 v[44:47], v[22:23], v[20:21], v[44:47]
	ds_read_u16 v17, v92 offset:2304
	ds_read_u16 v22, v92 offset:2448
	;; [unrolled: 1-line block ×4, first 2 shown]
	s_nop 3
	v_cvt_f16_f32_e32 v8, v44
	v_cvt_f16_f32_e32 v9, v45
	;; [unrolled: 1-line block ×4, first 2 shown]
	v_cvt_f32_f16_e32 v44, v8
	v_cvt_f32_f16_e32 v45, v9
	s_waitcnt lgkmcnt(0)
	v_perm_b32 v9, v113, v23, s12
	v_perm_b32 v8, v22, v17, s12
	v_cvt_f32_f16_e32 v46, v10
	v_cvt_f32_f16_e32 v47, v12
	v_cvt_pk_f16_f32 v23, v14, v16
	v_cvt_pk_f16_f32 v22, v11, v13
	ds_read_u16 v12, v92 offset:4608
	ds_read_u16 v14, v92 offset:4752
	;; [unrolled: 1-line block ×4, first 2 shown]
	v_mfma_f32_16x16x16_f16 v[8:11], v[8:9], v[22:23], v[44:47]
	v_perm_b32 v17, v111, v110, s12
	s_waitcnt lgkmcnt(2)
	v_perm_b32 v12, v14, v12, s12
	s_waitcnt lgkmcnt(0)
	v_perm_b32 v13, v16, v13, s12
	v_cvt_pk_f16_f32 v45, v19, v103
	s_nop 1
	v_cvt_f16_f32_e32 v8, v8
	v_cvt_f16_f32_e32 v9, v9
	;; [unrolled: 1-line block ×4, first 2 shown]
	v_cvt_f32_f16_e32 v8, v8
	v_cvt_f32_f16_e32 v9, v9
	v_cvt_f32_f16_e32 v10, v10
	v_cvt_f32_f16_e32 v11, v11
	v_cvt_pk_f16_f32 v44, v15, v18
	v_cvt_pk_f16_f32 v47, v106, v107
	v_cvt_pk_f16_f32 v46, v102, v105
	v_mfma_f32_16x16x16_f16 v[8:11], v[12:13], v[44:45], v[8:11]
	ds_read_u16 v12, v92 offset:6912
	ds_read_u16 v14, v92 offset:7056
	;; [unrolled: 1-line block ×5, first 2 shown]
	s_nop 2
	v_cvt_f16_f32_e32 v8, v8
	v_cvt_f16_f32_e32 v9, v9
	;; [unrolled: 1-line block ×4, first 2 shown]
	s_waitcnt lgkmcnt(1)
	v_perm_b32 v13, v15, v13, s12
	v_perm_b32 v12, v14, v12, s12
	v_cvt_f32_f16_e32 v8, v8
	v_cvt_f32_f16_e32 v9, v9
	v_cvt_f32_f16_e32 v10, v10
	v_cvt_f32_f16_e32 v11, v11
	s_waitcnt lgkmcnt(0)
	v_perm_b32 v16, v16, v112, s12
	v_cvt_f32_f16_e32 v14, v108
	v_mfma_f32_16x16x16_f16 v[8:11], v[12:13], v[46:47], v[8:11]
	v_cvt_f32_f16_e32 v12, v109
	v_cvt_f32_f16_sdwa v13, v109 dst_sel:DWORD dst_unused:UNUSED_PAD src0_sel:WORD_1
	v_cvt_f32_f16_sdwa v15, v108 dst_sel:DWORD dst_unused:UNUSED_PAD src0_sel:WORD_1
	s_nop 1
	v_mfma_f32_16x16x16_f16 v[12:15], v[16:17], v[20:21], v[12:15]
	ds_read_u16 v16, v92 offset:2336
	ds_read_u16 v18, v92 offset:2480
	;; [unrolled: 1-line block ×4, first 2 shown]
	s_nop 3
	v_cvt_f16_f32_e32 v12, v12
	v_cvt_f16_f32_e32 v13, v13
	;; [unrolled: 1-line block ×4, first 2 shown]
	s_waitcnt lgkmcnt(0)
	v_perm_b32 v17, v19, v17, s12
	v_perm_b32 v16, v18, v16, s12
	v_cvt_f32_f16_e32 v12, v12
	v_cvt_f32_f16_e32 v13, v13
	;; [unrolled: 1-line block ×4, first 2 shown]
	s_nop 1
	v_mfma_f32_16x16x16_f16 v[12:15], v[16:17], v[22:23], v[12:15]
	ds_read_u16 v16, v92 offset:4640
	ds_read_u16 v18, v92 offset:4784
	;; [unrolled: 1-line block ×4, first 2 shown]
	s_nop 3
	v_cvt_f16_f32_e32 v12, v12
	v_cvt_f16_f32_e32 v13, v13
	;; [unrolled: 1-line block ×4, first 2 shown]
	s_waitcnt lgkmcnt(0)
	v_perm_b32 v17, v19, v17, s12
	v_perm_b32 v16, v18, v16, s12
	v_cvt_f32_f16_e32 v12, v12
	v_cvt_f32_f16_e32 v13, v13
	;; [unrolled: 1-line block ×4, first 2 shown]
	s_nop 1
	v_mfma_f32_16x16x16_f16 v[12:15], v[16:17], v[44:45], v[12:15]
	ds_read_u16 v16, v92 offset:6944
	ds_read_u16 v18, v92 offset:7088
	;; [unrolled: 1-line block ×8, first 2 shown]
	v_cvt_f16_f32_e32 v12, v12
	v_cvt_f16_f32_e32 v13, v13
	;; [unrolled: 1-line block ×4, first 2 shown]
	s_waitcnt lgkmcnt(4)
	v_perm_b32 v17, v19, v17, s12
	v_perm_b32 v16, v18, v16, s12
	v_cvt_f32_f16_e32 v12, v12
	v_cvt_f32_f16_e32 v13, v13
	;; [unrolled: 1-line block ×4, first 2 shown]
	s_waitcnt lgkmcnt(0)
	v_perm_b32 v103, v106, v103, s12
	v_perm_b32 v102, v105, v102, s12
	v_mfma_f32_16x16x16_f16 v[12:15], v[16:17], v[46:47], v[12:15]
	v_cvt_f32_f16_e32 v16, v104
	v_cvt_f32_f16_sdwa v17, v104 dst_sel:DWORD dst_unused:UNUSED_PAD src0_sel:WORD_1
	v_cvt_f32_f16_e32 v18, v101
	v_cvt_f32_f16_sdwa v19, v101 dst_sel:DWORD dst_unused:UNUSED_PAD src0_sel:WORD_1
	v_cvt_f32_f16_sdwa v105, v99 dst_sel:DWORD dst_unused:UNUSED_PAD src0_sel:WORD_1
	s_nop 0
	v_mfma_f32_16x16x16_f16 v[16:19], v[102:103], v[20:21], v[16:19]
	ds_read_u16 v101, v92 offset:2368
	ds_read_u16 v102, v92 offset:2512
	;; [unrolled: 1-line block ×4, first 2 shown]
	s_nop 3
	v_cvt_f16_f32_e32 v16, v16
	v_cvt_f16_f32_e32 v17, v17
	;; [unrolled: 1-line block ×4, first 2 shown]
	s_waitcnt lgkmcnt(0)
	v_perm_b32 v103, v104, v103, s12
	v_perm_b32 v102, v102, v101, s12
	v_cvt_f32_f16_e32 v16, v16
	v_cvt_f32_f16_e32 v17, v17
	;; [unrolled: 1-line block ×4, first 2 shown]
	s_nop 1
	v_mfma_f32_16x16x16_f16 v[16:19], v[102:103], v[22:23], v[16:19]
	ds_read_u16 v101, v92 offset:4672
	ds_read_u16 v102, v92 offset:4816
	;; [unrolled: 1-line block ×4, first 2 shown]
	s_nop 3
	v_cvt_f16_f32_e32 v16, v16
	v_cvt_f16_f32_e32 v17, v17
	;; [unrolled: 1-line block ×4, first 2 shown]
	s_waitcnt lgkmcnt(0)
	v_perm_b32 v103, v104, v103, s12
	v_perm_b32 v102, v102, v101, s12
	v_cvt_f32_f16_e32 v16, v16
	v_cvt_f32_f16_e32 v17, v17
	;; [unrolled: 1-line block ×4, first 2 shown]
	s_nop 1
	v_mfma_f32_16x16x16_f16 v[16:19], v[102:103], v[44:45], v[16:19]
	ds_read_u16 v101, v92 offset:6976
	ds_read_u16 v102, v92 offset:7120
	;; [unrolled: 1-line block ×4, first 2 shown]
	s_nop 3
	v_cvt_f16_f32_e32 v16, v16
	v_cvt_f16_f32_e32 v17, v17
	;; [unrolled: 1-line block ×4, first 2 shown]
	s_waitcnt lgkmcnt(0)
	v_perm_b32 v103, v104, v103, s12
	v_perm_b32 v102, v102, v101, s12
	ds_read_u16 v106, v92 offset:96
	ds_read_u16 v107, v92 offset:240
	;; [unrolled: 1-line block ×4, first 2 shown]
	v_cvt_f32_f16_e32 v16, v16
	v_cvt_f32_f16_e32 v17, v17
	;; [unrolled: 1-line block ×4, first 2 shown]
	s_waitcnt lgkmcnt(0)
	v_perm_b32 v101, v108, v101, s12
	v_cvt_f32_f16_e32 v104, v99
	v_mfma_f32_16x16x16_f16 v[16:19], v[102:103], v[46:47], v[16:19]
	v_cvt_f32_f16_e32 v102, v100
	v_cvt_f32_f16_sdwa v103, v100 dst_sel:DWORD dst_unused:UNUSED_PAD src0_sel:WORD_1
	v_perm_b32 v100, v107, v106, s12
	s_nop 1
	v_mfma_f32_16x16x16_f16 v[100:103], v[100:101], v[20:21], v[102:105]
	s_nop 2
	ds_read_u16 v104, v92 offset:2400
	ds_read_u16 v105, v92 offset:2544
	ds_read_u16 v106, v93 offset:2400
	ds_read_u16 v107, v94 offset:2400
	s_nop 0
	v_cvt_f16_f32_e32 v20, v100
	v_cvt_f16_f32_e32 v21, v101
	;; [unrolled: 1-line block ×4, first 2 shown]
	v_cvt_f32_f16_e32 v100, v20
	v_cvt_f32_f16_e32 v101, v21
	s_waitcnt lgkmcnt(0)
	v_perm_b32 v21, v107, v106, s12
	v_perm_b32 v20, v105, v104, s12
	v_cvt_f32_f16_e32 v102, v99
	v_cvt_f32_f16_e32 v103, v103
	s_nop 1
	v_mfma_f32_16x16x16_f16 v[20:23], v[20:21], v[22:23], v[100:103]
	ds_read_u16 v99, v92 offset:4704
	s_nop 1
	ds_read_u16 v100, v92 offset:4848
	ds_read_u16 v101, v93 offset:4704
	;; [unrolled: 1-line block ×3, first 2 shown]
	s_nop 1
	v_cvt_f16_f32_e32 v20, v20
	v_cvt_f16_f32_e32 v21, v21
	;; [unrolled: 1-line block ×4, first 2 shown]
	s_waitcnt lgkmcnt(0)
	v_perm_b32 v101, v102, v101, s12
	v_perm_b32 v100, v100, v99, s12
	v_cvt_f32_f16_e32 v20, v20
	v_cvt_f32_f16_e32 v21, v21
	;; [unrolled: 1-line block ×4, first 2 shown]
	s_nop 1
	v_mfma_f32_16x16x16_f16 v[20:23], v[100:101], v[44:45], v[20:23]
	ds_read_u16 v44, v92 offset:7008
	ds_read_u16 v99, v92 offset:7152
	;; [unrolled: 1-line block ×4, first 2 shown]
	v_cvt_pk_f16_f32 v101, v8, v9
	s_waitcnt lgkmcnt(0)
	s_nop 1
	v_cvt_f16_f32_e32 v20, v20
	v_cvt_f16_f32_e32 v21, v21
	;; [unrolled: 1-line block ×4, first 2 shown]
	v_perm_b32 v45, v100, v45, s12
	v_perm_b32 v44, v99, v44, s12
	v_cvt_f32_f16_e32 v20, v20
	v_cvt_f32_f16_e32 v21, v21
	;; [unrolled: 1-line block ×4, first 2 shown]
	v_cvt_pk_f16_f32 v100, v10, v11
	v_cvt_pk_f16_f32 v99, v12, v13
	v_mfma_f32_16x16x16_f16 v[20:23], v[44:45], v[46:47], v[20:23]
	v_cvt_pk_f16_f32 v47, v14, v15
	v_cvt_pk_f16_f32 v46, v16, v17
	;; [unrolled: 1-line block ×3, first 2 shown]
	s_barrier
	s_nop 3
	v_cvt_pk_f16_f32 v44, v20, v21
	v_cvt_pk_f16_f32 v17, v22, v23
	s_cbranch_vccnz .LBB0_236
; %bb.237:
	v_mov_b64_e32 v[8:9], s[36:37]
	v_mov_b64_e32 v[10:11], s[26:27]
.LBB0_238:
	s_lshl_b32 s8, s78, 6
	s_ashr_i32 s9, s8, 31
	s_lshl_b64 s[2:3], s[8:9], 1
	s_add_u32 s2, s6, s2
	s_addc_u32 s3, s7, s3
	v_lshl_add_u64 v[12:13], v[32:33], 1, s[2:3]
	v_lshl_add_u64 v[12:13], v[30:31], 1, v[12:13]
	global_load_dword v16, v[12:13], off
	v_mul_lo_u32 v12, v10, s9
	v_mul_hi_u32 v13, v10, s8
	v_add_u32_e32 v12, v13, v12
	v_mul_lo_u32 v11, v11, s8
	v_add_u32_e32 v11, v12, v11
	v_mul_lo_u32 v10, v10, s8
	v_lshlrev_b64 v[10:11], 2, v[10:11]
	v_lshl_add_u64 v[12:13], s[4:5], 0, v[10:11]
	v_lshl_add_u64 v[14:15], v[36:37], 2, v[12:13]
	v_lshlrev_b64 v[10:11], 2, v[34:35]
	v_lshl_add_u64 v[14:15], v[14:15], 0, v[10:11]
	v_lshl_add_u64 v[12:13], v[38:39], 2, v[12:13]
	v_lshl_add_u64 v[12:13], v[12:13], 0, v[10:11]
	global_load_dwordx4 v[18:21], v[14:15], off
	global_load_dwordx4 v[36:39], v[12:13], off
	v_lshlrev_b32_e32 v12, 1, v30
	v_lshlrev_b32_e32 v13, 2, v34
	v_add3_u32 v14, 0, v68, v58
	v_add3_u32 v15, 0, v60, v12
	;; [unrolled: 1-line block ×4, first 2 shown]
	v_add_u32_e32 v22, 0x1800, v14
	v_add_u32_e32 v23, 0, v78
	v_lshl_add_u32 v72, v77, 2, v23
	v_lshl_add_u32 v42, v81, 2, v23
	v_lshl_add_u32 v43, v79, 2, v23
	v_lshl_add_u32 v68, v80, 2, v23
	v_cmp_lt_i32_e32 vcc, v70, v69
	s_mov_b32 s4, 0x3fb8aa3b
	s_mov_b32 s3, 0xc2ce8ed0
	;; [unrolled: 1-line block ×3, first 2 shown]
	s_waitcnt vmcnt(2)
	ds_write_b32 v15, v16 offset:9216
	s_waitcnt vmcnt(1)
	ds_write_b128 v12, v[18:21]
	s_waitcnt vmcnt(0)
	ds_write_b128 v13, v[36:39]
	v_add_u32_e32 v15, 0x800, v14
	s_waitcnt lgkmcnt(0)
	s_barrier
	ds_read2_b64 v[18:21], v14 offset1:4
	ds_read2_b64 v[34:37], v15 offset0:32 offset1:36
	v_add_u32_e32 v16, 0x1000, v14
	ds_read2_b64 v[82:85], v16 offset0:64 offset1:68
	ds_read2_b64 v[90:93], v22 offset0:96 offset1:100
	s_waitcnt lgkmcnt(3)
	v_mfma_f32_16x16x16_f16 v[30:33], v[18:19], v[4:5], 0
	s_waitcnt lgkmcnt(2)
	v_mfma_f32_16x16x16_f16 v[38:41], v[34:35], v[4:5], 0
	s_waitcnt lgkmcnt(1)
	v_mfma_f32_16x16x16_f16 v[86:89], v[82:83], v[4:5], 0
	v_mfma_f32_16x16x16_f16 v[18:21], v[20:21], v[6:7], v[30:33]
	v_mfma_f32_16x16x16_f16 v[30:33], v[36:37], v[6:7], v[38:41]
	ds_read2_b64 v[34:37], v14 offset0:8 offset1:12
	v_lshl_add_u32 v14, v75, 2, v23
	s_waitcnt lgkmcnt(1)
	v_mfma_f32_16x16x16_f16 v[94:97], v[90:91], v[4:5], 0
	v_lshl_add_u32 v90, v76, 2, v23
	v_mfma_f32_16x16x16_f16 v[38:41], v[84:85], v[6:7], v[86:89]
	s_nop 2
	v_lshl_add_u32 v86, v74, 2, v23
	ds_read2_b64 v[74:77], v15 offset0:40 offset1:44
	ds_read2_b64 v[78:81], v16 offset0:72 offset1:76
	;; [unrolled: 1-line block ×3, first 2 shown]
	v_mfma_f32_16x16x16_f16 v[4:7], v[92:93], v[6:7], v[94:97]
	v_lshl_add_u32 v15, v73, 2, v23
	s_waitcnt lgkmcnt(0)
	s_barrier
	v_mfma_f32_16x16x16_f16 v[18:21], v[34:35], v[0:1], v[18:21]
	ds_read_b32 v16, v42 offset:9216
	ds_read_b32 v22, v43 offset:9216
	;; [unrolled: 1-line block ×8, first 2 shown]
	s_waitcnt lgkmcnt(7)
	v_cvt_f32_f16_e32 v43, v16
	v_mfma_f32_16x16x16_f16 v[30:33], v[74:75], v[0:1], v[30:33]
	v_cvt_f32_f16_sdwa v16, v16 dst_sel:DWORD dst_unused:UNUSED_PAD src0_sel:WORD_1
	s_waitcnt lgkmcnt(6)
	v_cvt_f32_f16_e32 v68, v22
	v_cvt_f32_f16_sdwa v22, v22 dst_sel:DWORD dst_unused:UNUSED_PAD src0_sel:WORD_1
	v_mfma_f32_16x16x16_f16 v[38:41], v[78:79], v[0:1], v[38:41]
	s_waitcnt lgkmcnt(4)
	v_cvt_f32_f16_sdwa v72, v34 dst_sel:DWORD dst_unused:UNUSED_PAD src0_sel:WORD_1
	s_waitcnt lgkmcnt(3)
	v_cvt_f32_f16_e32 v73, v35
	v_cvt_f32_f16_sdwa v74, v35 dst_sel:DWORD dst_unused:UNUSED_PAD src0_sel:WORD_1
	v_mfma_f32_16x16x16_f16 v[4:7], v[82:83], v[0:1], v[4:7]
	v_cvt_f32_f16_e32 v0, v23
	v_cvt_f32_f16_sdwa v1, v23 dst_sel:DWORD dst_unused:UNUSED_PAD src0_sel:WORD_1
	v_cvt_f32_f16_e32 v23, v34
	v_mfma_f32_16x16x16_f16 v[18:21], v[36:37], v[2:3], v[18:21]
	s_waitcnt lgkmcnt(2)
	v_cvt_f32_f16_e32 v75, v14
	v_cvt_f32_f16_sdwa v14, v14 dst_sel:DWORD dst_unused:UNUSED_PAD src0_sel:WORD_1
	v_mfma_f32_16x16x16_f16 v[30:33], v[76:77], v[2:3], v[30:33]
	s_waitcnt lgkmcnt(0)
	v_cvt_f32_f16_e32 v77, v15
	v_cvt_f32_f16_sdwa v15, v15 dst_sel:DWORD dst_unused:UNUSED_PAD src0_sel:WORD_1
	v_cvt_f32_f16_e32 v76, v42
	v_mfma_f32_16x16x16_f16 v[34:37], v[80:81], v[2:3], v[38:41]
	v_cvt_f32_f16_sdwa v42, v42 dst_sel:DWORD dst_unused:UNUSED_PAD src0_sel:WORD_1
	v_mfma_f32_16x16x16_f16 v[38:41], v[84:85], v[2:3], v[4:7]
	s_nop 2
	v_add_f32_e32 v4, v18, v43
	v_add_f32_e32 v6, v19, v16
	;; [unrolled: 1-line block ×10, first 2 shown]
	v_max3_f32 v14, v66, v14, v15
	v_add_f32_e32 v15, 0x40051340, v7
	v_add_f32_e32 v16, 0x40051340, v18
	;; [unrolled: 1-line block ×4, first 2 shown]
	v_max3_f32 v14, v14, v15, v16
	v_add_f32_e32 v15, 0x40051340, v19
	v_add_f32_e32 v16, 0x40051340, v20
	;; [unrolled: 1-line block ×4, first 2 shown]
	v_max3_f32 v14, v14, v15, v16
	v_add_f32_e32 v15, 0x40051340, v21
	v_add_f32_e32 v16, 0x40051340, v43
	;; [unrolled: 1-line block ×3, first 2 shown]
	v_max3_f32 v14, v14, v15, v16
	v_add_f32_e32 v15, 0x40051340, v68
	v_add_f32_e32 v16, 0x40051340, v72
	;; [unrolled: 1-line block ×4, first 2 shown]
	v_max3_f32 v14, v14, v15, v16
	v_add_f32_e32 v15, 0x40051340, v73
	v_add_f32_e32 v16, 0x40051340, v5
	;; [unrolled: 1-line block ×3, first 2 shown]
	v_max3_f32 v14, v14, v15, v16
	v_add_f32_e32 v15, 0x40051340, v3
	v_add_f32_e32 v16, 0x40051340, v2
	v_max3_f32 v14, v14, v15, v16
	v_add_f32_e32 v15, 0x40051340, v1
	v_add_f32_e32 v16, 0x40051340, v0
	v_max3_f32 v14, v14, v15, v16
	v_cndmask_b32_e32 v15, v67, v70, vcc
	v_lshlrev_b32_e32 v22, 2, v15
	ds_bpermute_b32 v15, v22, v14
	v_cmp_lt_i32_e32 vcc, v71, v69
	s_waitcnt lgkmcnt(0)
	v_max_f32_e32 v15, v15, v15
	v_max_f32_e32 v14, v14, v15
	v_cndmask_b32_e32 v15, v67, v71, vcc
	v_lshlrev_b32_e32 v23, 2, v15
	ds_bpermute_b32 v15, v23, v14
	s_waitcnt lgkmcnt(0)
	v_max_f32_e32 v15, v15, v15
	v_max_f32_e32 v16, v14, v15
	v_sub_f32_e32 v14, v4, v16
	v_mul_f32_e32 v4, 0x3fb8aa3b, v14
	v_fma_f32 v15, v14, s4, -v4
	v_rndne_f32_e32 v30, v4
	v_fmac_f32_e32 v15, 0x32a5705f, v14
	v_sub_f32_e32 v4, v4, v30
	v_add_f32_e32 v4, v4, v15
	v_exp_f32_e32 v4, v4
	v_cvt_i32_f32_e32 v15, v30
	v_cmp_ngt_f32_e32 vcc, s3, v14
	v_sub_f32_e32 v6, v6, v16
	v_sub_f32_e32 v7, v7, v16
	v_ldexp_f32 v4, v4, v15
	v_cndmask_b32_e32 v15, 0, v4, vcc
	v_mul_f32_e32 v4, 0x3fb8aa3b, v6
	v_fma_f32 v30, v6, s4, -v4
	v_rndne_f32_e32 v31, v4
	v_fmac_f32_e32 v30, 0x32a5705f, v6
	v_sub_f32_e32 v4, v4, v31
	v_add_f32_e32 v4, v4, v30
	v_exp_f32_e32 v32, v4
	v_cvt_i32_f32_e32 v31, v31
	v_mov_b32_e32 v4, 0x7f800000
	v_cmp_nlt_f32_e32 vcc, s2, v14
	v_sub_f32_e32 v5, v5, v16
	v_ldexp_f32 v14, v32, v31
	v_cndmask_b32_e32 v30, v4, v15, vcc
	v_mul_f32_e32 v15, 0x3fb8aa3b, v7
	v_fma_f32 v31, v7, s4, -v15
	v_rndne_f32_e32 v32, v15
	v_fmac_f32_e32 v31, 0x32a5705f, v7
	v_sub_f32_e32 v15, v15, v32
	v_add_f32_e32 v15, v15, v31
	v_exp_f32_e32 v15, v15
	v_cvt_i32_f32_e32 v32, v32
	v_cmp_ngt_f32_e32 vcc, s3, v6
	v_sub_f32_e32 v3, v3, v16
	v_sub_f32_e32 v2, v2, v16
	v_cndmask_b32_e32 v14, 0, v14, vcc
	v_cmp_nlt_f32_e32 vcc, s2, v6
	v_ldexp_f32 v6, v15, v32
	v_sub_f32_e32 v1, v1, v16
	v_cndmask_b32_e32 v31, v4, v14, vcc
	v_sub_f32_e32 v14, v18, v16
	v_mul_f32_e32 v15, 0x3fb8aa3b, v14
	v_fma_f32 v18, v14, s4, -v15
	v_rndne_f32_e32 v32, v15
	v_fmac_f32_e32 v18, 0x32a5705f, v14
	v_sub_f32_e32 v15, v15, v32
	v_add_f32_e32 v15, v15, v18
	v_exp_f32_e32 v15, v15
	v_cvt_i32_f32_e32 v18, v32
	v_cmp_ngt_f32_e32 vcc, s3, v7
	s_nop 1
	v_cndmask_b32_e32 v6, 0, v6, vcc
	v_cmp_nlt_f32_e32 vcc, s2, v7
	v_sub_f32_e32 v7, v19, v16
	s_nop 0
	v_cndmask_b32_e32 v32, v4, v6, vcc
	v_ldexp_f32 v6, v15, v18
	v_mul_f32_e32 v15, 0x3fb8aa3b, v7
	v_fma_f32 v18, v7, s4, -v15
	v_rndne_f32_e32 v19, v15
	v_fmac_f32_e32 v18, 0x32a5705f, v7
	v_sub_f32_e32 v15, v15, v19
	v_add_f32_e32 v15, v15, v18
	v_exp_f32_e32 v15, v15
	v_cvt_i32_f32_e32 v18, v19
	v_cmp_ngt_f32_e32 vcc, s3, v14
	s_nop 1
	v_cndmask_b32_e32 v6, 0, v6, vcc
	v_cmp_nlt_f32_e32 vcc, s2, v14
	v_sub_f32_e32 v14, v20, v16
	s_nop 0
	v_cndmask_b32_e32 v33, v4, v6, vcc
	v_ldexp_f32 v6, v15, v18
	v_mul_f32_e32 v15, 0x3fb8aa3b, v14
	v_fma_f32 v18, v14, s4, -v15
	v_rndne_f32_e32 v19, v15
	v_fmac_f32_e32 v18, 0x32a5705f, v14
	v_sub_f32_e32 v15, v15, v19
	v_add_f32_e32 v15, v15, v18
	v_exp_f32_e32 v15, v15
	v_cvt_i32_f32_e32 v18, v19
	v_cmp_ngt_f32_e32 vcc, s3, v7
	s_nop 1
	v_cndmask_b32_e32 v6, 0, v6, vcc
	v_cmp_nlt_f32_e32 vcc, s2, v7
	v_sub_f32_e32 v7, v21, v16
	s_nop 0
	v_cndmask_b32_e32 v34, v4, v6, vcc
	v_ldexp_f32 v6, v15, v18
	v_mul_f32_e32 v15, 0x3fb8aa3b, v7
	v_fma_f32 v18, v7, s4, -v15
	v_rndne_f32_e32 v19, v15
	v_fmac_f32_e32 v18, 0x32a5705f, v7
	v_sub_f32_e32 v15, v15, v19
	v_add_f32_e32 v15, v15, v18
	v_exp_f32_e32 v15, v15
	v_cvt_i32_f32_e32 v18, v19
	v_cmp_ngt_f32_e32 vcc, s3, v14
	s_nop 1
	v_cndmask_b32_e32 v6, 0, v6, vcc
	v_cmp_nlt_f32_e32 vcc, s2, v14
	v_sub_f32_e32 v14, v43, v16
	s_nop 0
	v_cndmask_b32_e32 v35, v4, v6, vcc
	v_ldexp_f32 v6, v15, v18
	v_mul_f32_e32 v15, 0x3fb8aa3b, v14
	v_fma_f32 v18, v14, s4, -v15
	v_rndne_f32_e32 v19, v15
	v_fmac_f32_e32 v18, 0x32a5705f, v14
	v_sub_f32_e32 v15, v15, v19
	v_add_f32_e32 v15, v15, v18
	v_exp_f32_e32 v15, v15
	v_cvt_i32_f32_e32 v18, v19
	v_cmp_ngt_f32_e32 vcc, s3, v7
	s_nop 1
	v_cndmask_b32_e32 v6, 0, v6, vcc
	v_cmp_nlt_f32_e32 vcc, s2, v7
	v_sub_f32_e32 v7, v68, v16
	s_nop 0
	v_cndmask_b32_e32 v36, v4, v6, vcc
	v_ldexp_f32 v6, v15, v18
	v_mul_f32_e32 v15, 0x3fb8aa3b, v7
	v_fma_f32 v18, v7, s4, -v15
	v_rndne_f32_e32 v19, v15
	v_fmac_f32_e32 v18, 0x32a5705f, v7
	v_sub_f32_e32 v15, v15, v19
	v_add_f32_e32 v15, v15, v18
	v_exp_f32_e32 v15, v15
	v_cvt_i32_f32_e32 v18, v19
	v_cmp_ngt_f32_e32 vcc, s3, v14
	s_nop 1
	v_cndmask_b32_e32 v6, 0, v6, vcc
	v_cmp_nlt_f32_e32 vcc, s2, v14
	v_sub_f32_e32 v14, v72, v16
	s_nop 0
	v_cndmask_b32_e32 v37, v4, v6, vcc
	v_ldexp_f32 v6, v15, v18
	v_mul_f32_e32 v15, 0x3fb8aa3b, v14
	v_fma_f32 v18, v14, s4, -v15
	v_rndne_f32_e32 v19, v15
	v_fmac_f32_e32 v18, 0x32a5705f, v14
	v_sub_f32_e32 v15, v15, v19
	v_add_f32_e32 v15, v15, v18
	v_exp_f32_e32 v15, v15
	v_cvt_i32_f32_e32 v18, v19
	v_cmp_ngt_f32_e32 vcc, s3, v7
	s_nop 1
	v_cndmask_b32_e32 v6, 0, v6, vcc
	v_cmp_nlt_f32_e32 vcc, s2, v7
	v_sub_f32_e32 v7, v73, v16
	s_nop 0
	v_cndmask_b32_e32 v38, v4, v6, vcc
	v_ldexp_f32 v6, v15, v18
	v_mul_f32_e32 v15, 0x3fb8aa3b, v7
	v_fma_f32 v18, v7, s4, -v15
	v_rndne_f32_e32 v19, v15
	v_fmac_f32_e32 v18, 0x32a5705f, v7
	v_sub_f32_e32 v15, v15, v19
	v_add_f32_e32 v15, v15, v18
	v_exp_f32_e32 v15, v15
	v_cvt_i32_f32_e32 v18, v19
	v_cmp_ngt_f32_e32 vcc, s3, v14
	s_nop 1
	v_cndmask_b32_e32 v6, 0, v6, vcc
	v_cmp_nlt_f32_e32 vcc, s2, v14
	s_nop 1
	v_cndmask_b32_e32 v39, v4, v6, vcc
	v_ldexp_f32 v6, v15, v18
	v_cmp_ngt_f32_e32 vcc, s3, v7
	s_nop 1
	v_cndmask_b32_e32 v6, 0, v6, vcc
	v_cmp_nlt_f32_e32 vcc, s2, v7
	s_nop 1
	v_cndmask_b32_e32 v40, v4, v6, vcc
	v_mul_f32_e32 v6, 0x3fb8aa3b, v5
	v_fma_f32 v7, v5, s4, -v6
	v_rndne_f32_e32 v14, v6
	v_fmac_f32_e32 v7, 0x32a5705f, v5
	v_sub_f32_e32 v6, v6, v14
	v_add_f32_e32 v6, v6, v7
	v_exp_f32_e32 v15, v6
	v_mul_lo_u32 v6, v8, s9
	v_mul_hi_u32 v7, v8, s8
	v_add_u32_e32 v6, v7, v6
	v_mul_lo_u32 v7, v9, s8
	v_add_u32_e32 v7, v6, v7
	v_mul_lo_u32 v6, v8, s8
	v_lshlrev_b64 v[6:7], 2, v[6:7]
	v_lshl_add_u64 v[6:7], s[0:1], 0, v[6:7]
	v_lshl_add_u64 v[8:9], v[24:25], 2, v[6:7]
	;; [unrolled: 1-line block ×5, first 2 shown]
	global_load_dwordx4 v[18:21], v[8:9], off
	global_load_dwordx4 v[68:71], v[6:7], off
	v_mul_f32_e32 v7, 0x3fb8aa3b, v3
	v_cvt_i32_f32_e32 v14, v14
	v_fma_f32 v8, v3, s4, -v7
	v_rndne_f32_e32 v9, v7
	v_fmac_f32_e32 v8, 0x32a5705f, v3
	v_sub_f32_e32 v7, v7, v9
	v_add_f32_e32 v7, v7, v8
	v_exp_f32_e32 v7, v7
	v_cvt_i32_f32_e32 v8, v9
	v_ldexp_f32 v6, v15, v14
	v_cmp_ngt_f32_e32 vcc, s3, v5
	v_sub_f32_e32 v10, v0, v16
	v_mul_f32_e32 v0, 0x3fb8aa3b, v10
	v_cndmask_b32_e32 v6, 0, v6, vcc
	v_cmp_nlt_f32_e32 vcc, s2, v5
	v_ldexp_f32 v5, v7, v8
	s_mov_b32 s0, 0xc1a00000
	v_cndmask_b32_e32 v24, v4, v6, vcc
	v_mul_f32_e32 v6, 0x3fb8aa3b, v2
	v_fma_f32 v7, v2, s4, -v6
	v_rndne_f32_e32 v8, v6
	v_fmac_f32_e32 v7, 0x32a5705f, v2
	v_sub_f32_e32 v6, v6, v8
	v_add_f32_e32 v6, v6, v7
	v_exp_f32_e32 v6, v6
	v_cvt_i32_f32_e32 v7, v8
	v_cmp_ngt_f32_e32 vcc, s3, v3
	s_waitcnt vmcnt(1)
	ds_write_b128 v12, v[18:21]
	s_waitcnt vmcnt(0)
	ds_write_b128 v13, v[68:71]
	v_cndmask_b32_e32 v5, 0, v5, vcc
	v_cmp_nlt_f32_e32 vcc, s2, v3
	v_ldexp_f32 v3, v6, v7
	s_waitcnt lgkmcnt(0)
	v_cndmask_b32_e32 v25, v4, v5, vcc
	v_mul_f32_e32 v5, 0x3fb8aa3b, v1
	v_fma_f32 v6, v1, s4, -v5
	v_rndne_f32_e32 v7, v5
	v_fmac_f32_e32 v6, 0x32a5705f, v1
	v_sub_f32_e32 v5, v5, v7
	v_add_f32_e32 v5, v5, v6
	v_exp_f32_e32 v5, v5
	v_cvt_i32_f32_e32 v6, v7
	v_cmp_ngt_f32_e32 vcc, s3, v2
	s_barrier
	s_nop 0
	v_cndmask_b32_e32 v3, 0, v3, vcc
	v_cmp_nlt_f32_e32 vcc, s2, v2
	v_ldexp_f32 v2, v5, v6
	v_sub_f32_e32 v6, v66, v16
	v_mul_f32_e32 v7, 0x3fb8aa3b, v6
	v_fma_f32 v8, v6, s4, -v7
	v_rndne_f32_e32 v9, v7
	v_fmac_f32_e32 v8, 0x32a5705f, v6
	v_sub_f32_e32 v7, v7, v9
	v_add_f32_e32 v7, v7, v8
	v_exp_f32_e32 v7, v7
	v_cvt_i32_f32_e32 v8, v9
	v_cndmask_b32_e32 v28, v4, v3, vcc
	v_fma_f32 v3, v10, s4, -v0
	v_rndne_f32_e32 v5, v0
	v_cmp_ngt_f32_e32 vcc, s3, v1
	v_fmac_f32_e32 v3, 0x32a5705f, v10
	v_sub_f32_e32 v0, v0, v5
	v_cndmask_b32_e32 v2, 0, v2, vcc
	v_add_f32_e32 v0, v0, v3
	v_cvt_i32_f32_e32 v3, v5
	v_ldexp_f32 v5, v7, v8
	v_cmp_ngt_f32_e32 vcc, s3, v6
	v_exp_f32_e32 v0, v0
	v_add3_u32 v9, 0, v63, v61
	v_cndmask_b32_e32 v5, 0, v5, vcc
	v_cmp_nlt_f32_e32 vcc, s2, v6
	v_add3_u32 v7, 0, v64, v61
	v_ldexp_f32 v14, v0, v3
	v_cndmask_b32_e32 v5, v4, v5, vcc
	v_cmp_le_f32_e32 vcc, s0, v6
	s_mov_b32 s0, 0x5040100
	v_cvt_pk_f16_f32 v21, v40, v24
	v_cndmask_b32_e32 v29, 0, v5, vcc
	v_cvt_f16_f32_e32 v5, v29
	v_cmp_nlt_f32_e32 vcc, s2, v1
	s_mov_b32 s1, 0
	v_mul_u32_u24_e32 v8, 0x10001, v5
	v_add3_u32 v5, 0, v62, v61
	ds_read_u16 v12, v9
	ds_read_u16 v6, v9 offset:32
	ds_read_u16 v15, v9 offset:2304
	;; [unrolled: 1-line block ×7, first 2 shown]
	ds_read_u16 v13, v7
	ds_read_u16 v69, v7 offset:32
	ds_read_u16 v20, v7 offset:2304
	;; [unrolled: 1-line block ×7, first 2 shown]
	v_pk_mul_f16 v1, v101, v8
	v_pk_mul_f16 v3, v100, v8
	s_waitcnt lgkmcnt(7)
	v_perm_b32 v19, v13, v12, s0
	ds_read_u16 v12, v5 offset:144
	ds_read_u16 v13, v5
	ds_read_u16 v75, v5 offset:32
	ds_read_u16 v76, v5 offset:176
	;; [unrolled: 1-line block ×6, first 2 shown]
	s_waitcnt lgkmcnt(6)
	v_perm_b32 v18, v12, v13, s0
	v_cndmask_b32_e32 v41, v4, v2, vcc
	v_cvt_f32_f16_e32 v0, v1
	v_cvt_f32_f16_sdwa v1, v1 dst_sel:DWORD dst_unused:UNUSED_PAD src0_sel:WORD_1
	v_cvt_f32_f16_e32 v2, v3
	v_cvt_f32_f16_sdwa v3, v3 dst_sel:DWORD dst_unused:UNUSED_PAD src0_sel:WORD_1
	v_cvt_pk_f16_f32 v13, v32, v33
	v_cvt_pk_f16_f32 v12, v30, v31
	v_cmp_ngt_f32_e32 vcc, s3, v10
	v_perm_b32 v11, v70, v11, s0
	v_mfma_f32_16x16x16_f16 v[0:3], v[18:19], v[12:13], v[0:3]
	v_perm_b32 v19, v20, v15, s0
	ds_read_u16 v15, v5 offset:2304
	ds_read_u16 v18, v5 offset:2448
	;; [unrolled: 1-line block ×8, first 2 shown]
	s_waitcnt lgkmcnt(6)
	v_perm_b32 v18, v18, v15, s0
	v_cvt_f16_f32_e32 v0, v0
	v_cvt_f16_f32_e32 v1, v1
	;; [unrolled: 1-line block ×4, first 2 shown]
	v_cvt_f32_f16_e32 v0, v0
	v_cvt_f32_f16_e32 v1, v1
	;; [unrolled: 1-line block ×4, first 2 shown]
	v_cndmask_b32_e32 v14, 0, v14, vcc
	v_cmp_nlt_f32_e32 vcc, s2, v10
	v_cvt_pk_f16_f32 v15, v36, v37
	v_cvt_pk_f16_f32 v20, v38, v39
	v_cndmask_b32_e32 v87, v4, v14, vcc
	v_cvt_pk_f16_f32 v14, v34, v35
	ds_read_u16 v4, v9 offset:4608
	ds_read_u16 v10, v9 offset:6912
	;; [unrolled: 1-line block ×16, first 2 shown]
	v_mfma_f32_16x16x16_f16 v[0:3], v[18:19], v[14:15], v[0:3]
	s_waitcnt lgkmcnt(7)
	v_perm_b32 v19, v9, v4, s0
	ds_read_u16 v4, v5 offset:4608
	ds_read_u16 v7, v5 offset:4752
	ds_read_u16 v9, v5 offset:4640
	ds_read_u16 v101, v5 offset:4784
	ds_read_u16 v102, v5 offset:4672
	ds_read_u16 v103, v5 offset:4816
	ds_read_u16 v104, v5 offset:4848
	ds_read_u16 v105, v5 offset:4704
	s_waitcnt lgkmcnt(6)
	v_perm_b32 v18, v7, v4, s0
	v_pk_mul_f16 v4, v99, v8
	v_perm_b32 v63, v62, v10, s0
	ds_read_u16 v7, v5 offset:6912
	ds_read_u16 v10, v5 offset:7056
	;; [unrolled: 1-line block ×8, first 2 shown]
	s_waitcnt lgkmcnt(6)
	v_perm_b32 v62, v10, v7, s0
	v_pk_mul_f16 v7, v47, v8
	v_cvt_f32_f16_e32 v66, v4
	v_cvt_f32_f16_sdwa v67, v4 dst_sel:DWORD dst_unused:UNUSED_PAD src0_sel:WORD_1
	v_perm_b32 v5, v69, v6, s0
	v_perm_b32 v4, v76, v75, s0
	v_cvt_f32_f16_e32 v68, v7
	v_cvt_f32_f16_sdwa v69, v7 dst_sel:DWORD dst_unused:UNUSED_PAD src0_sel:WORD_1
	v_perm_b32 v10, v82, v81, s0
	v_cvt_f16_f32_e32 v0, v0
	v_mfma_f32_16x16x16_f16 v[4:7], v[4:5], v[12:13], v[66:69]
	v_cvt_f16_f32_e32 v1, v1
	v_cvt_f16_f32_e32 v2, v2
	;; [unrolled: 1-line block ×3, first 2 shown]
	v_cvt_f32_f16_e32 v0, v0
	s_nop 3
	v_cvt_f16_f32_e32 v4, v4
	v_cvt_f16_f32_e32 v5, v5
	;; [unrolled: 1-line block ×4, first 2 shown]
	v_cvt_f32_f16_e32 v4, v4
	v_cvt_f32_f16_e32 v5, v5
	;; [unrolled: 1-line block ×6, first 2 shown]
	v_mfma_f32_16x16x16_f16 v[4:7], v[10:11], v[14:15], v[4:7]
	v_perm_b32 v11, v94, v88, s0
	v_perm_b32 v10, v101, v9, s0
	v_cvt_f32_f16_e32 v3, v3
	v_pk_mul_f16 v9, v46, v8
	s_nop 3
	v_cvt_f16_f32_e32 v4, v4
	v_cvt_f16_f32_e32 v5, v5
	;; [unrolled: 1-line block ×4, first 2 shown]
	v_cvt_f32_f16_e32 v4, v4
	v_cvt_f32_f16_e32 v5, v5
	;; [unrolled: 1-line block ×4, first 2 shown]
	v_mfma_f32_16x16x16_f16 v[0:3], v[18:19], v[20:21], v[0:3]
	v_cvt_pk_f16_f32 v19, v41, v87
	v_cvt_pk_f16_f32 v18, v25, v28
	v_pk_mul_f16 v45, v45, v8
	v_mfma_f32_16x16x16_f16 v[4:7], v[10:11], v[20:21], v[4:7]
	v_perm_b32 v11, v95, v89, s0
	s_waitcnt lgkmcnt(4)
	v_perm_b32 v10, v106, v99, s0
	v_cvt_f32_f16_e32 v66, v9
	v_cvt_f32_f16_sdwa v67, v9 dst_sel:DWORD dst_unused:UNUSED_PAD src0_sel:WORD_1
	v_cvt_f32_f16_e32 v68, v45
	s_nop 1
	v_cvt_f16_f32_e32 v4, v4
	v_cvt_f16_f32_e32 v5, v5
	;; [unrolled: 1-line block ×4, first 2 shown]
	v_cvt_f32_f16_e32 v4, v4
	v_cvt_f32_f16_e32 v5, v5
	v_cvt_f32_f16_e32 v6, v6
	v_cvt_f32_f16_e32 v7, v7
	v_cvt_f32_f16_sdwa v69, v45 dst_sel:DWORD dst_unused:UNUSED_PAD src0_sel:WORD_1
	v_pk_mul_f16 v17, v17, v8
	v_mfma_f32_16x16x16_f16 v[4:7], v[10:11], v[18:19], v[4:7]
	v_perm_b32 v11, v71, v42, s0
	v_perm_b32 v10, v78, v77, s0
	v_cvt_f16_f32_e32 v0, v0
	v_cvt_f16_f32_e32 v1, v1
	v_mfma_f32_16x16x16_f16 v[66:69], v[10:11], v[12:13], v[66:69]
	v_cvt_f16_f32_e32 v2, v2
	v_cvt_f16_f32_e32 v3, v3
	v_cvt_f32_f16_e32 v0, v0
	s_nop 4
	v_cvt_f16_f32_e32 v10, v67
	v_cvt_f16_f32_e32 v11, v68
	;; [unrolled: 1-line block ×4, first 2 shown]
	v_cvt_f32_f16_e32 v67, v10
	v_cvt_f32_f16_e32 v68, v11
	v_perm_b32 v11, v72, v43, s0
	v_perm_b32 v10, v84, v83, s0
	v_cvt_f32_f16_e32 v66, v9
	v_cvt_f32_f16_e32 v69, v42
	v_add_f32_e32 v9, v30, v31
	v_add_f32_e32 v9, v32, v9
	v_mfma_f32_16x16x16_f16 v[66:69], v[10:11], v[14:15], v[66:69]
	v_add_f32_e32 v9, v33, v9
	v_add_f32_e32 v9, v34, v9
	v_pk_mul_f16 v34, v44, v8
	v_add_f32_e32 v42, v35, v9
	s_nop 3
	v_cvt_f16_f32_e32 v10, v66
	v_cvt_f16_f32_e32 v11, v67
	;; [unrolled: 1-line block ×4, first 2 shown]
	v_cvt_f32_f16_e32 v66, v10
	v_cvt_f32_f16_e32 v67, v11
	v_perm_b32 v11, v96, v90, s0
	v_perm_b32 v10, v103, v102, s0
	v_cvt_f32_f16_e32 v68, v30
	v_cvt_f32_f16_e32 v69, v31
	v_perm_b32 v35, v74, v64, s0
	v_cvt_f32_f16_e32 v1, v1
	v_mfma_f32_16x16x16_f16 v[30:33], v[10:11], v[20:21], v[66:69]
	v_cvt_f32_f16_e32 v2, v2
	v_cvt_f32_f16_e32 v3, v3
	v_cmp_gt_u32_e32 vcc, 16, v56
	s_waitcnt lgkmcnt(0)
	s_nop 3
	v_cvt_f16_f32_e32 v10, v30
	v_cvt_f16_f32_e32 v11, v31
	;; [unrolled: 1-line block ×4, first 2 shown]
	v_cvt_f32_f16_e32 v30, v10
	v_cvt_f32_f16_e32 v31, v11
	v_perm_b32 v11, v97, v91, s0
	v_perm_b32 v10, v108, v107, s0
	v_cvt_f32_f16_e32 v32, v32
	v_cvt_f32_f16_e32 v33, v33
	v_mfma_f32_16x16x16_f16 v[0:3], v[62:63], v[18:19], v[0:3]
	s_barrier
	v_mfma_f32_16x16x16_f16 v[8:11], v[10:11], v[18:19], v[30:33]
	s_barrier
	s_nop 1
	v_cvt_f32_f16_e32 v30, v34
	v_cvt_f32_f16_sdwa v31, v34 dst_sel:DWORD dst_unused:UNUSED_PAD src0_sel:WORD_1
	v_perm_b32 v34, v79, v80, s0
	v_cvt_f32_f16_e32 v32, v17
	v_cvt_f32_f16_sdwa v33, v17 dst_sel:DWORD dst_unused:UNUSED_PAD src0_sel:WORD_1
	v_add_f32_e32 v17, v36, v42
	v_add_f32_e32 v17, v37, v17
	v_mfma_f32_16x16x16_f16 v[30:33], v[34:35], v[12:13], v[30:33]
	v_add_f32_e32 v17, v38, v17
	v_add_f32_e32 v17, v39, v17
	;; [unrolled: 1-line block ×4, first 2 shown]
	s_nop 3
	v_cvt_f16_f32_e32 v12, v30
	v_cvt_f16_f32_e32 v13, v31
	;; [unrolled: 1-line block ×4, first 2 shown]
	v_cvt_f32_f16_e32 v30, v12
	v_cvt_f32_f16_e32 v31, v13
	v_perm_b32 v13, v73, v61, s0
	v_perm_b32 v12, v85, v86, s0
	v_cvt_f32_f16_e32 v32, v32
	v_cvt_f32_f16_e32 v33, v33
	v_add_f32_e32 v17, v25, v17
	v_add_f32_e32 v17, v28, v17
	v_mfma_f32_16x16x16_f16 v[12:15], v[12:13], v[14:15], v[30:33]
	v_add_f32_e32 v17, v41, v17
	v_add_f32_e32 v17, v87, v17
	s_nop 0
	v_perm_b32 v31, v100, v93, s0
	v_perm_b32 v30, v104, v105, s0
	s_nop 2
	v_cvt_f16_f32_e32 v12, v12
	v_cvt_f16_f32_e32 v13, v13
	;; [unrolled: 1-line block ×4, first 2 shown]
	v_cvt_f32_f16_e32 v12, v12
	v_cvt_f32_f16_e32 v13, v13
	;; [unrolled: 1-line block ×4, first 2 shown]
	v_fmac_f32_e32 v17, v65, v29
	ds_bpermute_b32 v22, v22, v17
	v_mfma_f32_16x16x16_f16 v[12:15], v[30:31], v[20:21], v[12:15]
	v_perm_b32 v21, v98, v92, s0
	v_perm_b32 v20, v109, v110, s0
	s_waitcnt lgkmcnt(0)
	v_add_f32_e32 v17, v17, v22
	s_nop 3
	v_cvt_f16_f32_e32 v12, v12
	v_cvt_f16_f32_e32 v13, v13
	v_cvt_f16_f32_e32 v14, v14
	v_cvt_f16_f32_e32 v15, v15
	v_cvt_f32_f16_e32 v12, v12
	v_cvt_f32_f16_e32 v13, v13
	;; [unrolled: 1-line block ×4, first 2 shown]
	s_nop 1
	v_mfma_f32_16x16x16_f16 v[12:15], v[20:21], v[18:19], v[12:15]
	ds_bpermute_b32 v18, v23, v17
	s_and_saveexec_b64 s[4:5], vcc
	s_cbranch_execz .LBB0_240
; %bb.239:
	v_readlane_b32 s0, v127, 7
	s_add_i32 s0, s0, s25
	s_lshl_b32 s0, s0, 6
	s_lshl_b64 s[2:3], s[0:1], 3
	s_add_u32 s2, s22, s2
	s_addc_u32 s3, s23, s3
	v_or_b32_e32 v20, v59, v56
	v_mov_b32_e32 v21, 0
	v_lshl_add_u64 v[20:21], v[20:21], 3, s[2:3]
	s_waitcnt lgkmcnt(0)
	v_add_f32_e32 v17, v17, v18
	global_store_dwordx2 v[20:21], v[16:17], off
.LBB0_240:
	s_or_b64 exec, exec, s[4:5]
	v_readlane_b32 s4, v127, 4
	v_readlane_b32 s5, v127, 5
	s_load_dword s0, s[4:5], 0x0
	s_load_dword s2, s[4:5], 0x10
	v_cvt_pk_f16_f32 v2, v2, v3
	v_cvt_pk_f16_f32 v3, v4, v5
	v_cvt_pk_f16_f32 v5, v8, v9
	v_or_b32_e32 v8, v59, v57
	s_waitcnt lgkmcnt(0)
	s_lshr_b32 s2, s2, 16
	s_cmp_lg_u32 s2, 0
	s_cselect_b64 s[2:3], -1, 0
	v_mul_i32_i24_e32 v8, 0x90, v8
	s_cmp_lg_u64 s[2:3], 0
	v_cvt_pk_f16_f32 v0, v0, v1
	v_add3_u32 v8, 0, v58, v8
	s_addc_u32 s0, s0, 0
	v_cvt_pk_f16_f32 v1, v6, v7
	v_cvt_pk_f16_f32 v4, v10, v11
	;; [unrolled: 1-line block ×4, first 2 shown]
	s_lshl_b32 s0, s0, 7
	ds_write2_b32 v8, v0, v2 offset1:1
	ds_write2_b32 v8, v3, v1 offset0:8 offset1:9
	ds_write2_b32 v8, v5, v4 offset0:16 offset1:17
	;; [unrolled: 1-line block ×3, first 2 shown]
	v_add_u32_e32 v0, v48, v60
	s_lshl_b32 s2, s25, 11
	s_mov_b32 s3, s1
	s_lshl_b64 s[0:1], s[0:1], 3
	s_waitcnt lgkmcnt(0)
	s_barrier
	ds_read_b32 v3, v0
	v_add_u32_e32 v7, 0x80, v0
	s_add_u32 s5, s22, s0
	ds_read2st64_b32 v[0:1], v7 offset0:4 offset1:13
	s_addc_u32 s6, s23, s1
	s_lshl_b64 s[0:1], s[2:3], 3
	v_and_b32_e32 v2, 15, v27
	s_movk_i32 s2, 0x1ff0
	s_movk_i32 s4, 0x90
	v_and_or_b32 v4, v50, s2, v2
	v_and_or_b32 v5, v52, s2, v2
	;; [unrolled: 1-line block ×3, first 2 shown]
	v_mad_u32_u24 v4, v4, s4, v48
	v_mad_u32_u24 v2, v2, s4, v48
	;; [unrolled: 1-line block ×3, first 2 shown]
	ds_read_b32 v8, v4
	ds_read_b32 v9, v5
	;; [unrolled: 1-line block ×3, first 2 shown]
	s_waitcnt lgkmcnt(4)
	v_cvt_f32_f16_e32 v2, v3
	v_cvt_f32_f16_sdwa v3, v3 dst_sel:DWORD dst_unused:UNUSED_PAD src0_sel:WORD_1
	s_waitcnt lgkmcnt(3)
	v_cvt_f32_f16_e32 v4, v0
	v_cvt_f32_f16_sdwa v5, v0 dst_sel:DWORD dst_unused:UNUSED_PAD src0_sel:WORD_1
	s_add_u32 s0, s5, s0
	v_lshlrev_b32_e32 v6, 3, v26
	s_addc_u32 s1, s6, s1
	v_lshl_or_b32 v11, v27, 8, v6
	v_pk_add_f32 v[2:3], v[2:3], 0 op_sel_hi:[1,0]
	global_store_dwordx2 v11, v[2:3], s[0:1]
	v_lshl_or_b32 v0, v49, 8, v6
	v_pk_add_f32 v[2:3], v[4:5], 0 op_sel_hi:[1,0]
	global_store_dwordx2 v0, v[2:3], s[0:1]
	s_waitcnt lgkmcnt(2)
	v_cvt_f32_f16_e32 v2, v8
	v_cvt_f32_f16_sdwa v3, v8 dst_sel:DWORD dst_unused:UNUSED_PAD src0_sel:WORD_1
	v_lshl_or_b32 v4, v50, 8, v6
	v_cvt_f32_f16_e32 v0, v1
	v_cvt_f32_f16_sdwa v1, v1 dst_sel:DWORD dst_unused:UNUSED_PAD src0_sel:WORD_1
	v_pk_add_f32 v[2:3], v[2:3], 0 op_sel_hi:[1,0]
	global_store_dwordx2 v4, v[2:3], s[0:1]
	ds_read2st64_b32 v[2:3], v7 offset0:22 offset1:31
	v_lshl_or_b32 v4, v51, 8, v6
	v_pk_add_f32 v[0:1], v[0:1], 0 op_sel_hi:[1,0]
	global_store_dwordx2 v4, v[0:1], s[0:1]
	s_waitcnt lgkmcnt(2)
	v_cvt_f32_f16_e32 v0, v9
	v_cvt_f32_f16_sdwa v1, v9 dst_sel:DWORD dst_unused:UNUSED_PAD src0_sel:WORD_1
	s_waitcnt lgkmcnt(0)
	v_cvt_f32_f16_e32 v4, v2
	v_cvt_f32_f16_sdwa v5, v2 dst_sel:DWORD dst_unused:UNUSED_PAD src0_sel:WORD_1
	v_lshl_or_b32 v7, v52, 8, v6
	v_pk_add_f32 v[0:1], v[0:1], 0 op_sel_hi:[1,0]
	global_store_dwordx2 v7, v[0:1], s[0:1]
	v_lshl_or_b32 v2, v53, 8, v6
	v_pk_add_f32 v[0:1], v[4:5], 0 op_sel_hi:[1,0]
	global_store_dwordx2 v2, v[0:1], s[0:1]
	v_cvt_f32_f16_e32 v0, v10
	v_cvt_f32_f16_sdwa v1, v10 dst_sel:DWORD dst_unused:UNUSED_PAD src0_sel:WORD_1
	v_cvt_f32_f16_e32 v2, v3
	v_cvt_f32_f16_sdwa v3, v3 dst_sel:DWORD dst_unused:UNUSED_PAD src0_sel:WORD_1
	v_lshl_or_b32 v4, v54, 8, v6
	v_pk_add_f32 v[0:1], v[0:1], 0 op_sel_hi:[1,0]
	global_store_dwordx2 v4, v[0:1], s[0:1]
	v_lshl_or_b32 v4, v55, 8, v6
	v_pk_add_f32 v[0:1], v[2:3], 0 op_sel_hi:[1,0]
	global_store_dwordx2 v4, v[0:1], s[0:1]
.LBB0_241:
	s_endpgm
	.section	.rodata,"a",@progbits
	.p2align	6, 0x0
	.amdhsa_kernel _ZL18flash_attn_ext_f16ILi64ELi64ELi8ELi8ELb0ELb0EEvPKcS1_S1_S1_S1_PKiPfP15HIP_vector_typeIfLj2EEffffjfiS5_IjLj3EEiiiiiiiiiiiliiliiiiil
		.amdhsa_group_segment_fixed_size 0
		.amdhsa_private_segment_fixed_size 108
		.amdhsa_kernarg_size 464
		.amdhsa_user_sgpr_count 2
		.amdhsa_user_sgpr_dispatch_ptr 0
		.amdhsa_user_sgpr_queue_ptr 0
		.amdhsa_user_sgpr_kernarg_segment_ptr 1
		.amdhsa_user_sgpr_dispatch_id 0
		.amdhsa_user_sgpr_kernarg_preload_length 0
		.amdhsa_user_sgpr_kernarg_preload_offset 0
		.amdhsa_user_sgpr_private_segment_size 0
		.amdhsa_uses_dynamic_stack 0
		.amdhsa_enable_private_segment 1
		.amdhsa_system_sgpr_workgroup_id_x 1
		.amdhsa_system_sgpr_workgroup_id_y 0
		.amdhsa_system_sgpr_workgroup_id_z 0
		.amdhsa_system_sgpr_workgroup_info 0
		.amdhsa_system_vgpr_workitem_id 1
		.amdhsa_next_free_vgpr 128
		.amdhsa_next_free_sgpr 100
		.amdhsa_accum_offset 128
		.amdhsa_reserve_vcc 1
		.amdhsa_float_round_mode_32 0
		.amdhsa_float_round_mode_16_64 0
		.amdhsa_float_denorm_mode_32 3
		.amdhsa_float_denorm_mode_16_64 3
		.amdhsa_dx10_clamp 1
		.amdhsa_ieee_mode 1
		.amdhsa_fp16_overflow 0
		.amdhsa_tg_split 0
		.amdhsa_exception_fp_ieee_invalid_op 0
		.amdhsa_exception_fp_denorm_src 0
		.amdhsa_exception_fp_ieee_div_zero 0
		.amdhsa_exception_fp_ieee_overflow 0
		.amdhsa_exception_fp_ieee_underflow 0
		.amdhsa_exception_fp_ieee_inexact 0
		.amdhsa_exception_int_div_zero 0
	.end_amdhsa_kernel
	.section	.text._ZL18flash_attn_ext_f16ILi64ELi64ELi8ELi8ELb0ELb0EEvPKcS1_S1_S1_S1_PKiPfP15HIP_vector_typeIfLj2EEffffjfiS5_IjLj3EEiiiiiiiiiiiliiliiiiil,"axG",@progbits,_ZL18flash_attn_ext_f16ILi64ELi64ELi8ELi8ELb0ELb0EEvPKcS1_S1_S1_S1_PKiPfP15HIP_vector_typeIfLj2EEffffjfiS5_IjLj3EEiiiiiiiiiiiliiliiiiil,comdat
.Lfunc_end0:
	.size	_ZL18flash_attn_ext_f16ILi64ELi64ELi8ELi8ELb0ELb0EEvPKcS1_S1_S1_S1_PKiPfP15HIP_vector_typeIfLj2EEffffjfiS5_IjLj3EEiiiiiiiiiiiliiliiiiil, .Lfunc_end0-_ZL18flash_attn_ext_f16ILi64ELi64ELi8ELi8ELb0ELb0EEvPKcS1_S1_S1_S1_PKiPfP15HIP_vector_typeIfLj2EEffffjfiS5_IjLj3EEiiiiiiiiiiiliiliiiiil
                                        ; -- End function
	.set _ZL18flash_attn_ext_f16ILi64ELi64ELi8ELi8ELb0ELb0EEvPKcS1_S1_S1_S1_PKiPfP15HIP_vector_typeIfLj2EEffffjfiS5_IjLj3EEiiiiiiiiiiiliiliiiiil.num_vgpr, 128
	.set _ZL18flash_attn_ext_f16ILi64ELi64ELi8ELi8ELb0ELb0EEvPKcS1_S1_S1_S1_PKiPfP15HIP_vector_typeIfLj2EEffffjfiS5_IjLj3EEiiiiiiiiiiiliiliiiiil.num_agpr, 0
	.set _ZL18flash_attn_ext_f16ILi64ELi64ELi8ELi8ELb0ELb0EEvPKcS1_S1_S1_S1_PKiPfP15HIP_vector_typeIfLj2EEffffjfiS5_IjLj3EEiiiiiiiiiiiliiliiiiil.numbered_sgpr, 100
	.set _ZL18flash_attn_ext_f16ILi64ELi64ELi8ELi8ELb0ELb0EEvPKcS1_S1_S1_S1_PKiPfP15HIP_vector_typeIfLj2EEffffjfiS5_IjLj3EEiiiiiiiiiiiliiliiiiil.num_named_barrier, 0
	.set _ZL18flash_attn_ext_f16ILi64ELi64ELi8ELi8ELb0ELb0EEvPKcS1_S1_S1_S1_PKiPfP15HIP_vector_typeIfLj2EEffffjfiS5_IjLj3EEiiiiiiiiiiiliiliiiiil.private_seg_size, 108
	.set _ZL18flash_attn_ext_f16ILi64ELi64ELi8ELi8ELb0ELb0EEvPKcS1_S1_S1_S1_PKiPfP15HIP_vector_typeIfLj2EEffffjfiS5_IjLj3EEiiiiiiiiiiiliiliiiiil.uses_vcc, 1
	.set _ZL18flash_attn_ext_f16ILi64ELi64ELi8ELi8ELb0ELb0EEvPKcS1_S1_S1_S1_PKiPfP15HIP_vector_typeIfLj2EEffffjfiS5_IjLj3EEiiiiiiiiiiiliiliiiiil.uses_flat_scratch, 0
	.set _ZL18flash_attn_ext_f16ILi64ELi64ELi8ELi8ELb0ELb0EEvPKcS1_S1_S1_S1_PKiPfP15HIP_vector_typeIfLj2EEffffjfiS5_IjLj3EEiiiiiiiiiiiliiliiiiil.has_dyn_sized_stack, 0
	.set _ZL18flash_attn_ext_f16ILi64ELi64ELi8ELi8ELb0ELb0EEvPKcS1_S1_S1_S1_PKiPfP15HIP_vector_typeIfLj2EEffffjfiS5_IjLj3EEiiiiiiiiiiiliiliiiiil.has_recursion, 0
	.set _ZL18flash_attn_ext_f16ILi64ELi64ELi8ELi8ELb0ELb0EEvPKcS1_S1_S1_S1_PKiPfP15HIP_vector_typeIfLj2EEffffjfiS5_IjLj3EEiiiiiiiiiiiliiliiiiil.has_indirect_call, 0
	.section	.AMDGPU.csdata,"",@progbits
; Kernel info:
; codeLenInByte = 40428
; TotalNumSgprs: 106
; NumVgprs: 128
; NumAgprs: 0
; TotalNumVgprs: 128
; ScratchSize: 108
; MemoryBound: 0
; FloatMode: 240
; IeeeMode: 1
; LDSByteSize: 0 bytes/workgroup (compile time only)
; SGPRBlocks: 13
; VGPRBlocks: 15
; NumSGPRsForWavesPerEU: 106
; NumVGPRsForWavesPerEU: 128
; AccumOffset: 128
; Occupancy: 4
; WaveLimiterHint : 0
; COMPUTE_PGM_RSRC2:SCRATCH_EN: 1
; COMPUTE_PGM_RSRC2:USER_SGPR: 2
; COMPUTE_PGM_RSRC2:TRAP_HANDLER: 0
; COMPUTE_PGM_RSRC2:TGID_X_EN: 1
; COMPUTE_PGM_RSRC2:TGID_Y_EN: 0
; COMPUTE_PGM_RSRC2:TGID_Z_EN: 0
; COMPUTE_PGM_RSRC2:TIDIG_COMP_CNT: 1
; COMPUTE_PGM_RSRC3_GFX90A:ACCUM_OFFSET: 31
; COMPUTE_PGM_RSRC3_GFX90A:TG_SPLIT: 0
	.text
	.p2align	2                               ; -- Begin function __ockl_printf_append_string_n
	.type	__ockl_printf_append_string_n,@function
__ockl_printf_append_string_n:          ; @__ockl_printf_append_string_n
; %bb.0:
	s_waitcnt vmcnt(0) expcnt(0) lgkmcnt(0)
	s_getpc_b64 s[0:1]
	s_add_u32 s0, s0, __FUNCTION__._ZL18flash_attn_ext_f16ILi64ELi64ELi8ELi8ELb1ELb0EEvPKcS1_S1_S1_S1_PKiPfP15HIP_vector_typeIfLj2EEffffjfiS5_IjLj3EEiiiiiiiiiiiliiliiiiil@rel32@lo+4
	s_addc_u32 s1, s1, __FUNCTION__._ZL18flash_attn_ext_f16ILi64ELi64ELi8ELi8ELb1ELb0EEvPKcS1_S1_S1_S1_PKiPfP15HIP_vector_typeIfLj2EEffffjfiS5_IjLj3EEiiiiiiiiiiiliiliiiiil@rel32@hi+12
	v_mov_b32_e32 v2, v0
	s_mov_b64 s[2:3], 0
	s_cmp_lg_u64 s[0:1], 0
	v_mbcnt_lo_u32_b32 v3, -1, 0
	s_cbranch_scc0 .LBB1_87
; %bb.1:
	s_load_dwordx2 s[4:5], s[8:9], 0x50
	v_and_b32_e32 v0, -3, v2
	s_getpc_b64 s[0:1]
	s_add_u32 s0, s0, __FUNCTION__._ZL18flash_attn_ext_f16ILi64ELi64ELi8ELi8ELb1ELb0EEvPKcS1_S1_S1_S1_PKiPfP15HIP_vector_typeIfLj2EEffffjfiS5_IjLj3EEiiiiiiiiiiiliiliiiiil@rel32@lo+4
	s_addc_u32 s1, s1, __FUNCTION__._ZL18flash_attn_ext_f16ILi64ELi64ELi8ELi8ELb1ELb0EEvPKcS1_S1_S1_S1_PKiPfP15HIP_vector_typeIfLj2EEffffjfiS5_IjLj3EEiiiiiiiiiiiliiliiiiil@rel32@hi+12
	v_and_b32_e32 v30, 2, v2
	s_mov_b32 s16, 0
	v_mov_b32_e32 v33, 0
	v_mbcnt_hi_u32_b32 v34, -1, v3
	v_mov_b64_e32 v[36:37], s[0:1]
	s_movk_i32 s17, 0x1e0
	v_mov_b32_e32 v12, 2
	v_mov_b32_e32 v13, 1
	v_mov_b64_e32 v[6:7], v[0:1]
	s_branch .LBB1_3
.LBB1_2:                                ;   in Loop: Header=BB1_3 Depth=1
	s_or_b64 exec, exec, s[10:11]
	v_sub_co_u32_e32 v4, vcc, v4, v38
	v_lshl_add_u64 v[36:37], v[36:37], 0, v[38:39]
	s_nop 0
	v_subb_co_u32_e32 v5, vcc, v5, v39, vcc
	v_cmp_eq_u64_e32 vcc, 0, v[4:5]
	s_or_b64 s[2:3], vcc, s[2:3]
	s_andn2_b64 exec, exec, s[2:3]
	s_cbranch_execz .LBB1_85
.LBB1_3:                                ; =>This Loop Header: Depth=1
                                        ;     Child Loop BB1_6 Depth 2
                                        ;     Child Loop BB1_14 Depth 2
	;; [unrolled: 1-line block ×11, first 2 shown]
	v_cmp_gt_u64_e32 vcc, 56, v[4:5]
	v_lshl_add_u64 v[16:17], v[36:37], 0, 8
	s_nop 0
	v_cndmask_b32_e32 v39, 0, v5, vcc
	v_cndmask_b32_e32 v38, 56, v4, vcc
	v_cmp_gt_u64_e32 vcc, 8, v[4:5]
	s_and_saveexec_b64 s[0:1], vcc
	s_xor_b64 s[0:1], exec, s[0:1]
	s_cbranch_execz .LBB1_9
; %bb.4:                                ;   in Loop: Header=BB1_3 Depth=1
	v_mov_b64_e32 v[8:9], 0
	v_cmp_ne_u64_e32 vcc, 0, v[4:5]
	s_and_saveexec_b64 s[6:7], vcc
	s_cbranch_execz .LBB1_8
; %bb.5:                                ;   in Loop: Header=BB1_3 Depth=1
	v_lshlrev_b64 v[10:11], 3, v[38:39]
	s_mov_b64 s[10:11], 0
	v_mov_b64_e32 v[8:9], 0
	v_mov_b64_e32 v[14:15], v[36:37]
	s_mov_b64 s[12:13], 0
.LBB1_6:                                ;   Parent Loop BB1_3 Depth=1
                                        ; =>  This Inner Loop Header: Depth=2
	global_load_ubyte v0, v[14:15], off
	v_mov_b32_e32 v17, s16
	v_lshl_add_u64 v[14:15], v[14:15], 0, 1
	s_waitcnt vmcnt(0)
	v_and_b32_e32 v16, 0xffff, v0
	v_lshlrev_b64 v[16:17], s12, v[16:17]
	s_add_u32 s12, s12, 8
	s_addc_u32 s13, s13, 0
	v_cmp_eq_u32_e32 vcc, s12, v10
	v_or_b32_e32 v9, v17, v9
	s_or_b64 s[10:11], vcc, s[10:11]
	v_or_b32_e32 v8, v16, v8
	s_andn2_b64 exec, exec, s[10:11]
	s_cbranch_execnz .LBB1_6
; %bb.7:                                ;   in Loop: Header=BB1_3 Depth=1
	s_or_b64 exec, exec, s[10:11]
.LBB1_8:                                ;   in Loop: Header=BB1_3 Depth=1
	s_or_b64 exec, exec, s[6:7]
	v_mov_b64_e32 v[16:17], v[36:37]
.LBB1_9:                                ;   in Loop: Header=BB1_3 Depth=1
	s_or_saveexec_b64 s[0:1], s[0:1]
	v_mov_b32_e32 v0, 0
	s_xor_b64 exec, exec, s[0:1]
	s_cbranch_execz .LBB1_11
; %bb.10:                               ;   in Loop: Header=BB1_3 Depth=1
	global_load_dwordx2 v[8:9], v[36:37], off
	v_add_u32_e32 v0, -8, v38
.LBB1_11:                               ;   in Loop: Header=BB1_3 Depth=1
	s_or_b64 exec, exec, s[0:1]
	v_cmp_gt_u32_e32 vcc, 8, v0
	v_lshl_add_u64 v[10:11], v[16:17], 0, 8
                                        ; implicit-def: $vgpr14_vgpr15
	s_and_saveexec_b64 s[0:1], vcc
	s_xor_b64 s[0:1], exec, s[0:1]
	s_cbranch_execz .LBB1_17
; %bb.12:                               ;   in Loop: Header=BB1_3 Depth=1
	v_cmp_ne_u32_e32 vcc, 0, v0
	v_mov_b64_e32 v[14:15], 0
	s_and_saveexec_b64 s[6:7], vcc
	s_cbranch_execz .LBB1_16
; %bb.13:                               ;   in Loop: Header=BB1_3 Depth=1
	s_mov_b64 s[10:11], 0
	v_mov_b64_e32 v[14:15], 0
	s_mov_b64 s[12:13], 0
	s_mov_b64 s[14:15], 0
.LBB1_14:                               ;   Parent Loop BB1_3 Depth=1
                                        ; =>  This Inner Loop Header: Depth=2
	v_lshl_add_u64 v[10:11], v[16:17], 0, s[14:15]
	global_load_ubyte v10, v[10:11], off
	s_add_u32 s14, s14, 1
	v_mov_b32_e32 v11, s16
	s_addc_u32 s15, s15, 0
	v_cmp_eq_u32_e32 vcc, s14, v0
	s_waitcnt vmcnt(0)
	v_and_b32_e32 v10, 0xffff, v10
	v_lshlrev_b64 v[10:11], s12, v[10:11]
	s_add_u32 s12, s12, 8
	s_addc_u32 s13, s13, 0
	v_or_b32_e32 v15, v11, v15
	s_or_b64 s[10:11], vcc, s[10:11]
	v_or_b32_e32 v14, v10, v14
	s_andn2_b64 exec, exec, s[10:11]
	s_cbranch_execnz .LBB1_14
; %bb.15:                               ;   in Loop: Header=BB1_3 Depth=1
	s_or_b64 exec, exec, s[10:11]
.LBB1_16:                               ;   in Loop: Header=BB1_3 Depth=1
	s_or_b64 exec, exec, s[6:7]
	v_mov_b64_e32 v[10:11], v[16:17]
                                        ; implicit-def: $vgpr0
.LBB1_17:                               ;   in Loop: Header=BB1_3 Depth=1
	s_or_saveexec_b64 s[0:1], s[0:1]
	v_mov_b32_e32 v18, 0
	s_xor_b64 exec, exec, s[0:1]
	s_cbranch_execz .LBB1_19
; %bb.18:                               ;   in Loop: Header=BB1_3 Depth=1
	global_load_dwordx2 v[14:15], v[16:17], off
	v_add_u32_e32 v18, -8, v0
.LBB1_19:                               ;   in Loop: Header=BB1_3 Depth=1
	s_or_b64 exec, exec, s[0:1]
	v_cmp_gt_u32_e32 vcc, 8, v18
	v_lshl_add_u64 v[20:21], v[10:11], 0, 8
	s_and_saveexec_b64 s[0:1], vcc
	s_xor_b64 s[0:1], exec, s[0:1]
	s_cbranch_execz .LBB1_25
; %bb.20:                               ;   in Loop: Header=BB1_3 Depth=1
	v_cmp_ne_u32_e32 vcc, 0, v18
	v_mov_b64_e32 v[16:17], 0
	s_and_saveexec_b64 s[6:7], vcc
	s_cbranch_execz .LBB1_24
; %bb.21:                               ;   in Loop: Header=BB1_3 Depth=1
	s_mov_b64 s[10:11], 0
	v_mov_b64_e32 v[16:17], 0
	s_mov_b64 s[12:13], 0
	s_mov_b64 s[14:15], 0
.LBB1_22:                               ;   Parent Loop BB1_3 Depth=1
                                        ; =>  This Inner Loop Header: Depth=2
	v_lshl_add_u64 v[20:21], v[10:11], 0, s[14:15]
	global_load_ubyte v0, v[20:21], off
	s_add_u32 s14, s14, 1
	v_mov_b32_e32 v21, s16
	s_addc_u32 s15, s15, 0
	v_cmp_eq_u32_e32 vcc, s14, v18
	s_waitcnt vmcnt(0)
	v_and_b32_e32 v20, 0xffff, v0
	v_lshlrev_b64 v[20:21], s12, v[20:21]
	s_add_u32 s12, s12, 8
	s_addc_u32 s13, s13, 0
	v_or_b32_e32 v17, v21, v17
	s_or_b64 s[10:11], vcc, s[10:11]
	v_or_b32_e32 v16, v20, v16
	s_andn2_b64 exec, exec, s[10:11]
	s_cbranch_execnz .LBB1_22
; %bb.23:                               ;   in Loop: Header=BB1_3 Depth=1
	s_or_b64 exec, exec, s[10:11]
.LBB1_24:                               ;   in Loop: Header=BB1_3 Depth=1
	s_or_b64 exec, exec, s[6:7]
	v_mov_b64_e32 v[20:21], v[10:11]
                                        ; implicit-def: $vgpr18
.LBB1_25:                               ;   in Loop: Header=BB1_3 Depth=1
	s_or_saveexec_b64 s[0:1], s[0:1]
	v_mov_b32_e32 v0, 0
	s_xor_b64 exec, exec, s[0:1]
	s_cbranch_execz .LBB1_27
; %bb.26:                               ;   in Loop: Header=BB1_3 Depth=1
	global_load_dwordx2 v[16:17], v[10:11], off
	v_add_u32_e32 v0, -8, v18
.LBB1_27:                               ;   in Loop: Header=BB1_3 Depth=1
	s_or_b64 exec, exec, s[0:1]
	v_cmp_gt_u32_e32 vcc, 8, v0
	v_lshl_add_u64 v[10:11], v[20:21], 0, 8
                                        ; implicit-def: $vgpr18_vgpr19
	s_and_saveexec_b64 s[0:1], vcc
	s_xor_b64 s[0:1], exec, s[0:1]
	s_cbranch_execz .LBB1_33
; %bb.28:                               ;   in Loop: Header=BB1_3 Depth=1
	v_cmp_ne_u32_e32 vcc, 0, v0
	v_mov_b64_e32 v[18:19], 0
	s_and_saveexec_b64 s[6:7], vcc
	s_cbranch_execz .LBB1_32
; %bb.29:                               ;   in Loop: Header=BB1_3 Depth=1
	s_mov_b64 s[10:11], 0
	v_mov_b64_e32 v[18:19], 0
	s_mov_b64 s[12:13], 0
	s_mov_b64 s[14:15], 0
.LBB1_30:                               ;   Parent Loop BB1_3 Depth=1
                                        ; =>  This Inner Loop Header: Depth=2
	v_lshl_add_u64 v[10:11], v[20:21], 0, s[14:15]
	global_load_ubyte v10, v[10:11], off
	s_add_u32 s14, s14, 1
	v_mov_b32_e32 v11, s16
	s_addc_u32 s15, s15, 0
	v_cmp_eq_u32_e32 vcc, s14, v0
	s_waitcnt vmcnt(0)
	v_and_b32_e32 v10, 0xffff, v10
	v_lshlrev_b64 v[10:11], s12, v[10:11]
	s_add_u32 s12, s12, 8
	s_addc_u32 s13, s13, 0
	v_or_b32_e32 v19, v11, v19
	s_or_b64 s[10:11], vcc, s[10:11]
	v_or_b32_e32 v18, v10, v18
	s_andn2_b64 exec, exec, s[10:11]
	s_cbranch_execnz .LBB1_30
; %bb.31:                               ;   in Loop: Header=BB1_3 Depth=1
	s_or_b64 exec, exec, s[10:11]
.LBB1_32:                               ;   in Loop: Header=BB1_3 Depth=1
	s_or_b64 exec, exec, s[6:7]
	v_mov_b64_e32 v[10:11], v[20:21]
                                        ; implicit-def: $vgpr0
.LBB1_33:                               ;   in Loop: Header=BB1_3 Depth=1
	s_or_saveexec_b64 s[0:1], s[0:1]
	v_mov_b32_e32 v22, 0
	s_xor_b64 exec, exec, s[0:1]
	s_cbranch_execz .LBB1_35
; %bb.34:                               ;   in Loop: Header=BB1_3 Depth=1
	global_load_dwordx2 v[18:19], v[20:21], off
	v_add_u32_e32 v22, -8, v0
.LBB1_35:                               ;   in Loop: Header=BB1_3 Depth=1
	s_or_b64 exec, exec, s[0:1]
	v_cmp_gt_u32_e32 vcc, 8, v22
	v_lshl_add_u64 v[24:25], v[10:11], 0, 8
	s_and_saveexec_b64 s[0:1], vcc
	s_xor_b64 s[0:1], exec, s[0:1]
	s_cbranch_execz .LBB1_41
; %bb.36:                               ;   in Loop: Header=BB1_3 Depth=1
	v_cmp_ne_u32_e32 vcc, 0, v22
	v_mov_b64_e32 v[20:21], 0
	s_and_saveexec_b64 s[6:7], vcc
	s_cbranch_execz .LBB1_40
; %bb.37:                               ;   in Loop: Header=BB1_3 Depth=1
	s_mov_b64 s[10:11], 0
	v_mov_b64_e32 v[20:21], 0
	s_mov_b64 s[12:13], 0
	s_mov_b64 s[14:15], 0
.LBB1_38:                               ;   Parent Loop BB1_3 Depth=1
                                        ; =>  This Inner Loop Header: Depth=2
	v_lshl_add_u64 v[24:25], v[10:11], 0, s[14:15]
	global_load_ubyte v0, v[24:25], off
	s_add_u32 s14, s14, 1
	v_mov_b32_e32 v25, s16
	s_addc_u32 s15, s15, 0
	v_cmp_eq_u32_e32 vcc, s14, v22
	s_waitcnt vmcnt(0)
	v_and_b32_e32 v24, 0xffff, v0
	v_lshlrev_b64 v[24:25], s12, v[24:25]
	s_add_u32 s12, s12, 8
	s_addc_u32 s13, s13, 0
	v_or_b32_e32 v21, v25, v21
	s_or_b64 s[10:11], vcc, s[10:11]
	v_or_b32_e32 v20, v24, v20
	s_andn2_b64 exec, exec, s[10:11]
	s_cbranch_execnz .LBB1_38
; %bb.39:                               ;   in Loop: Header=BB1_3 Depth=1
	s_or_b64 exec, exec, s[10:11]
.LBB1_40:                               ;   in Loop: Header=BB1_3 Depth=1
	s_or_b64 exec, exec, s[6:7]
	v_mov_b64_e32 v[24:25], v[10:11]
                                        ; implicit-def: $vgpr22
.LBB1_41:                               ;   in Loop: Header=BB1_3 Depth=1
	s_or_saveexec_b64 s[0:1], s[0:1]
	v_mov_b32_e32 v0, 0
	s_xor_b64 exec, exec, s[0:1]
	s_cbranch_execz .LBB1_43
; %bb.42:                               ;   in Loop: Header=BB1_3 Depth=1
	global_load_dwordx2 v[20:21], v[10:11], off
	v_add_u32_e32 v0, -8, v22
.LBB1_43:                               ;   in Loop: Header=BB1_3 Depth=1
	s_or_b64 exec, exec, s[0:1]
	v_cmp_gt_u32_e32 vcc, 8, v0
	v_lshl_add_u64 v[10:11], v[24:25], 0, 8
                                        ; implicit-def: $vgpr22_vgpr23
	s_and_saveexec_b64 s[0:1], vcc
	s_xor_b64 s[0:1], exec, s[0:1]
	s_cbranch_execz .LBB1_49
; %bb.44:                               ;   in Loop: Header=BB1_3 Depth=1
	v_cmp_ne_u32_e32 vcc, 0, v0
	v_mov_b64_e32 v[22:23], 0
	s_and_saveexec_b64 s[6:7], vcc
	s_cbranch_execz .LBB1_48
; %bb.45:                               ;   in Loop: Header=BB1_3 Depth=1
	s_mov_b64 s[10:11], 0
	v_mov_b64_e32 v[22:23], 0
	s_mov_b64 s[12:13], 0
	s_mov_b64 s[14:15], 0
.LBB1_46:                               ;   Parent Loop BB1_3 Depth=1
                                        ; =>  This Inner Loop Header: Depth=2
	v_lshl_add_u64 v[10:11], v[24:25], 0, s[14:15]
	global_load_ubyte v10, v[10:11], off
	s_add_u32 s14, s14, 1
	v_mov_b32_e32 v11, s16
	s_addc_u32 s15, s15, 0
	v_cmp_eq_u32_e32 vcc, s14, v0
	s_waitcnt vmcnt(0)
	v_and_b32_e32 v10, 0xffff, v10
	v_lshlrev_b64 v[10:11], s12, v[10:11]
	s_add_u32 s12, s12, 8
	s_addc_u32 s13, s13, 0
	v_or_b32_e32 v23, v11, v23
	s_or_b64 s[10:11], vcc, s[10:11]
	v_or_b32_e32 v22, v10, v22
	s_andn2_b64 exec, exec, s[10:11]
	s_cbranch_execnz .LBB1_46
; %bb.47:                               ;   in Loop: Header=BB1_3 Depth=1
	s_or_b64 exec, exec, s[10:11]
.LBB1_48:                               ;   in Loop: Header=BB1_3 Depth=1
	s_or_b64 exec, exec, s[6:7]
	v_mov_b64_e32 v[10:11], v[24:25]
                                        ; implicit-def: $vgpr0
.LBB1_49:                               ;   in Loop: Header=BB1_3 Depth=1
	s_or_saveexec_b64 s[0:1], s[0:1]
	v_mov_b32_e32 v26, 0
	s_xor_b64 exec, exec, s[0:1]
	s_cbranch_execz .LBB1_51
; %bb.50:                               ;   in Loop: Header=BB1_3 Depth=1
	global_load_dwordx2 v[22:23], v[24:25], off
	v_add_u32_e32 v26, -8, v0
.LBB1_51:                               ;   in Loop: Header=BB1_3 Depth=1
	s_or_b64 exec, exec, s[0:1]
	v_cmp_gt_u32_e32 vcc, 8, v26
	s_and_saveexec_b64 s[0:1], vcc
	s_xor_b64 s[0:1], exec, s[0:1]
	s_cbranch_execz .LBB1_57
; %bb.52:                               ;   in Loop: Header=BB1_3 Depth=1
	v_cmp_ne_u32_e32 vcc, 0, v26
	v_mov_b64_e32 v[24:25], 0
	s_and_saveexec_b64 s[6:7], vcc
	s_cbranch_execz .LBB1_56
; %bb.53:                               ;   in Loop: Header=BB1_3 Depth=1
	s_mov_b64 s[10:11], 0
	v_mov_b64_e32 v[24:25], 0
	s_mov_b64 s[12:13], 0
.LBB1_54:                               ;   Parent Loop BB1_3 Depth=1
                                        ; =>  This Inner Loop Header: Depth=2
	global_load_ubyte v0, v[10:11], off
	v_mov_b32_e32 v29, s16
	v_add_u32_e32 v26, -1, v26
	v_cmp_eq_u32_e32 vcc, 0, v26
	v_lshl_add_u64 v[10:11], v[10:11], 0, 1
	s_waitcnt vmcnt(0)
	v_and_b32_e32 v28, 0xffff, v0
	v_lshlrev_b64 v[28:29], s12, v[28:29]
	s_add_u32 s12, s12, 8
	s_addc_u32 s13, s13, 0
	v_or_b32_e32 v25, v29, v25
	s_or_b64 s[10:11], vcc, s[10:11]
	v_or_b32_e32 v24, v28, v24
	s_andn2_b64 exec, exec, s[10:11]
	s_cbranch_execnz .LBB1_54
; %bb.55:                               ;   in Loop: Header=BB1_3 Depth=1
	s_or_b64 exec, exec, s[10:11]
.LBB1_56:                               ;   in Loop: Header=BB1_3 Depth=1
	s_or_b64 exec, exec, s[6:7]
                                        ; implicit-def: $vgpr10_vgpr11
.LBB1_57:                               ;   in Loop: Header=BB1_3 Depth=1
	s_andn2_saveexec_b64 s[0:1], s[0:1]
	s_cbranch_execz .LBB1_59
; %bb.58:                               ;   in Loop: Header=BB1_3 Depth=1
	global_load_dwordx2 v[24:25], v[10:11], off
.LBB1_59:                               ;   in Loop: Header=BB1_3 Depth=1
	s_or_b64 exec, exec, s[0:1]
	v_readfirstlane_b32 s0, v34
	v_mov_b64_e32 v[10:11], 0
	s_nop 0
	v_cmp_eq_u32_e64 s[0:1], s0, v34
	s_and_saveexec_b64 s[6:7], s[0:1]
	s_cbranch_execz .LBB1_65
; %bb.60:                               ;   in Loop: Header=BB1_3 Depth=1
	s_waitcnt lgkmcnt(0)
	global_load_dwordx2 v[28:29], v33, s[4:5] offset:24 sc0 sc1
	s_waitcnt vmcnt(0)
	buffer_inv sc0 sc1
	global_load_dwordx2 v[10:11], v33, s[4:5] offset:40
	global_load_dwordx2 v[26:27], v33, s[4:5]
	s_waitcnt vmcnt(1)
	v_and_b32_e32 v0, v10, v28
	v_and_b32_e32 v10, v11, v29
	v_mul_lo_u32 v10, v10, 24
	v_mul_hi_u32 v11, v0, 24
	v_add_u32_e32 v11, v11, v10
	v_mul_lo_u32 v10, v0, 24
	s_waitcnt vmcnt(0)
	v_lshl_add_u64 v[10:11], v[26:27], 0, v[10:11]
	global_load_dwordx2 v[26:27], v[10:11], off sc0 sc1
	s_waitcnt vmcnt(0)
	global_atomic_cmpswap_x2 v[10:11], v33, v[26:29], s[4:5] offset:24 sc0 sc1
	s_waitcnt vmcnt(0)
	buffer_inv sc0 sc1
	v_cmp_ne_u64_e32 vcc, v[10:11], v[28:29]
	s_and_saveexec_b64 s[10:11], vcc
	s_cbranch_execz .LBB1_64
; %bb.61:                               ;   in Loop: Header=BB1_3 Depth=1
	s_mov_b64 s[12:13], 0
.LBB1_62:                               ;   Parent Loop BB1_3 Depth=1
                                        ; =>  This Inner Loop Header: Depth=2
	s_sleep 1
	global_load_dwordx2 v[26:27], v33, s[4:5] offset:40
	global_load_dwordx2 v[48:49], v33, s[4:5]
	v_mov_b64_e32 v[28:29], v[10:11]
	s_waitcnt vmcnt(1)
	v_and_b32_e32 v0, v26, v28
	s_waitcnt vmcnt(0)
	v_mad_u64_u32 v[10:11], s[14:15], v0, 24, v[48:49]
	v_and_b32_e32 v27, v27, v29
	v_mov_b32_e32 v0, v11
	v_mad_u64_u32 v[26:27], s[14:15], v27, 24, v[0:1]
	v_mov_b32_e32 v11, v26
	global_load_dwordx2 v[26:27], v[10:11], off sc0 sc1
	s_waitcnt vmcnt(0)
	global_atomic_cmpswap_x2 v[10:11], v33, v[26:29], s[4:5] offset:24 sc0 sc1
	s_waitcnt vmcnt(0)
	buffer_inv sc0 sc1
	v_cmp_eq_u64_e32 vcc, v[10:11], v[28:29]
	s_or_b64 s[12:13], vcc, s[12:13]
	s_andn2_b64 exec, exec, s[12:13]
	s_cbranch_execnz .LBB1_62
; %bb.63:                               ;   in Loop: Header=BB1_3 Depth=1
	s_or_b64 exec, exec, s[12:13]
.LBB1_64:                               ;   in Loop: Header=BB1_3 Depth=1
	s_or_b64 exec, exec, s[10:11]
.LBB1_65:                               ;   in Loop: Header=BB1_3 Depth=1
	s_or_b64 exec, exec, s[6:7]
	s_waitcnt lgkmcnt(0)
	global_load_dwordx2 v[48:49], v33, s[4:5] offset:40
	global_load_dwordx4 v[26:29], v33, s[4:5]
	v_readfirstlane_b32 s7, v11
	v_readfirstlane_b32 s6, v10
	s_mov_b64 s[10:11], exec
	s_waitcnt vmcnt(1)
	v_readfirstlane_b32 s12, v48
	v_readfirstlane_b32 s13, v49
	s_and_b64 s[12:13], s[12:13], s[6:7]
	s_mul_i32 s14, s13, 24
	s_mul_hi_u32 s15, s12, 24
	s_add_i32 s15, s15, s14
	s_mul_i32 s14, s12, 24
	s_waitcnt vmcnt(0)
	v_lshl_add_u64 v[48:49], v[26:27], 0, s[14:15]
	s_and_saveexec_b64 s[14:15], s[0:1]
	s_cbranch_execz .LBB1_67
; %bb.66:                               ;   in Loop: Header=BB1_3 Depth=1
	v_mov_b64_e32 v[10:11], s[10:11]
	global_store_dwordx4 v[48:49], v[10:13], off offset:8
.LBB1_67:                               ;   in Loop: Header=BB1_3 Depth=1
	s_or_b64 exec, exec, s[14:15]
	v_cmp_gt_u64_e32 vcc, 57, v[4:5]
	s_lshl_b64 s[10:11], s[12:13], 12
	v_and_b32_e32 v6, 0xffffff1f, v6
	v_cndmask_b32_e32 v0, 0, v30, vcc
	v_lshl_add_u64 v[10:11], v[28:29], 0, s[10:11]
	v_lshl_add_u32 v28, v38, 2, 28
	v_or_b32_e32 v0, v6, v0
	v_and_or_b32 v6, v28, s17, v0
	v_lshlrev_b32_e32 v32, 6, v34
	v_readfirstlane_b32 s10, v10
	v_readfirstlane_b32 s11, v11
	s_nop 4
	global_store_dwordx4 v32, v[6:9], s[10:11]
	global_store_dwordx4 v32, v[14:17], s[10:11] offset:16
	global_store_dwordx4 v32, v[18:21], s[10:11] offset:32
	;; [unrolled: 1-line block ×3, first 2 shown]
	s_and_saveexec_b64 s[10:11], s[0:1]
	s_cbranch_execz .LBB1_75
; %bb.68:                               ;   in Loop: Header=BB1_3 Depth=1
	global_load_dwordx2 v[18:19], v33, s[4:5] offset:32 sc0 sc1
	global_load_dwordx2 v[6:7], v33, s[4:5] offset:40
	v_mov_b32_e32 v16, s6
	v_mov_b32_e32 v17, s7
	s_waitcnt vmcnt(0)
	v_readfirstlane_b32 s12, v6
	v_readfirstlane_b32 s13, v7
	s_and_b64 s[12:13], s[12:13], s[6:7]
	s_mul_i32 s13, s13, 24
	s_mul_hi_u32 s14, s12, 24
	s_mul_i32 s12, s12, 24
	s_add_i32 s13, s14, s13
	v_lshl_add_u64 v[14:15], v[26:27], 0, s[12:13]
	global_store_dwordx2 v[14:15], v[18:19], off
	buffer_wbl2 sc0 sc1
	s_waitcnt vmcnt(0)
	global_atomic_cmpswap_x2 v[8:9], v33, v[16:19], s[4:5] offset:32 sc0 sc1
	s_waitcnt vmcnt(0)
	v_cmp_ne_u64_e32 vcc, v[8:9], v[18:19]
	s_and_saveexec_b64 s[12:13], vcc
	s_cbranch_execz .LBB1_71
; %bb.69:                               ;   in Loop: Header=BB1_3 Depth=1
	s_mov_b64 s[14:15], 0
.LBB1_70:                               ;   Parent Loop BB1_3 Depth=1
                                        ; =>  This Inner Loop Header: Depth=2
	s_sleep 1
	global_store_dwordx2 v[14:15], v[8:9], off
	v_mov_b32_e32 v6, s6
	v_mov_b32_e32 v7, s7
	buffer_wbl2 sc0 sc1
	s_waitcnt vmcnt(0)
	global_atomic_cmpswap_x2 v[6:7], v33, v[6:9], s[4:5] offset:32 sc0 sc1
	s_waitcnt vmcnt(0)
	v_cmp_eq_u64_e32 vcc, v[6:7], v[8:9]
	s_or_b64 s[14:15], vcc, s[14:15]
	v_mov_b64_e32 v[8:9], v[6:7]
	s_andn2_b64 exec, exec, s[14:15]
	s_cbranch_execnz .LBB1_70
.LBB1_71:                               ;   in Loop: Header=BB1_3 Depth=1
	s_or_b64 exec, exec, s[12:13]
	global_load_dwordx2 v[6:7], v33, s[4:5] offset:16
	s_mov_b64 s[14:15], exec
	v_mbcnt_lo_u32_b32 v0, s14, 0
	v_mbcnt_hi_u32_b32 v0, s15, v0
	v_cmp_eq_u32_e32 vcc, 0, v0
	s_and_saveexec_b64 s[12:13], vcc
	s_cbranch_execz .LBB1_73
; %bb.72:                               ;   in Loop: Header=BB1_3 Depth=1
	s_bcnt1_i32_b64 s14, s[14:15]
	v_mov_b32_e32 v8, s14
	v_mov_b32_e32 v9, v33
	buffer_wbl2 sc0 sc1
	s_waitcnt vmcnt(0)
	global_atomic_add_x2 v[6:7], v[8:9], off offset:8 sc1
.LBB1_73:                               ;   in Loop: Header=BB1_3 Depth=1
	s_or_b64 exec, exec, s[12:13]
	s_waitcnt vmcnt(0)
	global_load_dwordx2 v[8:9], v[6:7], off offset:16
	s_waitcnt vmcnt(0)
	v_cmp_eq_u64_e32 vcc, 0, v[8:9]
	s_cbranch_vccnz .LBB1_75
; %bb.74:                               ;   in Loop: Header=BB1_3 Depth=1
	global_load_dword v6, v[6:7], off offset:24
	v_mov_b32_e32 v7, v33
	s_waitcnt vmcnt(0)
	v_readfirstlane_b32 s12, v6
	s_and_b32 m0, s12, 0xffffff
	buffer_wbl2 sc0 sc1
	global_store_dwordx2 v[8:9], v[6:7], off sc0 sc1
	s_sendmsg sendmsg(MSG_INTERRUPT)
.LBB1_75:                               ;   in Loop: Header=BB1_3 Depth=1
	s_or_b64 exec, exec, s[10:11]
	v_lshl_add_u64 v[6:7], v[10:11], 0, v[32:33]
	s_branch .LBB1_79
.LBB1_76:                               ;   in Loop: Header=BB1_79 Depth=2
	s_or_b64 exec, exec, s[10:11]
	v_readfirstlane_b32 s10, v0
	s_cmp_eq_u32 s10, 0
	s_cbranch_scc1 .LBB1_78
; %bb.77:                               ;   in Loop: Header=BB1_79 Depth=2
	s_sleep 1
	s_cbranch_execnz .LBB1_79
	s_branch .LBB1_81
.LBB1_78:                               ;   in Loop: Header=BB1_3 Depth=1
	s_branch .LBB1_81
.LBB1_79:                               ;   Parent Loop BB1_3 Depth=1
                                        ; =>  This Inner Loop Header: Depth=2
	v_mov_b32_e32 v0, 1
	s_and_saveexec_b64 s[10:11], s[0:1]
	s_cbranch_execz .LBB1_76
; %bb.80:                               ;   in Loop: Header=BB1_79 Depth=2
	global_load_dword v0, v[48:49], off offset:20 sc0 sc1
	s_waitcnt vmcnt(0)
	buffer_inv sc0 sc1
	v_and_b32_e32 v0, 1, v0
	s_branch .LBB1_76
.LBB1_81:                               ;   in Loop: Header=BB1_3 Depth=1
	global_load_dwordx2 v[6:7], v[6:7], off
	s_and_saveexec_b64 s[10:11], s[0:1]
	s_cbranch_execz .LBB1_2
; %bb.82:                               ;   in Loop: Header=BB1_3 Depth=1
	global_load_dwordx2 v[8:9], v33, s[4:5] offset:40
	global_load_dwordx2 v[18:19], v33, s[4:5] offset:24 sc0 sc1
	global_load_dwordx2 v[10:11], v33, s[4:5]
	s_waitcnt vmcnt(2)
	v_readfirstlane_b32 s12, v8
	v_readfirstlane_b32 s13, v9
	s_add_u32 s14, s12, 1
	s_addc_u32 s15, s13, 0
	s_add_u32 s0, s14, s6
	s_addc_u32 s1, s15, s7
	s_cmp_eq_u64 s[0:1], 0
	s_cselect_b32 s1, s15, s1
	s_cselect_b32 s0, s14, s0
	s_and_b64 s[6:7], s[0:1], s[12:13]
	s_mul_i32 s7, s7, 24
	s_mul_hi_u32 s12, s6, 24
	s_mul_i32 s6, s6, 24
	s_add_i32 s7, s12, s7
	s_waitcnt vmcnt(0)
	v_lshl_add_u64 v[14:15], v[10:11], 0, s[6:7]
	v_mov_b32_e32 v16, s0
	global_store_dwordx2 v[14:15], v[18:19], off
	v_mov_b32_e32 v17, s1
	buffer_wbl2 sc0 sc1
	s_waitcnt vmcnt(0)
	global_atomic_cmpswap_x2 v[10:11], v33, v[16:19], s[4:5] offset:24 sc0 sc1
	s_waitcnt vmcnt(0)
	v_cmp_ne_u64_e32 vcc, v[10:11], v[18:19]
	s_and_b64 exec, exec, vcc
	s_cbranch_execz .LBB1_2
; %bb.83:                               ;   in Loop: Header=BB1_3 Depth=1
	s_mov_b64 s[6:7], 0
.LBB1_84:                               ;   Parent Loop BB1_3 Depth=1
                                        ; =>  This Inner Loop Header: Depth=2
	s_sleep 1
	global_store_dwordx2 v[14:15], v[10:11], off
	v_mov_b32_e32 v8, s0
	v_mov_b32_e32 v9, s1
	buffer_wbl2 sc0 sc1
	s_waitcnt vmcnt(0)
	global_atomic_cmpswap_x2 v[8:9], v33, v[8:11], s[4:5] offset:24 sc0 sc1
	s_waitcnt vmcnt(0)
	v_cmp_eq_u64_e32 vcc, v[8:9], v[10:11]
	s_or_b64 s[6:7], vcc, s[6:7]
	v_mov_b64_e32 v[10:11], v[8:9]
	s_andn2_b64 exec, exec, s[6:7]
	s_cbranch_execnz .LBB1_84
	s_branch .LBB1_2
.LBB1_85:
	s_or_b64 exec, exec, s[2:3]
.LBB1_86:
	s_waitcnt vmcnt(0)
	v_mov_b32_e32 v0, v6
	v_mov_b32_e32 v1, v7
	s_waitcnt lgkmcnt(0)
	s_setpc_b64 s[30:31]
.LBB1_87:
                                        ; implicit-def: $vgpr6_vgpr7
	s_cbranch_execz .LBB1_86
; %bb.88:
	s_load_dwordx2 s[2:3], s[8:9], 0x50
	v_mbcnt_hi_u32_b32 v3, -1, v3
	v_mov_b64_e32 v[8:9], 0
	v_readfirstlane_b32 s0, v3
	s_nop 1
	v_cmp_eq_u32_e64 s[0:1], s0, v3
	s_and_saveexec_b64 s[4:5], s[0:1]
	s_cbranch_execz .LBB1_94
; %bb.89:
	v_mov_b32_e32 v0, 0
	s_waitcnt lgkmcnt(0)
	global_load_dwordx2 v[6:7], v0, s[2:3] offset:24 sc0 sc1
	s_waitcnt vmcnt(0)
	buffer_inv sc0 sc1
	global_load_dwordx2 v[4:5], v0, s[2:3] offset:40
	global_load_dwordx2 v[8:9], v0, s[2:3]
	s_waitcnt vmcnt(1)
	v_and_b32_e32 v4, v4, v6
	v_and_b32_e32 v5, v5, v7
	v_mul_lo_u32 v5, v5, 24
	v_mul_hi_u32 v10, v4, 24
	v_add_u32_e32 v5, v10, v5
	v_mul_lo_u32 v4, v4, 24
	s_waitcnt vmcnt(0)
	v_lshl_add_u64 v[4:5], v[8:9], 0, v[4:5]
	global_load_dwordx2 v[4:5], v[4:5], off sc0 sc1
	s_waitcnt vmcnt(0)
	global_atomic_cmpswap_x2 v[8:9], v0, v[4:7], s[2:3] offset:24 sc0 sc1
	s_waitcnt vmcnt(0)
	buffer_inv sc0 sc1
	v_cmp_ne_u64_e32 vcc, v[8:9], v[6:7]
	s_and_saveexec_b64 s[6:7], vcc
	s_cbranch_execz .LBB1_93
; %bb.90:
	s_mov_b64 s[8:9], 0
.LBB1_91:                               ; =>This Inner Loop Header: Depth=1
	s_sleep 1
	global_load_dwordx2 v[4:5], v0, s[2:3] offset:40
	global_load_dwordx2 v[10:11], v0, s[2:3]
	v_mov_b64_e32 v[6:7], v[8:9]
	s_waitcnt vmcnt(1)
	v_and_b32_e32 v4, v4, v6
	v_and_b32_e32 v9, v5, v7
	s_waitcnt vmcnt(0)
	v_mad_u64_u32 v[4:5], s[10:11], v4, 24, v[10:11]
	v_mov_b32_e32 v8, v5
	v_mad_u64_u32 v[8:9], s[10:11], v9, 24, v[8:9]
	v_mov_b32_e32 v5, v8
	global_load_dwordx2 v[4:5], v[4:5], off sc0 sc1
	s_waitcnt vmcnt(0)
	global_atomic_cmpswap_x2 v[8:9], v0, v[4:7], s[2:3] offset:24 sc0 sc1
	s_waitcnt vmcnt(0)
	buffer_inv sc0 sc1
	v_cmp_eq_u64_e32 vcc, v[8:9], v[6:7]
	s_or_b64 s[8:9], vcc, s[8:9]
	s_andn2_b64 exec, exec, s[8:9]
	s_cbranch_execnz .LBB1_91
; %bb.92:
	s_or_b64 exec, exec, s[8:9]
.LBB1_93:
	s_or_b64 exec, exec, s[6:7]
.LBB1_94:
	s_or_b64 exec, exec, s[4:5]
	v_mov_b32_e32 v11, 0
	s_waitcnt lgkmcnt(0)
	global_load_dwordx2 v[12:13], v11, s[2:3] offset:40
	global_load_dwordx4 v[4:7], v11, s[2:3]
	v_readfirstlane_b32 s5, v9
	v_readfirstlane_b32 s4, v8
	s_mov_b64 s[6:7], exec
	s_waitcnt vmcnt(1)
	v_readfirstlane_b32 s8, v12
	v_readfirstlane_b32 s9, v13
	s_and_b64 s[8:9], s[8:9], s[4:5]
	s_mul_i32 s10, s9, 24
	s_mul_hi_u32 s11, s8, 24
	s_add_i32 s11, s11, s10
	s_mul_i32 s10, s8, 24
	s_waitcnt vmcnt(0)
	v_lshl_add_u64 v[8:9], v[4:5], 0, s[10:11]
	s_and_saveexec_b64 s[10:11], s[0:1]
	s_cbranch_execz .LBB1_96
; %bb.95:
	v_mov_b64_e32 v[12:13], s[6:7]
	v_mov_b32_e32 v14, 2
	v_mov_b32_e32 v15, 1
	global_store_dwordx4 v[8:9], v[12:15], off offset:8
.LBB1_96:
	s_or_b64 exec, exec, s[10:11]
	s_lshl_b64 s[6:7], s[8:9], 12
	v_lshl_add_u64 v[6:7], v[6:7], 0, s[6:7]
	s_movk_i32 s6, 0xff1f
	s_mov_b32 s8, 0
	v_and_or_b32 v0, v2, s6, 32
	v_lshlrev_b32_e32 v10, 6, v3
	v_mov_b32_e32 v2, v11
	v_mov_b32_e32 v3, v11
	v_readfirstlane_b32 s6, v6
	v_readfirstlane_b32 s7, v7
	s_mov_b32 s9, s8
	s_mov_b32 s10, s8
	;; [unrolled: 1-line block ×3, first 2 shown]
	s_nop 1
	global_store_dwordx4 v10, v[0:3], s[6:7]
	s_nop 1
	v_mov_b64_e32 v[0:1], s[8:9]
	v_mov_b64_e32 v[2:3], s[10:11]
	global_store_dwordx4 v10, v[0:3], s[6:7] offset:16
	global_store_dwordx4 v10, v[0:3], s[6:7] offset:32
	;; [unrolled: 1-line block ×3, first 2 shown]
	s_and_saveexec_b64 s[6:7], s[0:1]
	s_cbranch_execz .LBB1_104
; %bb.97:
	v_mov_b32_e32 v12, 0
	global_load_dwordx2 v[16:17], v12, s[2:3] offset:32 sc0 sc1
	global_load_dwordx2 v[0:1], v12, s[2:3] offset:40
	v_mov_b32_e32 v14, s4
	v_mov_b32_e32 v15, s5
	s_waitcnt vmcnt(0)
	v_and_b32_e32 v0, s4, v0
	v_and_b32_e32 v1, s5, v1
	v_mul_lo_u32 v1, v1, 24
	v_mul_hi_u32 v2, v0, 24
	v_mul_lo_u32 v0, v0, 24
	v_add_u32_e32 v1, v2, v1
	v_lshl_add_u64 v[4:5], v[4:5], 0, v[0:1]
	global_store_dwordx2 v[4:5], v[16:17], off
	buffer_wbl2 sc0 sc1
	s_waitcnt vmcnt(0)
	global_atomic_cmpswap_x2 v[2:3], v12, v[14:17], s[2:3] offset:32 sc0 sc1
	s_waitcnt vmcnt(0)
	v_cmp_ne_u64_e32 vcc, v[2:3], v[16:17]
	s_and_saveexec_b64 s[8:9], vcc
	s_cbranch_execz .LBB1_100
; %bb.98:
	s_mov_b64 s[10:11], 0
.LBB1_99:                               ; =>This Inner Loop Header: Depth=1
	s_sleep 1
	global_store_dwordx2 v[4:5], v[2:3], off
	v_mov_b32_e32 v0, s4
	v_mov_b32_e32 v1, s5
	buffer_wbl2 sc0 sc1
	s_waitcnt vmcnt(0)
	global_atomic_cmpswap_x2 v[0:1], v12, v[0:3], s[2:3] offset:32 sc0 sc1
	s_waitcnt vmcnt(0)
	v_cmp_eq_u64_e32 vcc, v[0:1], v[2:3]
	s_or_b64 s[10:11], vcc, s[10:11]
	v_mov_b64_e32 v[2:3], v[0:1]
	s_andn2_b64 exec, exec, s[10:11]
	s_cbranch_execnz .LBB1_99
.LBB1_100:
	s_or_b64 exec, exec, s[8:9]
	v_mov_b32_e32 v3, 0
	global_load_dwordx2 v[0:1], v3, s[2:3] offset:16
	s_mov_b64 s[8:9], exec
	v_mbcnt_lo_u32_b32 v2, s8, 0
	v_mbcnt_hi_u32_b32 v2, s9, v2
	v_cmp_eq_u32_e32 vcc, 0, v2
	s_and_saveexec_b64 s[10:11], vcc
	s_cbranch_execz .LBB1_102
; %bb.101:
	s_bcnt1_i32_b64 s8, s[8:9]
	v_mov_b32_e32 v2, s8
	buffer_wbl2 sc0 sc1
	s_waitcnt vmcnt(0)
	global_atomic_add_x2 v[0:1], v[2:3], off offset:8 sc1
.LBB1_102:
	s_or_b64 exec, exec, s[10:11]
	s_waitcnt vmcnt(0)
	global_load_dwordx2 v[2:3], v[0:1], off offset:16
	s_waitcnt vmcnt(0)
	v_cmp_eq_u64_e32 vcc, 0, v[2:3]
	s_cbranch_vccnz .LBB1_104
; %bb.103:
	global_load_dword v0, v[0:1], off offset:24
	v_mov_b32_e32 v1, 0
	s_waitcnt vmcnt(0)
	v_readfirstlane_b32 s8, v0
	s_and_b32 m0, s8, 0xffffff
	buffer_wbl2 sc0 sc1
	global_store_dwordx2 v[2:3], v[0:1], off sc0 sc1
	s_sendmsg sendmsg(MSG_INTERRUPT)
.LBB1_104:
	s_or_b64 exec, exec, s[6:7]
	v_lshl_add_u64 v[0:1], v[6:7], 0, v[10:11]
	s_branch .LBB1_108
.LBB1_105:                              ;   in Loop: Header=BB1_108 Depth=1
	s_or_b64 exec, exec, s[6:7]
	v_readfirstlane_b32 s6, v2
	s_cmp_eq_u32 s6, 0
	s_cbranch_scc1 .LBB1_107
; %bb.106:                              ;   in Loop: Header=BB1_108 Depth=1
	s_sleep 1
	s_cbranch_execnz .LBB1_108
	s_branch .LBB1_110
.LBB1_107:
	s_branch .LBB1_110
.LBB1_108:                              ; =>This Inner Loop Header: Depth=1
	v_mov_b32_e32 v2, 1
	s_and_saveexec_b64 s[6:7], s[0:1]
	s_cbranch_execz .LBB1_105
; %bb.109:                              ;   in Loop: Header=BB1_108 Depth=1
	global_load_dword v2, v[8:9], off offset:20 sc0 sc1
	s_waitcnt vmcnt(0)
	buffer_inv sc0 sc1
	v_and_b32_e32 v2, 1, v2
	s_branch .LBB1_105
.LBB1_110:
	global_load_dwordx2 v[6:7], v[0:1], off
	s_and_saveexec_b64 s[6:7], s[0:1]
	s_cbranch_execz .LBB1_113
; %bb.111:
	v_mov_b32_e32 v8, 0
	global_load_dwordx2 v[0:1], v8, s[2:3] offset:40
	global_load_dwordx2 v[12:13], v8, s[2:3] offset:24 sc0 sc1
	global_load_dwordx2 v[2:3], v8, s[2:3]
	s_waitcnt vmcnt(2)
	v_readfirstlane_b32 s8, v0
	v_readfirstlane_b32 s9, v1
	s_add_u32 s10, s8, 1
	s_addc_u32 s11, s9, 0
	s_add_u32 s0, s10, s4
	s_addc_u32 s1, s11, s5
	s_cmp_eq_u64 s[0:1], 0
	s_cselect_b32 s1, s11, s1
	s_cselect_b32 s0, s10, s0
	s_and_b64 s[4:5], s[0:1], s[8:9]
	s_mul_i32 s5, s5, 24
	s_mul_hi_u32 s8, s4, 24
	s_mul_i32 s4, s4, 24
	s_add_i32 s5, s8, s5
	s_waitcnt vmcnt(0)
	v_lshl_add_u64 v[4:5], v[2:3], 0, s[4:5]
	v_mov_b32_e32 v10, s0
	global_store_dwordx2 v[4:5], v[12:13], off
	v_mov_b32_e32 v11, s1
	buffer_wbl2 sc0 sc1
	s_waitcnt vmcnt(0)
	global_atomic_cmpswap_x2 v[2:3], v8, v[10:13], s[2:3] offset:24 sc0 sc1
	s_mov_b64 s[4:5], 0
	s_waitcnt vmcnt(0)
	v_cmp_ne_u64_e32 vcc, v[2:3], v[12:13]
	s_and_b64 exec, exec, vcc
	s_cbranch_execz .LBB1_113
.LBB1_112:                              ; =>This Inner Loop Header: Depth=1
	s_sleep 1
	global_store_dwordx2 v[4:5], v[2:3], off
	v_mov_b32_e32 v0, s0
	v_mov_b32_e32 v1, s1
	buffer_wbl2 sc0 sc1
	s_waitcnt vmcnt(0)
	global_atomic_cmpswap_x2 v[0:1], v8, v[0:3], s[2:3] offset:24 sc0 sc1
	s_waitcnt vmcnt(0)
	v_cmp_eq_u64_e32 vcc, v[0:1], v[2:3]
	s_or_b64 s[4:5], vcc, s[4:5]
	v_mov_b64_e32 v[2:3], v[0:1]
	s_andn2_b64 exec, exec, s[4:5]
	s_cbranch_execnz .LBB1_112
.LBB1_113:
	s_or_b64 exec, exec, s[6:7]
	s_waitcnt vmcnt(0)
	v_mov_b32_e32 v0, v6
	v_mov_b32_e32 v1, v7
	s_waitcnt lgkmcnt(0)
	s_setpc_b64 s[30:31]
.Lfunc_end1:
	.size	__ockl_printf_append_string_n, .Lfunc_end1-__ockl_printf_append_string_n
                                        ; -- End function
	.set .L__ockl_printf_append_string_n.num_vgpr, 50
	.set .L__ockl_printf_append_string_n.num_agpr, 0
	.set .L__ockl_printf_append_string_n.numbered_sgpr, 32
	.set .L__ockl_printf_append_string_n.num_named_barrier, 0
	.set .L__ockl_printf_append_string_n.private_seg_size, 0
	.set .L__ockl_printf_append_string_n.uses_vcc, 1
	.set .L__ockl_printf_append_string_n.uses_flat_scratch, 0
	.set .L__ockl_printf_append_string_n.has_dyn_sized_stack, 0
	.set .L__ockl_printf_append_string_n.has_recursion, 0
	.set .L__ockl_printf_append_string_n.has_indirect_call, 0
	.section	.AMDGPU.csdata,"",@progbits
; Function info:
; codeLenInByte = 3812
; TotalNumSgprs: 38
; NumVgprs: 50
; NumAgprs: 0
; TotalNumVgprs: 50
; ScratchSize: 0
; MemoryBound: 0
	.text
	.p2align	2                               ; -- Begin function __ockl_printf_append_args
	.type	__ockl_printf_append_args,@function
__ockl_printf_append_args:              ; @__ockl_printf_append_args
; %bb.0:
	s_waitcnt vmcnt(0) expcnt(0) lgkmcnt(0)
	s_load_dwordx2 s[2:3], s[8:9], 0x50
	v_mbcnt_lo_u32_b32 v5, -1, 0
	v_mbcnt_hi_u32_b32 v5, -1, v5
	v_mov_b64_e32 v[10:11], 0
	v_readfirstlane_b32 s0, v5
	s_nop 1
	v_cmp_eq_u32_e64 s[0:1], s0, v5
	s_and_saveexec_b64 s[4:5], s[0:1]
	s_cbranch_execz .LBB2_6
; %bb.1:
	v_mov_b32_e32 v6, 0
	s_waitcnt lgkmcnt(0)
	global_load_dwordx2 v[12:13], v6, s[2:3] offset:24 sc0 sc1
	s_waitcnt vmcnt(0)
	buffer_inv sc0 sc1
	global_load_dwordx2 v[8:9], v6, s[2:3] offset:40
	global_load_dwordx2 v[10:11], v6, s[2:3]
	s_waitcnt vmcnt(1)
	v_and_b32_e32 v7, v8, v12
	v_and_b32_e32 v8, v9, v13
	v_mul_lo_u32 v8, v8, 24
	v_mul_hi_u32 v9, v7, 24
	v_add_u32_e32 v9, v9, v8
	v_mul_lo_u32 v8, v7, 24
	s_waitcnt vmcnt(0)
	v_lshl_add_u64 v[8:9], v[10:11], 0, v[8:9]
	global_load_dwordx2 v[10:11], v[8:9], off sc0 sc1
	s_waitcnt vmcnt(0)
	global_atomic_cmpswap_x2 v[10:11], v6, v[10:13], s[2:3] offset:24 sc0 sc1
	s_waitcnt vmcnt(0)
	buffer_inv sc0 sc1
	v_cmp_ne_u64_e32 vcc, v[10:11], v[12:13]
	s_and_saveexec_b64 s[6:7], vcc
	s_cbranch_execz .LBB2_5
; %bb.2:
	s_mov_b64 s[8:9], 0
.LBB2_3:                                ; =>This Inner Loop Header: Depth=1
	s_sleep 1
	global_load_dwordx2 v[8:9], v6, s[2:3] offset:40
	global_load_dwordx2 v[14:15], v6, s[2:3]
	v_mov_b64_e32 v[12:13], v[10:11]
	s_waitcnt vmcnt(1)
	v_and_b32_e32 v8, v8, v12
	v_and_b32_e32 v7, v9, v13
	s_waitcnt vmcnt(0)
	v_mad_u64_u32 v[8:9], s[10:11], v8, 24, v[14:15]
	v_mov_b32_e32 v10, v9
	v_mad_u64_u32 v[10:11], s[10:11], v7, 24, v[10:11]
	v_mov_b32_e32 v9, v10
	global_load_dwordx2 v[10:11], v[8:9], off sc0 sc1
	s_waitcnt vmcnt(0)
	global_atomic_cmpswap_x2 v[10:11], v6, v[10:13], s[2:3] offset:24 sc0 sc1
	s_waitcnt vmcnt(0)
	buffer_inv sc0 sc1
	v_cmp_eq_u64_e32 vcc, v[10:11], v[12:13]
	s_or_b64 s[8:9], vcc, s[8:9]
	s_andn2_b64 exec, exec, s[8:9]
	s_cbranch_execnz .LBB2_3
; %bb.4:
	s_or_b64 exec, exec, s[8:9]
.LBB2_5:
	s_or_b64 exec, exec, s[6:7]
.LBB2_6:
	s_or_b64 exec, exec, s[4:5]
	v_mov_b32_e32 v14, 0
	s_waitcnt lgkmcnt(0)
	global_load_dwordx2 v[12:13], v14, s[2:3] offset:40
	global_load_dwordx4 v[6:9], v14, s[2:3]
	v_readfirstlane_b32 s5, v11
	v_readfirstlane_b32 s4, v10
	s_mov_b64 s[6:7], exec
	s_waitcnt vmcnt(1)
	v_readfirstlane_b32 s8, v12
	v_readfirstlane_b32 s9, v13
	s_and_b64 s[8:9], s[8:9], s[4:5]
	s_mul_i32 s10, s9, 24
	s_mul_hi_u32 s11, s8, 24
	s_add_i32 s11, s11, s10
	s_mul_i32 s10, s8, 24
	s_waitcnt vmcnt(0)
	v_lshl_add_u64 v[10:11], v[6:7], 0, s[10:11]
	s_and_saveexec_b64 s[10:11], s[0:1]
	s_cbranch_execz .LBB2_8
; %bb.7:
	v_mov_b64_e32 v[12:13], s[6:7]
	v_mov_b32_e32 v14, 2
	v_mov_b32_e32 v15, 1
	global_store_dwordx4 v[10:11], v[12:15], off offset:8
.LBB2_8:
	s_or_b64 exec, exec, s[10:11]
	s_lshl_b64 s[6:7], s[8:9], 12
	v_or_b32_e32 v12, 2, v0
	v_cmp_eq_u32_e32 vcc, 0, v4
	v_lshl_add_u64 v[8:9], v[8:9], 0, s[6:7]
	s_mov_b32 s8, 0
	v_cndmask_b32_e32 v0, v12, v0, vcc
	s_movk_i32 s6, 0xff1f
	v_and_or_b32 v0, v0, s6, 32
	v_lshlrev_b32_e32 v4, 6, v5
	v_readfirstlane_b32 s6, v8
	v_readfirstlane_b32 s7, v9
	s_mov_b32 s9, s8
	s_mov_b32 s10, s8
	;; [unrolled: 1-line block ×3, first 2 shown]
	s_nop 1
	global_store_dwordx4 v4, v[0:3], s[6:7]
	s_nop 1
	v_mov_b64_e32 v[0:1], s[8:9]
	v_mov_b64_e32 v[2:3], s[10:11]
	global_store_dwordx4 v4, v[0:3], s[6:7] offset:16
	global_store_dwordx4 v4, v[0:3], s[6:7] offset:32
	;; [unrolled: 1-line block ×3, first 2 shown]
	s_and_saveexec_b64 s[6:7], s[0:1]
	s_cbranch_execz .LBB2_16
; %bb.9:
	v_mov_b32_e32 v8, 0
	global_load_dwordx2 v[14:15], v8, s[2:3] offset:32 sc0 sc1
	global_load_dwordx2 v[0:1], v8, s[2:3] offset:40
	v_mov_b32_e32 v12, s4
	v_mov_b32_e32 v13, s5
	s_waitcnt vmcnt(0)
	v_and_b32_e32 v0, s4, v0
	v_and_b32_e32 v1, s5, v1
	v_mul_lo_u32 v1, v1, 24
	v_mul_hi_u32 v2, v0, 24
	v_mul_lo_u32 v0, v0, 24
	v_add_u32_e32 v1, v2, v1
	v_lshl_add_u64 v[4:5], v[6:7], 0, v[0:1]
	global_store_dwordx2 v[4:5], v[14:15], off
	buffer_wbl2 sc0 sc1
	s_waitcnt vmcnt(0)
	global_atomic_cmpswap_x2 v[2:3], v8, v[12:15], s[2:3] offset:32 sc0 sc1
	s_waitcnt vmcnt(0)
	v_cmp_ne_u64_e32 vcc, v[2:3], v[14:15]
	s_and_saveexec_b64 s[8:9], vcc
	s_cbranch_execz .LBB2_12
; %bb.10:
	s_mov_b64 s[10:11], 0
.LBB2_11:                               ; =>This Inner Loop Header: Depth=1
	s_sleep 1
	global_store_dwordx2 v[4:5], v[2:3], off
	v_mov_b32_e32 v0, s4
	v_mov_b32_e32 v1, s5
	buffer_wbl2 sc0 sc1
	s_waitcnt vmcnt(0)
	global_atomic_cmpswap_x2 v[0:1], v8, v[0:3], s[2:3] offset:32 sc0 sc1
	s_waitcnt vmcnt(0)
	v_cmp_eq_u64_e32 vcc, v[0:1], v[2:3]
	s_or_b64 s[10:11], vcc, s[10:11]
	v_mov_b64_e32 v[2:3], v[0:1]
	s_andn2_b64 exec, exec, s[10:11]
	s_cbranch_execnz .LBB2_11
.LBB2_12:
	s_or_b64 exec, exec, s[8:9]
	v_mov_b32_e32 v3, 0
	global_load_dwordx2 v[0:1], v3, s[2:3] offset:16
	s_mov_b64 s[8:9], exec
	v_mbcnt_lo_u32_b32 v2, s8, 0
	v_mbcnt_hi_u32_b32 v2, s9, v2
	v_cmp_eq_u32_e32 vcc, 0, v2
	s_and_saveexec_b64 s[10:11], vcc
	s_cbranch_execz .LBB2_14
; %bb.13:
	s_bcnt1_i32_b64 s8, s[8:9]
	v_mov_b32_e32 v2, s8
	buffer_wbl2 sc0 sc1
	s_waitcnt vmcnt(0)
	global_atomic_add_x2 v[0:1], v[2:3], off offset:8 sc1
.LBB2_14:
	s_or_b64 exec, exec, s[10:11]
	s_waitcnt vmcnt(0)
	global_load_dwordx2 v[2:3], v[0:1], off offset:16
	s_waitcnt vmcnt(0)
	v_cmp_eq_u64_e32 vcc, 0, v[2:3]
	s_cbranch_vccnz .LBB2_16
; %bb.15:
	global_load_dword v0, v[0:1], off offset:24
	v_mov_b32_e32 v1, 0
	s_waitcnt vmcnt(0)
	v_readfirstlane_b32 s8, v0
	s_and_b32 m0, s8, 0xffffff
	buffer_wbl2 sc0 sc1
	global_store_dwordx2 v[2:3], v[0:1], off sc0 sc1
	s_sendmsg sendmsg(MSG_INTERRUPT)
.LBB2_16:
	s_or_b64 exec, exec, s[6:7]
	s_branch .LBB2_20
.LBB2_17:                               ;   in Loop: Header=BB2_20 Depth=1
	s_or_b64 exec, exec, s[6:7]
	v_readfirstlane_b32 s6, v0
	s_cmp_eq_u32 s6, 0
	s_cbranch_scc1 .LBB2_19
; %bb.18:                               ;   in Loop: Header=BB2_20 Depth=1
	s_sleep 1
	s_cbranch_execnz .LBB2_20
	s_branch .LBB2_22
.LBB2_19:
	s_branch .LBB2_22
.LBB2_20:                               ; =>This Inner Loop Header: Depth=1
	v_mov_b32_e32 v0, 1
	s_and_saveexec_b64 s[6:7], s[0:1]
	s_cbranch_execz .LBB2_17
; %bb.21:                               ;   in Loop: Header=BB2_20 Depth=1
	global_load_dword v0, v[10:11], off offset:20 sc0 sc1
	s_waitcnt vmcnt(0)
	buffer_inv sc0 sc1
	v_and_b32_e32 v0, 1, v0
	s_branch .LBB2_17
.LBB2_22:
	s_and_saveexec_b64 s[6:7], s[0:1]
	s_cbranch_execz .LBB2_25
; %bb.23:
	v_mov_b32_e32 v6, 0
	global_load_dwordx2 v[0:1], v6, s[2:3] offset:40
	global_load_dwordx2 v[10:11], v6, s[2:3] offset:24 sc0 sc1
	global_load_dwordx2 v[2:3], v6, s[2:3]
	s_waitcnt vmcnt(2)
	v_readfirstlane_b32 s8, v0
	v_readfirstlane_b32 s9, v1
	s_add_u32 s10, s8, 1
	s_addc_u32 s11, s9, 0
	s_add_u32 s0, s10, s4
	s_addc_u32 s1, s11, s5
	s_cmp_eq_u64 s[0:1], 0
	s_cselect_b32 s1, s11, s1
	s_cselect_b32 s0, s10, s0
	s_and_b64 s[4:5], s[0:1], s[8:9]
	s_mul_i32 s5, s5, 24
	s_mul_hi_u32 s8, s4, 24
	s_mul_i32 s4, s4, 24
	s_add_i32 s5, s8, s5
	s_waitcnt vmcnt(0)
	v_lshl_add_u64 v[4:5], v[2:3], 0, s[4:5]
	v_mov_b32_e32 v8, s0
	global_store_dwordx2 v[4:5], v[10:11], off
	v_mov_b32_e32 v9, s1
	buffer_wbl2 sc0 sc1
	s_waitcnt vmcnt(0)
	global_atomic_cmpswap_x2 v[2:3], v6, v[8:11], s[2:3] offset:24 sc0 sc1
	s_mov_b64 s[4:5], 0
	s_waitcnt vmcnt(0)
	v_cmp_ne_u64_e32 vcc, v[2:3], v[10:11]
	s_and_b64 exec, exec, vcc
	s_cbranch_execz .LBB2_25
.LBB2_24:                               ; =>This Inner Loop Header: Depth=1
	s_sleep 1
	global_store_dwordx2 v[4:5], v[2:3], off
	v_mov_b32_e32 v0, s0
	v_mov_b32_e32 v1, s1
	buffer_wbl2 sc0 sc1
	s_waitcnt vmcnt(0)
	global_atomic_cmpswap_x2 v[0:1], v6, v[0:3], s[2:3] offset:24 sc0 sc1
	s_waitcnt vmcnt(0)
	v_cmp_eq_u64_e32 vcc, v[0:1], v[2:3]
	s_or_b64 s[4:5], vcc, s[4:5]
	v_mov_b64_e32 v[2:3], v[0:1]
	s_andn2_b64 exec, exec, s[4:5]
	s_cbranch_execnz .LBB2_24
.LBB2_25:
	s_or_b64 exec, exec, s[6:7]
	s_waitcnt vmcnt(0) lgkmcnt(0)
	s_setpc_b64 s[30:31]
.Lfunc_end2:
	.size	__ockl_printf_append_args, .Lfunc_end2-__ockl_printf_append_args
                                        ; -- End function
	.set .L__ockl_printf_append_args.num_vgpr, 16
	.set .L__ockl_printf_append_args.num_agpr, 0
	.set .L__ockl_printf_append_args.numbered_sgpr, 32
	.set .L__ockl_printf_append_args.num_named_barrier, 0
	.set .L__ockl_printf_append_args.private_seg_size, 0
	.set .L__ockl_printf_append_args.uses_vcc, 1
	.set .L__ockl_printf_append_args.uses_flat_scratch, 0
	.set .L__ockl_printf_append_args.has_dyn_sized_stack, 0
	.set .L__ockl_printf_append_args.has_recursion, 0
	.set .L__ockl_printf_append_args.has_indirect_call, 0
	.section	.AMDGPU.csdata,"",@progbits
; Function info:
; codeLenInByte = 1216
; TotalNumSgprs: 38
; NumVgprs: 16
; NumAgprs: 0
; TotalNumVgprs: 16
; ScratchSize: 0
; MemoryBound: 0
	.text
	.p2align	2                               ; -- Begin function _ZL14no_device_codePKciS0_iS0_
	.type	_ZL14no_device_codePKciS0_iS0_,@function
_ZL14no_device_codePKciS0_iS0_:         ; @_ZL14no_device_codePKciS0_iS0_
; %bb.0:
	s_waitcnt vmcnt(0) expcnt(0) lgkmcnt(0)
	s_mov_b32 s20, s33
	s_mov_b32 s33, s32
	s_xor_saveexec_b64 s[0:1], -1
	scratch_store_dword off, v31, s33       ; 4-byte Folded Spill
	s_mov_b64 exec, s[0:1]
	v_writelane_b32 v31, s30, 0
	s_add_i32 s32, s32, 16
	s_nop 0
	v_writelane_b32 v31, s31, 1
	s_load_dwordx2 s[2:3], s[8:9], 0x50
	v_mbcnt_lo_u32_b32 v1, -1, 0
	v_mbcnt_hi_u32_b32 v1, -1, v1
	v_mov_b64_e32 v[6:7], 0
	v_readfirstlane_b32 s0, v1
	s_nop 1
	v_cmp_eq_u32_e64 s[0:1], s0, v1
	s_and_saveexec_b64 s[4:5], s[0:1]
	s_cbranch_execz .LBB3_6
; %bb.1:
	v_mov_b32_e32 v2, 0
	s_waitcnt lgkmcnt(0)
	global_load_dwordx2 v[8:9], v2, s[2:3] offset:24 sc0 sc1
	s_waitcnt vmcnt(0)
	buffer_inv sc0 sc1
	global_load_dwordx2 v[4:5], v2, s[2:3] offset:40
	global_load_dwordx2 v[6:7], v2, s[2:3]
	s_waitcnt vmcnt(1)
	v_and_b32_e32 v3, v4, v8
	v_and_b32_e32 v4, v5, v9
	v_mul_lo_u32 v4, v4, 24
	v_mul_hi_u32 v5, v3, 24
	v_add_u32_e32 v5, v5, v4
	v_mul_lo_u32 v4, v3, 24
	s_waitcnt vmcnt(0)
	v_lshl_add_u64 v[4:5], v[6:7], 0, v[4:5]
	global_load_dwordx2 v[6:7], v[4:5], off sc0 sc1
	s_waitcnt vmcnt(0)
	global_atomic_cmpswap_x2 v[6:7], v2, v[6:9], s[2:3] offset:24 sc0 sc1
	s_waitcnt vmcnt(0)
	buffer_inv sc0 sc1
	v_cmp_ne_u64_e32 vcc, v[6:7], v[8:9]
	s_and_saveexec_b64 s[6:7], vcc
	s_cbranch_execz .LBB3_5
; %bb.2:
	s_mov_b64 s[10:11], 0
.LBB3_3:                                ; =>This Inner Loop Header: Depth=1
	s_sleep 1
	global_load_dwordx2 v[4:5], v2, s[2:3] offset:40
	global_load_dwordx2 v[10:11], v2, s[2:3]
	v_mov_b64_e32 v[8:9], v[6:7]
	s_waitcnt vmcnt(1)
	v_and_b32_e32 v4, v4, v8
	v_and_b32_e32 v3, v5, v9
	s_waitcnt vmcnt(0)
	v_mad_u64_u32 v[4:5], s[12:13], v4, 24, v[10:11]
	v_mov_b32_e32 v6, v5
	v_mad_u64_u32 v[6:7], s[12:13], v3, 24, v[6:7]
	v_mov_b32_e32 v5, v6
	global_load_dwordx2 v[6:7], v[4:5], off sc0 sc1
	s_waitcnt vmcnt(0)
	global_atomic_cmpswap_x2 v[6:7], v2, v[6:9], s[2:3] offset:24 sc0 sc1
	s_waitcnt vmcnt(0)
	buffer_inv sc0 sc1
	v_cmp_eq_u64_e32 vcc, v[6:7], v[8:9]
	s_or_b64 s[10:11], vcc, s[10:11]
	s_andn2_b64 exec, exec, s[10:11]
	s_cbranch_execnz .LBB3_3
; %bb.4:
	s_or_b64 exec, exec, s[10:11]
.LBB3_5:
	s_or_b64 exec, exec, s[6:7]
.LBB3_6:
	s_or_b64 exec, exec, s[4:5]
	v_mov_b32_e32 v29, 0
	s_waitcnt lgkmcnt(0)
	global_load_dwordx2 v[8:9], v29, s[2:3] offset:40
	global_load_dwordx4 v[2:5], v29, s[2:3]
	v_readfirstlane_b32 s5, v7
	v_readfirstlane_b32 s4, v6
	s_mov_b64 s[6:7], exec
	s_waitcnt vmcnt(1)
	v_readfirstlane_b32 s10, v8
	v_readfirstlane_b32 s11, v9
	s_and_b64 s[10:11], s[10:11], s[4:5]
	s_mul_i32 s12, s11, 24
	s_mul_hi_u32 s13, s10, 24
	s_add_i32 s13, s13, s12
	s_mul_i32 s12, s10, 24
	s_waitcnt vmcnt(0)
	v_lshl_add_u64 v[6:7], v[2:3], 0, s[12:13]
	s_and_saveexec_b64 s[12:13], s[0:1]
	s_cbranch_execz .LBB3_8
; %bb.7:
	v_mov_b64_e32 v[8:9], s[6:7]
	v_mov_b32_e32 v10, 2
	v_mov_b32_e32 v11, 1
	global_store_dwordx4 v[6:7], v[8:11], off offset:8
.LBB3_8:
	s_or_b64 exec, exec, s[12:13]
	s_lshl_b64 s[6:7], s[10:11], 12
	v_lshl_add_u64 v[8:9], v[4:5], 0, s[6:7]
	s_mov_b32 s12, 0
	v_lshlrev_b32_e32 v28, 6, v1
	v_mov_b32_e32 v10, 33
	v_mov_b32_e32 v11, v29
	;; [unrolled: 1-line block ×4, first 2 shown]
	v_readfirstlane_b32 s6, v8
	v_readfirstlane_b32 s7, v9
	s_mov_b32 s13, s12
	s_mov_b32 s14, s12
	;; [unrolled: 1-line block ×3, first 2 shown]
	s_nop 1
	global_store_dwordx4 v28, v[10:13], s[6:7]
	s_nop 1
	v_mov_b64_e32 v[10:11], s[12:13]
	v_mov_b64_e32 v[12:13], s[14:15]
	global_store_dwordx4 v28, v[10:13], s[6:7] offset:16
	global_store_dwordx4 v28, v[10:13], s[6:7] offset:32
	;; [unrolled: 1-line block ×3, first 2 shown]
	s_and_saveexec_b64 s[6:7], s[0:1]
	s_cbranch_execz .LBB3_16
; %bb.9:
	v_mov_b32_e32 v12, 0
	global_load_dwordx2 v[16:17], v12, s[2:3] offset:32 sc0 sc1
	global_load_dwordx2 v[4:5], v12, s[2:3] offset:40
	v_mov_b32_e32 v14, s4
	v_mov_b32_e32 v15, s5
	s_waitcnt vmcnt(0)
	v_and_b32_e32 v4, s4, v4
	v_and_b32_e32 v5, s5, v5
	v_mul_lo_u32 v5, v5, 24
	v_mul_hi_u32 v10, v4, 24
	v_mul_lo_u32 v4, v4, 24
	v_add_u32_e32 v5, v10, v5
	v_lshl_add_u64 v[10:11], v[2:3], 0, v[4:5]
	global_store_dwordx2 v[10:11], v[16:17], off
	buffer_wbl2 sc0 sc1
	s_waitcnt vmcnt(0)
	global_atomic_cmpswap_x2 v[4:5], v12, v[14:17], s[2:3] offset:32 sc0 sc1
	s_waitcnt vmcnt(0)
	v_cmp_ne_u64_e32 vcc, v[4:5], v[16:17]
	s_and_saveexec_b64 s[10:11], vcc
	s_cbranch_execz .LBB3_12
; %bb.10:
	s_mov_b64 s[12:13], 0
.LBB3_11:                               ; =>This Inner Loop Header: Depth=1
	s_sleep 1
	global_store_dwordx2 v[10:11], v[4:5], off
	v_mov_b32_e32 v2, s4
	v_mov_b32_e32 v3, s5
	buffer_wbl2 sc0 sc1
	s_waitcnt vmcnt(0)
	global_atomic_cmpswap_x2 v[2:3], v12, v[2:5], s[2:3] offset:32 sc0 sc1
	s_waitcnt vmcnt(0)
	v_cmp_eq_u64_e32 vcc, v[2:3], v[4:5]
	s_or_b64 s[12:13], vcc, s[12:13]
	v_mov_b64_e32 v[4:5], v[2:3]
	s_andn2_b64 exec, exec, s[12:13]
	s_cbranch_execnz .LBB3_11
.LBB3_12:
	s_or_b64 exec, exec, s[10:11]
	v_mov_b32_e32 v5, 0
	global_load_dwordx2 v[2:3], v5, s[2:3] offset:16
	s_mov_b64 s[10:11], exec
	v_mbcnt_lo_u32_b32 v4, s10, 0
	v_mbcnt_hi_u32_b32 v4, s11, v4
	v_cmp_eq_u32_e32 vcc, 0, v4
	s_and_saveexec_b64 s[12:13], vcc
	s_cbranch_execz .LBB3_14
; %bb.13:
	s_bcnt1_i32_b64 s10, s[10:11]
	v_mov_b32_e32 v4, s10
	buffer_wbl2 sc0 sc1
	s_waitcnt vmcnt(0)
	global_atomic_add_x2 v[2:3], v[4:5], off offset:8 sc1
.LBB3_14:
	s_or_b64 exec, exec, s[12:13]
	s_waitcnt vmcnt(0)
	global_load_dwordx2 v[4:5], v[2:3], off offset:16
	s_waitcnt vmcnt(0)
	v_cmp_eq_u64_e32 vcc, 0, v[4:5]
	s_cbranch_vccnz .LBB3_16
; %bb.15:
	global_load_dword v2, v[2:3], off offset:24
	v_mov_b32_e32 v3, 0
	s_waitcnt vmcnt(0)
	v_readfirstlane_b32 s10, v2
	s_and_b32 m0, s10, 0xffffff
	buffer_wbl2 sc0 sc1
	global_store_dwordx2 v[4:5], v[2:3], off sc0 sc1
	s_sendmsg sendmsg(MSG_INTERRUPT)
.LBB3_16:
	s_or_b64 exec, exec, s[6:7]
	v_lshl_add_u64 v[2:3], v[8:9], 0, v[28:29]
	s_branch .LBB3_20
.LBB3_17:                               ;   in Loop: Header=BB3_20 Depth=1
	s_or_b64 exec, exec, s[6:7]
	v_readfirstlane_b32 s6, v4
	s_cmp_eq_u32 s6, 0
	s_cbranch_scc1 .LBB3_19
; %bb.18:                               ;   in Loop: Header=BB3_20 Depth=1
	s_sleep 1
	s_cbranch_execnz .LBB3_20
	s_branch .LBB3_22
.LBB3_19:
	s_branch .LBB3_22
.LBB3_20:                               ; =>This Inner Loop Header: Depth=1
	v_mov_b32_e32 v4, 1
	s_and_saveexec_b64 s[6:7], s[0:1]
	s_cbranch_execz .LBB3_17
; %bb.21:                               ;   in Loop: Header=BB3_20 Depth=1
	global_load_dword v4, v[6:7], off offset:20 sc0 sc1
	s_waitcnt vmcnt(0)
	buffer_inv sc0 sc1
	v_and_b32_e32 v4, 1, v4
	s_branch .LBB3_17
.LBB3_22:
	global_load_dwordx2 v[6:7], v[2:3], off
	s_and_saveexec_b64 s[6:7], s[0:1]
	s_cbranch_execz .LBB3_25
; %bb.23:
	v_mov_b32_e32 v10, 0
	global_load_dwordx2 v[2:3], v10, s[2:3] offset:40
	global_load_dwordx2 v[14:15], v10, s[2:3] offset:24 sc0 sc1
	global_load_dwordx2 v[4:5], v10, s[2:3]
	s_waitcnt vmcnt(2)
	v_readfirstlane_b32 s10, v2
	v_readfirstlane_b32 s11, v3
	s_add_u32 s12, s10, 1
	s_addc_u32 s13, s11, 0
	s_add_u32 s0, s12, s4
	s_addc_u32 s1, s13, s5
	s_cmp_eq_u64 s[0:1], 0
	s_cselect_b32 s1, s13, s1
	s_cselect_b32 s0, s12, s0
	s_and_b64 s[4:5], s[0:1], s[10:11]
	s_mul_i32 s5, s5, 24
	s_mul_hi_u32 s10, s4, 24
	s_mul_i32 s4, s4, 24
	s_add_i32 s5, s10, s5
	s_waitcnt vmcnt(0)
	v_lshl_add_u64 v[8:9], v[4:5], 0, s[4:5]
	v_mov_b32_e32 v12, s0
	global_store_dwordx2 v[8:9], v[14:15], off
	v_mov_b32_e32 v13, s1
	buffer_wbl2 sc0 sc1
	s_waitcnt vmcnt(0)
	global_atomic_cmpswap_x2 v[4:5], v10, v[12:15], s[2:3] offset:24 sc0 sc1
	s_mov_b64 s[4:5], 0
	s_waitcnt vmcnt(0)
	v_cmp_ne_u64_e32 vcc, v[4:5], v[14:15]
	s_and_b64 exec, exec, vcc
	s_cbranch_execz .LBB3_25
.LBB3_24:                               ; =>This Inner Loop Header: Depth=1
	s_sleep 1
	global_store_dwordx2 v[8:9], v[4:5], off
	v_mov_b32_e32 v2, s0
	v_mov_b32_e32 v3, s1
	buffer_wbl2 sc0 sc1
	s_waitcnt vmcnt(0)
	global_atomic_cmpswap_x2 v[2:3], v10, v[2:5], s[2:3] offset:24 sc0 sc1
	s_waitcnt vmcnt(0)
	v_cmp_eq_u64_e32 vcc, v[2:3], v[4:5]
	s_or_b64 s[4:5], vcc, s[4:5]
	v_mov_b64_e32 v[4:5], v[2:3]
	s_andn2_b64 exec, exec, s[4:5]
	s_cbranch_execnz .LBB3_24
.LBB3_25:
	s_or_b64 exec, exec, s[6:7]
	s_getpc_b64 s[4:5]
	s_add_u32 s4, s4, .str.5@rel32@lo+4
	s_addc_u32 s5, s5, .str.5@rel32@hi+12
	s_cmp_lg_u64 s[4:5], 0
	s_cbranch_scc0 .LBB3_110
; %bb.26:
	s_waitcnt vmcnt(0)
	v_and_b32_e32 v30, 2, v6
	v_mov_b32_e32 v33, 0
	v_and_b32_e32 v2, -3, v6
	v_mov_b32_e32 v3, v7
	s_mov_b64 s[6:7], 0x4d
	v_mov_b32_e32 v10, 2
	v_mov_b32_e32 v11, 1
	s_branch .LBB3_28
.LBB3_27:                               ;   in Loop: Header=BB3_28 Depth=1
	s_or_b64 exec, exec, s[14:15]
	s_sub_u32 s6, s6, s10
	s_subb_u32 s7, s7, s11
	s_add_u32 s4, s4, s10
	s_addc_u32 s5, s5, s11
	s_cmp_lg_u64 s[6:7], 0
	s_cbranch_scc0 .LBB3_111
.LBB3_28:                               ; =>This Loop Header: Depth=1
                                        ;     Child Loop BB3_31 Depth 2
                                        ;     Child Loop BB3_39 Depth 2
	;; [unrolled: 1-line block ×11, first 2 shown]
	v_cmp_lt_u64_e64 s[0:1], s[6:7], 56
	s_and_b64 s[0:1], s[0:1], exec
	s_cselect_b32 s11, s7, 0
	s_cselect_b32 s10, s6, 56
	v_cmp_gt_u64_e64 s[12:13], s[6:7], 7
	s_add_u32 s0, s4, 8
	s_addc_u32 s1, s5, 0
	s_and_b64 vcc, exec, s[12:13]
	s_cbranch_vccnz .LBB3_32
; %bb.29:                               ;   in Loop: Header=BB3_28 Depth=1
	s_cmp_eq_u64 s[6:7], 0
	s_cbranch_scc1 .LBB3_33
; %bb.30:                               ;   in Loop: Header=BB3_28 Depth=1
	s_lshl_b64 s[0:1], s[10:11], 3
	s_mov_b64 s[12:13], 0
	v_mov_b64_e32 v[4:5], 0
	s_mov_b64 s[14:15], s[4:5]
.LBB3_31:                               ;   Parent Loop BB3_28 Depth=1
                                        ; =>  This Inner Loop Header: Depth=2
	global_load_ubyte v8, v33, s[14:15]
	s_waitcnt vmcnt(0)
	v_and_b32_e32 v32, 0xffff, v8
	v_lshlrev_b64 v[8:9], s12, v[32:33]
	s_add_u32 s12, s12, 8
	s_addc_u32 s13, s13, 0
	s_add_u32 s14, s14, 1
	s_addc_u32 s15, s15, 0
	v_or_b32_e32 v4, v8, v4
	s_cmp_lg_u32 s0, s12
	v_or_b32_e32 v5, v9, v5
	s_cbranch_scc1 .LBB3_31
	s_branch .LBB3_34
.LBB3_32:                               ;   in Loop: Header=BB3_28 Depth=1
	s_mov_b32 s16, 0
	s_branch .LBB3_35
.LBB3_33:                               ;   in Loop: Header=BB3_28 Depth=1
	v_mov_b64_e32 v[4:5], 0
.LBB3_34:                               ;   in Loop: Header=BB3_28 Depth=1
	s_mov_b64 s[0:1], s[4:5]
	s_mov_b32 s16, 0
	s_cbranch_execnz .LBB3_36
.LBB3_35:                               ;   in Loop: Header=BB3_28 Depth=1
	global_load_dwordx2 v[4:5], v33, s[4:5]
	s_add_i32 s16, s10, -8
.LBB3_36:                               ;   in Loop: Header=BB3_28 Depth=1
	s_add_u32 s12, s0, 8
	s_addc_u32 s13, s1, 0
	s_cmp_gt_u32 s16, 7
	s_cbranch_scc1 .LBB3_40
; %bb.37:                               ;   in Loop: Header=BB3_28 Depth=1
	s_cmp_eq_u32 s16, 0
	s_cbranch_scc1 .LBB3_41
; %bb.38:                               ;   in Loop: Header=BB3_28 Depth=1
	s_mov_b64 s[12:13], 0
	v_mov_b64_e32 v[12:13], 0
	s_mov_b64 s[14:15], 0
.LBB3_39:                               ;   Parent Loop BB3_28 Depth=1
                                        ; =>  This Inner Loop Header: Depth=2
	s_add_u32 s18, s0, s14
	s_addc_u32 s19, s1, s15
	global_load_ubyte v8, v33, s[18:19]
	s_add_u32 s14, s14, 1
	s_addc_u32 s15, s15, 0
	s_waitcnt vmcnt(0)
	v_and_b32_e32 v32, 0xffff, v8
	v_lshlrev_b64 v[8:9], s12, v[32:33]
	s_add_u32 s12, s12, 8
	s_addc_u32 s13, s13, 0
	v_or_b32_e32 v12, v8, v12
	s_cmp_lg_u32 s16, s14
	v_or_b32_e32 v13, v9, v13
	s_cbranch_scc1 .LBB3_39
	s_branch .LBB3_42
.LBB3_40:                               ;   in Loop: Header=BB3_28 Depth=1
                                        ; implicit-def: $vgpr12_vgpr13
	s_mov_b32 s17, 0
	s_branch .LBB3_43
.LBB3_41:                               ;   in Loop: Header=BB3_28 Depth=1
	v_mov_b64_e32 v[12:13], 0
.LBB3_42:                               ;   in Loop: Header=BB3_28 Depth=1
	s_mov_b64 s[12:13], s[0:1]
	s_mov_b32 s17, 0
	s_cbranch_execnz .LBB3_44
.LBB3_43:                               ;   in Loop: Header=BB3_28 Depth=1
	global_load_dwordx2 v[12:13], v33, s[0:1]
	s_add_i32 s17, s16, -8
.LBB3_44:                               ;   in Loop: Header=BB3_28 Depth=1
	s_add_u32 s0, s12, 8
	s_addc_u32 s1, s13, 0
	s_cmp_gt_u32 s17, 7
	s_cbranch_scc1 .LBB3_48
; %bb.45:                               ;   in Loop: Header=BB3_28 Depth=1
	s_cmp_eq_u32 s17, 0
	s_cbranch_scc1 .LBB3_49
; %bb.46:                               ;   in Loop: Header=BB3_28 Depth=1
	s_mov_b64 s[0:1], 0
	v_mov_b64_e32 v[14:15], 0
	s_mov_b64 s[14:15], 0
.LBB3_47:                               ;   Parent Loop BB3_28 Depth=1
                                        ; =>  This Inner Loop Header: Depth=2
	s_add_u32 s18, s12, s14
	s_addc_u32 s19, s13, s15
	global_load_ubyte v8, v33, s[18:19]
	s_add_u32 s14, s14, 1
	s_addc_u32 s15, s15, 0
	s_waitcnt vmcnt(0)
	v_and_b32_e32 v32, 0xffff, v8
	v_lshlrev_b64 v[8:9], s0, v[32:33]
	s_add_u32 s0, s0, 8
	s_addc_u32 s1, s1, 0
	v_or_b32_e32 v14, v8, v14
	s_cmp_lg_u32 s17, s14
	v_or_b32_e32 v15, v9, v15
	s_cbranch_scc1 .LBB3_47
	s_branch .LBB3_50
.LBB3_48:                               ;   in Loop: Header=BB3_28 Depth=1
	s_mov_b32 s16, 0
	s_branch .LBB3_51
.LBB3_49:                               ;   in Loop: Header=BB3_28 Depth=1
	v_mov_b64_e32 v[14:15], 0
.LBB3_50:                               ;   in Loop: Header=BB3_28 Depth=1
	s_mov_b64 s[0:1], s[12:13]
	s_mov_b32 s16, 0
	s_cbranch_execnz .LBB3_52
.LBB3_51:                               ;   in Loop: Header=BB3_28 Depth=1
	global_load_dwordx2 v[14:15], v33, s[12:13]
	s_add_i32 s16, s17, -8
.LBB3_52:                               ;   in Loop: Header=BB3_28 Depth=1
	s_add_u32 s12, s0, 8
	s_addc_u32 s13, s1, 0
	s_cmp_gt_u32 s16, 7
	s_cbranch_scc1 .LBB3_56
; %bb.53:                               ;   in Loop: Header=BB3_28 Depth=1
	s_cmp_eq_u32 s16, 0
	s_cbranch_scc1 .LBB3_57
; %bb.54:                               ;   in Loop: Header=BB3_28 Depth=1
	s_mov_b64 s[12:13], 0
	v_mov_b64_e32 v[16:17], 0
	s_mov_b64 s[14:15], 0
.LBB3_55:                               ;   Parent Loop BB3_28 Depth=1
                                        ; =>  This Inner Loop Header: Depth=2
	s_add_u32 s18, s0, s14
	s_addc_u32 s19, s1, s15
	global_load_ubyte v8, v33, s[18:19]
	s_add_u32 s14, s14, 1
	s_addc_u32 s15, s15, 0
	s_waitcnt vmcnt(0)
	v_and_b32_e32 v32, 0xffff, v8
	v_lshlrev_b64 v[8:9], s12, v[32:33]
	s_add_u32 s12, s12, 8
	s_addc_u32 s13, s13, 0
	v_or_b32_e32 v16, v8, v16
	s_cmp_lg_u32 s16, s14
	v_or_b32_e32 v17, v9, v17
	s_cbranch_scc1 .LBB3_55
	s_branch .LBB3_58
.LBB3_56:                               ;   in Loop: Header=BB3_28 Depth=1
                                        ; implicit-def: $vgpr16_vgpr17
	s_mov_b32 s17, 0
	s_branch .LBB3_59
.LBB3_57:                               ;   in Loop: Header=BB3_28 Depth=1
	v_mov_b64_e32 v[16:17], 0
.LBB3_58:                               ;   in Loop: Header=BB3_28 Depth=1
	s_mov_b64 s[12:13], s[0:1]
	s_mov_b32 s17, 0
	s_cbranch_execnz .LBB3_60
.LBB3_59:                               ;   in Loop: Header=BB3_28 Depth=1
	global_load_dwordx2 v[16:17], v33, s[0:1]
	s_add_i32 s17, s16, -8
.LBB3_60:                               ;   in Loop: Header=BB3_28 Depth=1
	s_add_u32 s0, s12, 8
	s_addc_u32 s1, s13, 0
	s_cmp_gt_u32 s17, 7
	s_cbranch_scc1 .LBB3_64
; %bb.61:                               ;   in Loop: Header=BB3_28 Depth=1
	s_cmp_eq_u32 s17, 0
	s_cbranch_scc1 .LBB3_65
; %bb.62:                               ;   in Loop: Header=BB3_28 Depth=1
	s_mov_b64 s[0:1], 0
	v_mov_b64_e32 v[18:19], 0
	s_mov_b64 s[14:15], 0
.LBB3_63:                               ;   Parent Loop BB3_28 Depth=1
                                        ; =>  This Inner Loop Header: Depth=2
	s_add_u32 s18, s12, s14
	s_addc_u32 s19, s13, s15
	global_load_ubyte v8, v33, s[18:19]
	s_add_u32 s14, s14, 1
	s_addc_u32 s15, s15, 0
	s_waitcnt vmcnt(0)
	v_and_b32_e32 v32, 0xffff, v8
	v_lshlrev_b64 v[8:9], s0, v[32:33]
	s_add_u32 s0, s0, 8
	s_addc_u32 s1, s1, 0
	v_or_b32_e32 v18, v8, v18
	s_cmp_lg_u32 s17, s14
	v_or_b32_e32 v19, v9, v19
	s_cbranch_scc1 .LBB3_63
	s_branch .LBB3_66
.LBB3_64:                               ;   in Loop: Header=BB3_28 Depth=1
	s_mov_b32 s16, 0
	s_branch .LBB3_67
.LBB3_65:                               ;   in Loop: Header=BB3_28 Depth=1
	v_mov_b64_e32 v[18:19], 0
.LBB3_66:                               ;   in Loop: Header=BB3_28 Depth=1
	s_mov_b64 s[0:1], s[12:13]
	s_mov_b32 s16, 0
	s_cbranch_execnz .LBB3_68
.LBB3_67:                               ;   in Loop: Header=BB3_28 Depth=1
	global_load_dwordx2 v[18:19], v33, s[12:13]
	s_add_i32 s16, s17, -8
.LBB3_68:                               ;   in Loop: Header=BB3_28 Depth=1
	s_add_u32 s12, s0, 8
	s_addc_u32 s13, s1, 0
	s_cmp_gt_u32 s16, 7
	s_cbranch_scc1 .LBB3_72
; %bb.69:                               ;   in Loop: Header=BB3_28 Depth=1
	s_cmp_eq_u32 s16, 0
	s_cbranch_scc1 .LBB3_73
; %bb.70:                               ;   in Loop: Header=BB3_28 Depth=1
	s_mov_b64 s[12:13], 0
	v_mov_b64_e32 v[20:21], 0
	s_mov_b64 s[14:15], 0
.LBB3_71:                               ;   Parent Loop BB3_28 Depth=1
                                        ; =>  This Inner Loop Header: Depth=2
	s_add_u32 s18, s0, s14
	s_addc_u32 s19, s1, s15
	global_load_ubyte v8, v33, s[18:19]
	s_add_u32 s14, s14, 1
	s_addc_u32 s15, s15, 0
	s_waitcnt vmcnt(0)
	v_and_b32_e32 v32, 0xffff, v8
	v_lshlrev_b64 v[8:9], s12, v[32:33]
	s_add_u32 s12, s12, 8
	s_addc_u32 s13, s13, 0
	v_or_b32_e32 v20, v8, v20
	s_cmp_lg_u32 s16, s14
	v_or_b32_e32 v21, v9, v21
	s_cbranch_scc1 .LBB3_71
	s_branch .LBB3_74
.LBB3_72:                               ;   in Loop: Header=BB3_28 Depth=1
                                        ; implicit-def: $vgpr20_vgpr21
	s_mov_b32 s17, 0
	s_branch .LBB3_75
.LBB3_73:                               ;   in Loop: Header=BB3_28 Depth=1
	v_mov_b64_e32 v[20:21], 0
.LBB3_74:                               ;   in Loop: Header=BB3_28 Depth=1
	s_mov_b64 s[12:13], s[0:1]
	s_mov_b32 s17, 0
	s_cbranch_execnz .LBB3_76
.LBB3_75:                               ;   in Loop: Header=BB3_28 Depth=1
	global_load_dwordx2 v[20:21], v33, s[0:1]
	s_add_i32 s17, s16, -8
.LBB3_76:                               ;   in Loop: Header=BB3_28 Depth=1
	s_cmp_gt_u32 s17, 7
	s_cbranch_scc1 .LBB3_80
; %bb.77:                               ;   in Loop: Header=BB3_28 Depth=1
	s_cmp_eq_u32 s17, 0
	s_cbranch_scc1 .LBB3_81
; %bb.78:                               ;   in Loop: Header=BB3_28 Depth=1
	s_mov_b64 s[0:1], 0
	v_mov_b64_e32 v[22:23], 0
	s_mov_b64 s[14:15], s[12:13]
.LBB3_79:                               ;   Parent Loop BB3_28 Depth=1
                                        ; =>  This Inner Loop Header: Depth=2
	global_load_ubyte v8, v33, s[14:15]
	s_add_i32 s17, s17, -1
	s_waitcnt vmcnt(0)
	v_and_b32_e32 v32, 0xffff, v8
	v_lshlrev_b64 v[8:9], s0, v[32:33]
	s_add_u32 s0, s0, 8
	s_addc_u32 s1, s1, 0
	s_add_u32 s14, s14, 1
	s_addc_u32 s15, s15, 0
	v_or_b32_e32 v22, v8, v22
	s_cmp_lg_u32 s17, 0
	v_or_b32_e32 v23, v9, v23
	s_cbranch_scc1 .LBB3_79
	s_branch .LBB3_82
.LBB3_80:                               ;   in Loop: Header=BB3_28 Depth=1
	s_branch .LBB3_83
.LBB3_81:                               ;   in Loop: Header=BB3_28 Depth=1
	v_mov_b64_e32 v[22:23], 0
.LBB3_82:                               ;   in Loop: Header=BB3_28 Depth=1
	s_cbranch_execnz .LBB3_84
.LBB3_83:                               ;   in Loop: Header=BB3_28 Depth=1
	global_load_dwordx2 v[22:23], v33, s[12:13]
.LBB3_84:                               ;   in Loop: Header=BB3_28 Depth=1
	v_readfirstlane_b32 s0, v1
	v_mov_b64_e32 v[8:9], 0
	s_nop 0
	v_cmp_eq_u32_e64 s[0:1], s0, v1
	s_and_saveexec_b64 s[12:13], s[0:1]
	s_cbranch_execz .LBB3_90
; %bb.85:                               ;   in Loop: Header=BB3_28 Depth=1
	global_load_dwordx2 v[26:27], v33, s[2:3] offset:24 sc0 sc1
	s_waitcnt vmcnt(0)
	buffer_inv sc0 sc1
	global_load_dwordx2 v[8:9], v33, s[2:3] offset:40
	global_load_dwordx2 v[24:25], v33, s[2:3]
	s_waitcnt vmcnt(1)
	v_and_b32_e32 v8, v8, v26
	v_and_b32_e32 v9, v9, v27
	v_mul_lo_u32 v9, v9, 24
	v_mul_hi_u32 v29, v8, 24
	v_add_u32_e32 v9, v29, v9
	v_mul_lo_u32 v8, v8, 24
	s_waitcnt vmcnt(0)
	v_lshl_add_u64 v[8:9], v[24:25], 0, v[8:9]
	global_load_dwordx2 v[24:25], v[8:9], off sc0 sc1
	s_waitcnt vmcnt(0)
	global_atomic_cmpswap_x2 v[8:9], v33, v[24:27], s[2:3] offset:24 sc0 sc1
	s_waitcnt vmcnt(0)
	buffer_inv sc0 sc1
	v_cmp_ne_u64_e32 vcc, v[8:9], v[26:27]
	s_and_saveexec_b64 s[14:15], vcc
	s_cbranch_execz .LBB3_89
; %bb.86:                               ;   in Loop: Header=BB3_28 Depth=1
	s_mov_b64 s[16:17], 0
.LBB3_87:                               ;   Parent Loop BB3_28 Depth=1
                                        ; =>  This Inner Loop Header: Depth=2
	s_sleep 1
	global_load_dwordx2 v[24:25], v33, s[2:3] offset:40
	global_load_dwordx2 v[34:35], v33, s[2:3]
	v_mov_b64_e32 v[26:27], v[8:9]
	s_waitcnt vmcnt(1)
	v_and_b32_e32 v8, v24, v26
	s_waitcnt vmcnt(0)
	v_mad_u64_u32 v[8:9], s[18:19], v8, 24, v[34:35]
	v_and_b32_e32 v25, v25, v27
	v_mov_b32_e32 v24, v9
	v_mad_u64_u32 v[24:25], s[18:19], v25, 24, v[24:25]
	v_mov_b32_e32 v9, v24
	global_load_dwordx2 v[24:25], v[8:9], off sc0 sc1
	s_waitcnt vmcnt(0)
	global_atomic_cmpswap_x2 v[8:9], v33, v[24:27], s[2:3] offset:24 sc0 sc1
	s_waitcnt vmcnt(0)
	buffer_inv sc0 sc1
	v_cmp_eq_u64_e32 vcc, v[8:9], v[26:27]
	s_or_b64 s[16:17], vcc, s[16:17]
	s_andn2_b64 exec, exec, s[16:17]
	s_cbranch_execnz .LBB3_87
; %bb.88:                               ;   in Loop: Header=BB3_28 Depth=1
	s_or_b64 exec, exec, s[16:17]
.LBB3_89:                               ;   in Loop: Header=BB3_28 Depth=1
	s_or_b64 exec, exec, s[14:15]
.LBB3_90:                               ;   in Loop: Header=BB3_28 Depth=1
	s_or_b64 exec, exec, s[12:13]
	global_load_dwordx2 v[34:35], v33, s[2:3] offset:40
	global_load_dwordx4 v[24:27], v33, s[2:3]
	v_readfirstlane_b32 s13, v9
	v_readfirstlane_b32 s12, v8
	s_mov_b64 s[14:15], exec
	s_waitcnt vmcnt(1)
	v_readfirstlane_b32 s16, v34
	v_readfirstlane_b32 s17, v35
	s_and_b64 s[16:17], s[16:17], s[12:13]
	s_mul_i32 s18, s17, 24
	s_mul_hi_u32 s19, s16, 24
	s_add_i32 s19, s19, s18
	s_mul_i32 s18, s16, 24
	s_waitcnt vmcnt(0)
	v_lshl_add_u64 v[34:35], v[24:25], 0, s[18:19]
	s_and_saveexec_b64 s[18:19], s[0:1]
	s_cbranch_execz .LBB3_92
; %bb.91:                               ;   in Loop: Header=BB3_28 Depth=1
	v_mov_b64_e32 v[8:9], s[14:15]
	global_store_dwordx4 v[34:35], v[8:11], off offset:8
.LBB3_92:                               ;   in Loop: Header=BB3_28 Depth=1
	s_or_b64 exec, exec, s[18:19]
	s_lshl_b64 s[14:15], s[16:17], 12
	v_lshl_add_u64 v[8:9], v[26:27], 0, s[14:15]
	v_cmp_lt_u64_e64 vcc, s[6:7], 57
	s_lshl_b32 s14, s10, 2
	s_add_i32 s14, s14, 28
	v_cndmask_b32_e32 v26, 0, v30, vcc
	v_and_b32_e32 v2, 0xffffff1f, v2
	s_and_b32 s14, s14, 0x1e0
	v_or_b32_e32 v2, v2, v26
	v_or_b32_e32 v2, s14, v2
	v_readfirstlane_b32 s14, v8
	v_readfirstlane_b32 s15, v9
	s_nop 4
	global_store_dwordx4 v28, v[2:5], s[14:15]
	global_store_dwordx4 v28, v[12:15], s[14:15] offset:16
	global_store_dwordx4 v28, v[16:19], s[14:15] offset:32
	;; [unrolled: 1-line block ×3, first 2 shown]
	s_and_saveexec_b64 s[14:15], s[0:1]
	s_cbranch_execz .LBB3_100
; %bb.93:                               ;   in Loop: Header=BB3_28 Depth=1
	global_load_dwordx2 v[16:17], v33, s[2:3] offset:32 sc0 sc1
	global_load_dwordx2 v[2:3], v33, s[2:3] offset:40
	v_mov_b32_e32 v14, s12
	v_mov_b32_e32 v15, s13
	s_waitcnt vmcnt(0)
	v_readfirstlane_b32 s16, v2
	v_readfirstlane_b32 s17, v3
	s_and_b64 s[16:17], s[16:17], s[12:13]
	s_mul_i32 s17, s17, 24
	s_mul_hi_u32 s18, s16, 24
	s_mul_i32 s16, s16, 24
	s_add_i32 s17, s18, s17
	v_lshl_add_u64 v[12:13], v[24:25], 0, s[16:17]
	global_store_dwordx2 v[12:13], v[16:17], off
	buffer_wbl2 sc0 sc1
	s_waitcnt vmcnt(0)
	global_atomic_cmpswap_x2 v[4:5], v33, v[14:17], s[2:3] offset:32 sc0 sc1
	s_waitcnt vmcnt(0)
	v_cmp_ne_u64_e32 vcc, v[4:5], v[16:17]
	s_and_saveexec_b64 s[16:17], vcc
	s_cbranch_execz .LBB3_96
; %bb.94:                               ;   in Loop: Header=BB3_28 Depth=1
	s_mov_b64 s[18:19], 0
.LBB3_95:                               ;   Parent Loop BB3_28 Depth=1
                                        ; =>  This Inner Loop Header: Depth=2
	s_sleep 1
	global_store_dwordx2 v[12:13], v[4:5], off
	v_mov_b32_e32 v2, s12
	v_mov_b32_e32 v3, s13
	buffer_wbl2 sc0 sc1
	s_waitcnt vmcnt(0)
	global_atomic_cmpswap_x2 v[2:3], v33, v[2:5], s[2:3] offset:32 sc0 sc1
	s_waitcnt vmcnt(0)
	v_cmp_eq_u64_e32 vcc, v[2:3], v[4:5]
	s_or_b64 s[18:19], vcc, s[18:19]
	v_mov_b64_e32 v[4:5], v[2:3]
	s_andn2_b64 exec, exec, s[18:19]
	s_cbranch_execnz .LBB3_95
.LBB3_96:                               ;   in Loop: Header=BB3_28 Depth=1
	s_or_b64 exec, exec, s[16:17]
	global_load_dwordx2 v[2:3], v33, s[2:3] offset:16
	s_mov_b64 s[18:19], exec
	v_mbcnt_lo_u32_b32 v4, s18, 0
	v_mbcnt_hi_u32_b32 v4, s19, v4
	v_cmp_eq_u32_e32 vcc, 0, v4
	s_and_saveexec_b64 s[16:17], vcc
	s_cbranch_execz .LBB3_98
; %bb.97:                               ;   in Loop: Header=BB3_28 Depth=1
	s_bcnt1_i32_b64 s18, s[18:19]
	v_mov_b32_e32 v32, s18
	buffer_wbl2 sc0 sc1
	s_waitcnt vmcnt(0)
	global_atomic_add_x2 v[2:3], v[32:33], off offset:8 sc1
.LBB3_98:                               ;   in Loop: Header=BB3_28 Depth=1
	s_or_b64 exec, exec, s[16:17]
	s_waitcnt vmcnt(0)
	global_load_dwordx2 v[4:5], v[2:3], off offset:16
	s_waitcnt vmcnt(0)
	v_cmp_eq_u64_e32 vcc, 0, v[4:5]
	s_cbranch_vccnz .LBB3_100
; %bb.99:                               ;   in Loop: Header=BB3_28 Depth=1
	global_load_dword v32, v[2:3], off offset:24
	s_waitcnt vmcnt(0)
	v_readfirstlane_b32 s16, v32
	s_and_b32 m0, s16, 0xffffff
	buffer_wbl2 sc0 sc1
	global_store_dwordx2 v[4:5], v[32:33], off sc0 sc1
	s_sendmsg sendmsg(MSG_INTERRUPT)
.LBB3_100:                              ;   in Loop: Header=BB3_28 Depth=1
	s_or_b64 exec, exec, s[14:15]
	v_mov_b32_e32 v29, v33
	v_lshl_add_u64 v[2:3], v[8:9], 0, v[28:29]
	s_branch .LBB3_104
.LBB3_101:                              ;   in Loop: Header=BB3_104 Depth=2
	s_or_b64 exec, exec, s[14:15]
	v_readfirstlane_b32 s14, v4
	s_cmp_eq_u32 s14, 0
	s_cbranch_scc1 .LBB3_103
; %bb.102:                              ;   in Loop: Header=BB3_104 Depth=2
	s_sleep 1
	s_cbranch_execnz .LBB3_104
	s_branch .LBB3_106
.LBB3_103:                              ;   in Loop: Header=BB3_28 Depth=1
	s_branch .LBB3_106
.LBB3_104:                              ;   Parent Loop BB3_28 Depth=1
                                        ; =>  This Inner Loop Header: Depth=2
	v_mov_b32_e32 v4, 1
	s_and_saveexec_b64 s[14:15], s[0:1]
	s_cbranch_execz .LBB3_101
; %bb.105:                              ;   in Loop: Header=BB3_104 Depth=2
	global_load_dword v4, v[34:35], off offset:20 sc0 sc1
	s_waitcnt vmcnt(0)
	buffer_inv sc0 sc1
	v_and_b32_e32 v4, 1, v4
	s_branch .LBB3_101
.LBB3_106:                              ;   in Loop: Header=BB3_28 Depth=1
	global_load_dwordx2 v[2:3], v[2:3], off
	s_and_saveexec_b64 s[14:15], s[0:1]
	s_cbranch_execz .LBB3_27
; %bb.107:                              ;   in Loop: Header=BB3_28 Depth=1
	global_load_dwordx2 v[4:5], v33, s[2:3] offset:40
	global_load_dwordx2 v[16:17], v33, s[2:3] offset:24 sc0 sc1
	global_load_dwordx2 v[8:9], v33, s[2:3]
	s_waitcnt vmcnt(2)
	v_readfirstlane_b32 s16, v4
	v_readfirstlane_b32 s17, v5
	s_add_u32 s18, s16, 1
	s_addc_u32 s19, s17, 0
	s_add_u32 s0, s18, s12
	s_addc_u32 s1, s19, s13
	s_cmp_eq_u64 s[0:1], 0
	s_cselect_b32 s1, s19, s1
	s_cselect_b32 s0, s18, s0
	s_and_b64 s[12:13], s[0:1], s[16:17]
	s_mul_i32 s13, s13, 24
	s_mul_hi_u32 s16, s12, 24
	s_mul_i32 s12, s12, 24
	s_add_i32 s13, s16, s13
	s_waitcnt vmcnt(0)
	v_lshl_add_u64 v[4:5], v[8:9], 0, s[12:13]
	v_mov_b32_e32 v14, s0
	global_store_dwordx2 v[4:5], v[16:17], off
	v_mov_b32_e32 v15, s1
	buffer_wbl2 sc0 sc1
	s_waitcnt vmcnt(0)
	global_atomic_cmpswap_x2 v[14:15], v33, v[14:17], s[2:3] offset:24 sc0 sc1
	s_waitcnt vmcnt(0)
	v_cmp_ne_u64_e32 vcc, v[14:15], v[16:17]
	s_and_b64 exec, exec, vcc
	s_cbranch_execz .LBB3_27
; %bb.108:                              ;   in Loop: Header=BB3_28 Depth=1
	s_mov_b64 s[12:13], 0
.LBB3_109:                              ;   Parent Loop BB3_28 Depth=1
                                        ; =>  This Inner Loop Header: Depth=2
	s_sleep 1
	global_store_dwordx2 v[4:5], v[14:15], off
	v_mov_b32_e32 v12, s0
	v_mov_b32_e32 v13, s1
	buffer_wbl2 sc0 sc1
	s_waitcnt vmcnt(0)
	global_atomic_cmpswap_x2 v[8:9], v33, v[12:15], s[2:3] offset:24 sc0 sc1
	s_waitcnt vmcnt(0)
	v_cmp_eq_u64_e32 vcc, v[8:9], v[14:15]
	s_or_b64 s[12:13], vcc, s[12:13]
	v_mov_b64_e32 v[14:15], v[8:9]
	s_andn2_b64 exec, exec, s[12:13]
	s_cbranch_execnz .LBB3_109
	s_branch .LBB3_27
.LBB3_110:
                                        ; implicit-def: $vgpr2_vgpr3
	s_cbranch_execnz .LBB3_112
	s_branch .LBB3_138
.LBB3_111:
	s_branch .LBB3_138
.LBB3_112:
	v_readfirstlane_b32 s0, v1
	v_mov_b64_e32 v[8:9], 0
	s_nop 0
	v_cmp_eq_u32_e64 s[0:1], s0, v1
	s_and_saveexec_b64 s[4:5], s[0:1]
	s_cbranch_execz .LBB3_118
; %bb.113:
	s_waitcnt vmcnt(0)
	v_mov_b32_e32 v2, 0
	global_load_dwordx2 v[10:11], v2, s[2:3] offset:24 sc0 sc1
	s_waitcnt vmcnt(0)
	buffer_inv sc0 sc1
	global_load_dwordx2 v[4:5], v2, s[2:3] offset:40
	global_load_dwordx2 v[8:9], v2, s[2:3]
	s_waitcnt vmcnt(1)
	v_and_b32_e32 v3, v4, v10
	v_and_b32_e32 v4, v5, v11
	v_mul_lo_u32 v4, v4, 24
	v_mul_hi_u32 v5, v3, 24
	v_add_u32_e32 v5, v5, v4
	v_mul_lo_u32 v4, v3, 24
	s_waitcnt vmcnt(0)
	v_lshl_add_u64 v[4:5], v[8:9], 0, v[4:5]
	global_load_dwordx2 v[8:9], v[4:5], off sc0 sc1
	s_waitcnt vmcnt(0)
	global_atomic_cmpswap_x2 v[8:9], v2, v[8:11], s[2:3] offset:24 sc0 sc1
	s_waitcnt vmcnt(0)
	buffer_inv sc0 sc1
	v_cmp_ne_u64_e32 vcc, v[8:9], v[10:11]
	s_and_saveexec_b64 s[6:7], vcc
	s_cbranch_execz .LBB3_117
; %bb.114:
	s_mov_b64 s[10:11], 0
.LBB3_115:                              ; =>This Inner Loop Header: Depth=1
	s_sleep 1
	global_load_dwordx2 v[4:5], v2, s[2:3] offset:40
	global_load_dwordx2 v[12:13], v2, s[2:3]
	v_mov_b64_e32 v[10:11], v[8:9]
	s_waitcnt vmcnt(1)
	v_and_b32_e32 v4, v4, v10
	v_and_b32_e32 v3, v5, v11
	s_waitcnt vmcnt(0)
	v_mad_u64_u32 v[4:5], s[12:13], v4, 24, v[12:13]
	v_mov_b32_e32 v8, v5
	v_mad_u64_u32 v[8:9], s[12:13], v3, 24, v[8:9]
	v_mov_b32_e32 v5, v8
	global_load_dwordx2 v[8:9], v[4:5], off sc0 sc1
	s_waitcnt vmcnt(0)
	global_atomic_cmpswap_x2 v[8:9], v2, v[8:11], s[2:3] offset:24 sc0 sc1
	s_waitcnt vmcnt(0)
	buffer_inv sc0 sc1
	v_cmp_eq_u64_e32 vcc, v[8:9], v[10:11]
	s_or_b64 s[10:11], vcc, s[10:11]
	s_andn2_b64 exec, exec, s[10:11]
	s_cbranch_execnz .LBB3_115
; %bb.116:
	s_or_b64 exec, exec, s[10:11]
.LBB3_117:
	s_or_b64 exec, exec, s[6:7]
.LBB3_118:
	s_or_b64 exec, exec, s[4:5]
	v_mov_b32_e32 v29, 0
	global_load_dwordx2 v[10:11], v29, s[2:3] offset:40
	global_load_dwordx4 v[2:5], v29, s[2:3]
	v_readfirstlane_b32 s5, v9
	v_readfirstlane_b32 s4, v8
	s_mov_b64 s[6:7], exec
	s_waitcnt vmcnt(1)
	v_readfirstlane_b32 s10, v10
	v_readfirstlane_b32 s11, v11
	s_and_b64 s[10:11], s[10:11], s[4:5]
	s_mul_i32 s12, s11, 24
	s_mul_hi_u32 s13, s10, 24
	s_add_i32 s13, s13, s12
	s_mul_i32 s12, s10, 24
	s_waitcnt vmcnt(0)
	v_lshl_add_u64 v[10:11], v[2:3], 0, s[12:13]
	s_and_saveexec_b64 s[12:13], s[0:1]
	s_cbranch_execz .LBB3_120
; %bb.119:
	v_mov_b64_e32 v[12:13], s[6:7]
	v_mov_b32_e32 v14, 2
	v_mov_b32_e32 v15, 1
	global_store_dwordx4 v[10:11], v[12:15], off offset:8
.LBB3_120:
	s_or_b64 exec, exec, s[12:13]
	s_lshl_b64 s[6:7], s[10:11], 12
	v_lshl_add_u64 v[12:13], v[4:5], 0, s[6:7]
	s_movk_i32 s6, 0xff1f
	s_mov_b32 s12, 0
	v_and_or_b32 v6, v6, s6, 32
	v_mov_b32_e32 v8, v29
	v_mov_b32_e32 v9, v29
	v_readfirstlane_b32 s6, v12
	v_readfirstlane_b32 s7, v13
	s_mov_b32 s13, s12
	s_mov_b32 s14, s12
	;; [unrolled: 1-line block ×3, first 2 shown]
	s_nop 1
	global_store_dwordx4 v28, v[6:9], s[6:7]
	v_mov_b64_e32 v[4:5], s[12:13]
	s_nop 0
	v_mov_b64_e32 v[6:7], s[14:15]
	global_store_dwordx4 v28, v[4:7], s[6:7] offset:16
	global_store_dwordx4 v28, v[4:7], s[6:7] offset:32
	;; [unrolled: 1-line block ×3, first 2 shown]
	s_and_saveexec_b64 s[6:7], s[0:1]
	s_cbranch_execz .LBB3_128
; %bb.121:
	v_mov_b32_e32 v8, 0
	global_load_dwordx2 v[16:17], v8, s[2:3] offset:32 sc0 sc1
	global_load_dwordx2 v[4:5], v8, s[2:3] offset:40
	v_mov_b32_e32 v14, s4
	v_mov_b32_e32 v15, s5
	s_waitcnt vmcnt(0)
	v_readfirstlane_b32 s10, v4
	v_readfirstlane_b32 s11, v5
	s_and_b64 s[10:11], s[10:11], s[4:5]
	s_mul_i32 s11, s11, 24
	s_mul_hi_u32 s12, s10, 24
	s_mul_i32 s10, s10, 24
	s_add_i32 s11, s12, s11
	v_lshl_add_u64 v[6:7], v[2:3], 0, s[10:11]
	global_store_dwordx2 v[6:7], v[16:17], off
	buffer_wbl2 sc0 sc1
	s_waitcnt vmcnt(0)
	global_atomic_cmpswap_x2 v[4:5], v8, v[14:17], s[2:3] offset:32 sc0 sc1
	s_waitcnt vmcnt(0)
	v_cmp_ne_u64_e32 vcc, v[4:5], v[16:17]
	s_and_saveexec_b64 s[10:11], vcc
	s_cbranch_execz .LBB3_124
; %bb.122:
	s_mov_b64 s[12:13], 0
.LBB3_123:                              ; =>This Inner Loop Header: Depth=1
	s_sleep 1
	global_store_dwordx2 v[6:7], v[4:5], off
	v_mov_b32_e32 v2, s4
	v_mov_b32_e32 v3, s5
	buffer_wbl2 sc0 sc1
	s_waitcnt vmcnt(0)
	global_atomic_cmpswap_x2 v[2:3], v8, v[2:5], s[2:3] offset:32 sc0 sc1
	s_waitcnt vmcnt(0)
	v_cmp_eq_u64_e32 vcc, v[2:3], v[4:5]
	s_or_b64 s[12:13], vcc, s[12:13]
	v_mov_b64_e32 v[4:5], v[2:3]
	s_andn2_b64 exec, exec, s[12:13]
	s_cbranch_execnz .LBB3_123
.LBB3_124:
	s_or_b64 exec, exec, s[10:11]
	v_mov_b32_e32 v5, 0
	global_load_dwordx2 v[2:3], v5, s[2:3] offset:16
	s_mov_b64 s[10:11], exec
	v_mbcnt_lo_u32_b32 v4, s10, 0
	v_mbcnt_hi_u32_b32 v4, s11, v4
	v_cmp_eq_u32_e32 vcc, 0, v4
	s_and_saveexec_b64 s[12:13], vcc
	s_cbranch_execz .LBB3_126
; %bb.125:
	s_bcnt1_i32_b64 s10, s[10:11]
	v_mov_b32_e32 v4, s10
	buffer_wbl2 sc0 sc1
	s_waitcnt vmcnt(0)
	global_atomic_add_x2 v[2:3], v[4:5], off offset:8 sc1
.LBB3_126:
	s_or_b64 exec, exec, s[12:13]
	s_waitcnt vmcnt(0)
	global_load_dwordx2 v[4:5], v[2:3], off offset:16
	s_waitcnt vmcnt(0)
	v_cmp_eq_u64_e32 vcc, 0, v[4:5]
	s_cbranch_vccnz .LBB3_128
; %bb.127:
	global_load_dword v2, v[2:3], off offset:24
	v_mov_b32_e32 v3, 0
	s_waitcnt vmcnt(0)
	v_readfirstlane_b32 s10, v2
	s_and_b32 m0, s10, 0xffffff
	buffer_wbl2 sc0 sc1
	global_store_dwordx2 v[4:5], v[2:3], off sc0 sc1
	s_sendmsg sendmsg(MSG_INTERRUPT)
.LBB3_128:
	s_or_b64 exec, exec, s[6:7]
	v_lshl_add_u64 v[2:3], v[12:13], 0, v[28:29]
	s_branch .LBB3_132
.LBB3_129:                              ;   in Loop: Header=BB3_132 Depth=1
	s_or_b64 exec, exec, s[6:7]
	v_readfirstlane_b32 s6, v4
	s_cmp_eq_u32 s6, 0
	s_cbranch_scc1 .LBB3_131
; %bb.130:                              ;   in Loop: Header=BB3_132 Depth=1
	s_sleep 1
	s_cbranch_execnz .LBB3_132
	s_branch .LBB3_134
.LBB3_131:
	s_branch .LBB3_134
.LBB3_132:                              ; =>This Inner Loop Header: Depth=1
	v_mov_b32_e32 v4, 1
	s_and_saveexec_b64 s[6:7], s[0:1]
	s_cbranch_execz .LBB3_129
; %bb.133:                              ;   in Loop: Header=BB3_132 Depth=1
	global_load_dword v4, v[10:11], off offset:20 sc0 sc1
	s_waitcnt vmcnt(0)
	buffer_inv sc0 sc1
	v_and_b32_e32 v4, 1, v4
	s_branch .LBB3_129
.LBB3_134:
	global_load_dwordx2 v[2:3], v[2:3], off
	s_and_saveexec_b64 s[6:7], s[0:1]
	s_cbranch_execz .LBB3_137
; %bb.135:
	v_mov_b32_e32 v10, 0
	global_load_dwordx2 v[4:5], v10, s[2:3] offset:40
	global_load_dwordx2 v[14:15], v10, s[2:3] offset:24 sc0 sc1
	global_load_dwordx2 v[6:7], v10, s[2:3]
	s_waitcnt vmcnt(2)
	v_readfirstlane_b32 s10, v4
	v_readfirstlane_b32 s11, v5
	s_add_u32 s12, s10, 1
	s_addc_u32 s13, s11, 0
	s_add_u32 s0, s12, s4
	s_addc_u32 s1, s13, s5
	s_cmp_eq_u64 s[0:1], 0
	s_cselect_b32 s1, s13, s1
	s_cselect_b32 s0, s12, s0
	s_and_b64 s[4:5], s[0:1], s[10:11]
	s_mul_i32 s5, s5, 24
	s_mul_hi_u32 s10, s4, 24
	s_mul_i32 s4, s4, 24
	s_add_i32 s5, s10, s5
	s_waitcnt vmcnt(0)
	v_lshl_add_u64 v[8:9], v[6:7], 0, s[4:5]
	v_mov_b32_e32 v12, s0
	global_store_dwordx2 v[8:9], v[14:15], off
	v_mov_b32_e32 v13, s1
	buffer_wbl2 sc0 sc1
	s_waitcnt vmcnt(0)
	global_atomic_cmpswap_x2 v[6:7], v10, v[12:15], s[2:3] offset:24 sc0 sc1
	s_mov_b64 s[4:5], 0
	s_waitcnt vmcnt(0)
	v_cmp_ne_u64_e32 vcc, v[6:7], v[14:15]
	s_and_b64 exec, exec, vcc
	s_cbranch_execz .LBB3_137
.LBB3_136:                              ; =>This Inner Loop Header: Depth=1
	s_sleep 1
	global_store_dwordx2 v[8:9], v[6:7], off
	v_mov_b32_e32 v4, s0
	v_mov_b32_e32 v5, s1
	buffer_wbl2 sc0 sc1
	s_waitcnt vmcnt(0)
	global_atomic_cmpswap_x2 v[4:5], v10, v[4:7], s[2:3] offset:24 sc0 sc1
	s_waitcnt vmcnt(0)
	v_cmp_eq_u64_e32 vcc, v[4:5], v[6:7]
	s_or_b64 s[4:5], vcc, s[4:5]
	v_mov_b64_e32 v[6:7], v[4:5]
	s_andn2_b64 exec, exec, s[4:5]
	s_cbranch_execnz .LBB3_136
.LBB3_137:
	s_or_b64 exec, exec, s[6:7]
.LBB3_138:
	s_getpc_b64 s[4:5]
	s_add_u32 s4, s4, .str.3@rel32@lo+4
	s_addc_u32 s5, s5, .str.3@rel32@hi+12
	s_cmp_lg_u64 s[4:5], 0
	s_cselect_b64 s[0:1], -1, 0
	s_cmp_eq_u64 s[4:5], 0
	s_mov_b64 s[4:5], 0
	s_cbranch_scc1 .LBB3_142
; %bb.139:
	v_mov_b32_e32 v4, 0
	s_getpc_b64 s[4:5]
	s_add_u32 s4, s4, .str.3@rel32@lo+3
	s_addc_u32 s5, s5, .str.3@rel32@hi+11
.LBB3_140:                              ; =>This Inner Loop Header: Depth=1
	global_load_ubyte v5, v4, s[4:5] offset:1
	s_add_u32 s6, s4, 1
	s_addc_u32 s7, s5, 0
	s_mov_b64 s[4:5], s[6:7]
	s_waitcnt vmcnt(0)
	v_cmp_ne_u32_e32 vcc, 0, v5
	s_cbranch_vccnz .LBB3_140
; %bb.141:
	s_getpc_b64 s[4:5]
	s_add_u32 s4, s4, .str.3@rel32@lo+4
	s_addc_u32 s5, s5, .str.3@rel32@hi+12
	s_sub_u32 s4, s6, s4
	s_subb_u32 s5, s7, s5
	s_add_u32 s4, s4, 1
	s_addc_u32 s5, s5, 0
.LBB3_142:
	s_and_b64 vcc, exec, s[0:1]
	s_cbranch_vccz .LBB3_227
; %bb.143:
	s_waitcnt vmcnt(0)
	v_and_b32_e32 v30, 2, v2
	v_mov_b32_e32 v33, 0
	v_and_b32_e32 v4, -3, v2
	v_mov_b32_e32 v5, v3
	v_mov_b32_e32 v10, 2
	;; [unrolled: 1-line block ×3, first 2 shown]
	s_getpc_b64 s[6:7]
	s_add_u32 s6, s6, .str.3@rel32@lo+4
	s_addc_u32 s7, s7, .str.3@rel32@hi+12
	s_branch .LBB3_145
.LBB3_144:                              ;   in Loop: Header=BB3_145 Depth=1
	s_or_b64 exec, exec, s[14:15]
	s_sub_u32 s4, s4, s10
	s_subb_u32 s5, s5, s11
	s_add_u32 s6, s6, s10
	s_addc_u32 s7, s7, s11
	s_cmp_lg_u64 s[4:5], 0
	s_cbranch_scc0 .LBB3_228
.LBB3_145:                              ; =>This Loop Header: Depth=1
                                        ;     Child Loop BB3_148 Depth 2
                                        ;     Child Loop BB3_156 Depth 2
	;; [unrolled: 1-line block ×11, first 2 shown]
	v_cmp_lt_u64_e64 s[0:1], s[4:5], 56
	s_and_b64 s[0:1], s[0:1], exec
	s_cselect_b32 s11, s5, 0
	s_cselect_b32 s10, s4, 56
	v_cmp_gt_u64_e64 s[12:13], s[4:5], 7
	s_add_u32 s0, s6, 8
	s_addc_u32 s1, s7, 0
	s_and_b64 vcc, exec, s[12:13]
	s_cbranch_vccnz .LBB3_149
; %bb.146:                              ;   in Loop: Header=BB3_145 Depth=1
	s_cmp_eq_u64 s[4:5], 0
	s_cbranch_scc1 .LBB3_150
; %bb.147:                              ;   in Loop: Header=BB3_145 Depth=1
	s_lshl_b64 s[0:1], s[10:11], 3
	s_mov_b64 s[12:13], 0
	v_mov_b64_e32 v[6:7], 0
	s_mov_b64 s[14:15], s[6:7]
.LBB3_148:                              ;   Parent Loop BB3_145 Depth=1
                                        ; =>  This Inner Loop Header: Depth=2
	global_load_ubyte v8, v33, s[14:15]
	s_waitcnt vmcnt(0)
	v_and_b32_e32 v32, 0xffff, v8
	v_lshlrev_b64 v[8:9], s12, v[32:33]
	s_add_u32 s12, s12, 8
	s_addc_u32 s13, s13, 0
	s_add_u32 s14, s14, 1
	s_addc_u32 s15, s15, 0
	v_or_b32_e32 v6, v8, v6
	s_cmp_lg_u32 s0, s12
	v_or_b32_e32 v7, v9, v7
	s_cbranch_scc1 .LBB3_148
	s_branch .LBB3_151
.LBB3_149:                              ;   in Loop: Header=BB3_145 Depth=1
	s_mov_b32 s16, 0
	s_branch .LBB3_152
.LBB3_150:                              ;   in Loop: Header=BB3_145 Depth=1
	v_mov_b64_e32 v[6:7], 0
.LBB3_151:                              ;   in Loop: Header=BB3_145 Depth=1
	s_mov_b64 s[0:1], s[6:7]
	s_mov_b32 s16, 0
	s_cbranch_execnz .LBB3_153
.LBB3_152:                              ;   in Loop: Header=BB3_145 Depth=1
	global_load_dwordx2 v[6:7], v33, s[6:7]
	s_add_i32 s16, s10, -8
.LBB3_153:                              ;   in Loop: Header=BB3_145 Depth=1
	s_add_u32 s12, s0, 8
	s_addc_u32 s13, s1, 0
	s_cmp_gt_u32 s16, 7
	s_cbranch_scc1 .LBB3_157
; %bb.154:                              ;   in Loop: Header=BB3_145 Depth=1
	s_cmp_eq_u32 s16, 0
	s_cbranch_scc1 .LBB3_158
; %bb.155:                              ;   in Loop: Header=BB3_145 Depth=1
	s_mov_b64 s[12:13], 0
	v_mov_b64_e32 v[12:13], 0
	s_mov_b64 s[14:15], 0
.LBB3_156:                              ;   Parent Loop BB3_145 Depth=1
                                        ; =>  This Inner Loop Header: Depth=2
	s_add_u32 s18, s0, s14
	s_addc_u32 s19, s1, s15
	global_load_ubyte v8, v33, s[18:19]
	s_add_u32 s14, s14, 1
	s_addc_u32 s15, s15, 0
	s_waitcnt vmcnt(0)
	v_and_b32_e32 v32, 0xffff, v8
	v_lshlrev_b64 v[8:9], s12, v[32:33]
	s_add_u32 s12, s12, 8
	s_addc_u32 s13, s13, 0
	v_or_b32_e32 v12, v8, v12
	s_cmp_lg_u32 s16, s14
	v_or_b32_e32 v13, v9, v13
	s_cbranch_scc1 .LBB3_156
	s_branch .LBB3_159
.LBB3_157:                              ;   in Loop: Header=BB3_145 Depth=1
                                        ; implicit-def: $vgpr12_vgpr13
	s_mov_b32 s17, 0
	s_branch .LBB3_160
.LBB3_158:                              ;   in Loop: Header=BB3_145 Depth=1
	v_mov_b64_e32 v[12:13], 0
.LBB3_159:                              ;   in Loop: Header=BB3_145 Depth=1
	s_mov_b64 s[12:13], s[0:1]
	s_mov_b32 s17, 0
	s_cbranch_execnz .LBB3_161
.LBB3_160:                              ;   in Loop: Header=BB3_145 Depth=1
	global_load_dwordx2 v[12:13], v33, s[0:1]
	s_add_i32 s17, s16, -8
.LBB3_161:                              ;   in Loop: Header=BB3_145 Depth=1
	s_add_u32 s0, s12, 8
	s_addc_u32 s1, s13, 0
	s_cmp_gt_u32 s17, 7
	s_cbranch_scc1 .LBB3_165
; %bb.162:                              ;   in Loop: Header=BB3_145 Depth=1
	s_cmp_eq_u32 s17, 0
	s_cbranch_scc1 .LBB3_166
; %bb.163:                              ;   in Loop: Header=BB3_145 Depth=1
	s_mov_b64 s[0:1], 0
	v_mov_b64_e32 v[14:15], 0
	s_mov_b64 s[14:15], 0
.LBB3_164:                              ;   Parent Loop BB3_145 Depth=1
                                        ; =>  This Inner Loop Header: Depth=2
	s_add_u32 s18, s12, s14
	s_addc_u32 s19, s13, s15
	global_load_ubyte v8, v33, s[18:19]
	s_add_u32 s14, s14, 1
	s_addc_u32 s15, s15, 0
	s_waitcnt vmcnt(0)
	v_and_b32_e32 v32, 0xffff, v8
	v_lshlrev_b64 v[8:9], s0, v[32:33]
	s_add_u32 s0, s0, 8
	s_addc_u32 s1, s1, 0
	v_or_b32_e32 v14, v8, v14
	s_cmp_lg_u32 s17, s14
	v_or_b32_e32 v15, v9, v15
	s_cbranch_scc1 .LBB3_164
	s_branch .LBB3_167
.LBB3_165:                              ;   in Loop: Header=BB3_145 Depth=1
	s_mov_b32 s16, 0
	s_branch .LBB3_168
.LBB3_166:                              ;   in Loop: Header=BB3_145 Depth=1
	v_mov_b64_e32 v[14:15], 0
.LBB3_167:                              ;   in Loop: Header=BB3_145 Depth=1
	s_mov_b64 s[0:1], s[12:13]
	s_mov_b32 s16, 0
	s_cbranch_execnz .LBB3_169
.LBB3_168:                              ;   in Loop: Header=BB3_145 Depth=1
	global_load_dwordx2 v[14:15], v33, s[12:13]
	s_add_i32 s16, s17, -8
.LBB3_169:                              ;   in Loop: Header=BB3_145 Depth=1
	s_add_u32 s12, s0, 8
	s_addc_u32 s13, s1, 0
	s_cmp_gt_u32 s16, 7
	s_cbranch_scc1 .LBB3_173
; %bb.170:                              ;   in Loop: Header=BB3_145 Depth=1
	s_cmp_eq_u32 s16, 0
	s_cbranch_scc1 .LBB3_174
; %bb.171:                              ;   in Loop: Header=BB3_145 Depth=1
	s_mov_b64 s[12:13], 0
	v_mov_b64_e32 v[16:17], 0
	s_mov_b64 s[14:15], 0
.LBB3_172:                              ;   Parent Loop BB3_145 Depth=1
                                        ; =>  This Inner Loop Header: Depth=2
	s_add_u32 s18, s0, s14
	s_addc_u32 s19, s1, s15
	global_load_ubyte v8, v33, s[18:19]
	s_add_u32 s14, s14, 1
	s_addc_u32 s15, s15, 0
	s_waitcnt vmcnt(0)
	v_and_b32_e32 v32, 0xffff, v8
	v_lshlrev_b64 v[8:9], s12, v[32:33]
	s_add_u32 s12, s12, 8
	s_addc_u32 s13, s13, 0
	v_or_b32_e32 v16, v8, v16
	s_cmp_lg_u32 s16, s14
	v_or_b32_e32 v17, v9, v17
	s_cbranch_scc1 .LBB3_172
	s_branch .LBB3_175
.LBB3_173:                              ;   in Loop: Header=BB3_145 Depth=1
                                        ; implicit-def: $vgpr16_vgpr17
	s_mov_b32 s17, 0
	s_branch .LBB3_176
.LBB3_174:                              ;   in Loop: Header=BB3_145 Depth=1
	v_mov_b64_e32 v[16:17], 0
.LBB3_175:                              ;   in Loop: Header=BB3_145 Depth=1
	s_mov_b64 s[12:13], s[0:1]
	s_mov_b32 s17, 0
	s_cbranch_execnz .LBB3_177
.LBB3_176:                              ;   in Loop: Header=BB3_145 Depth=1
	global_load_dwordx2 v[16:17], v33, s[0:1]
	s_add_i32 s17, s16, -8
.LBB3_177:                              ;   in Loop: Header=BB3_145 Depth=1
	s_add_u32 s0, s12, 8
	s_addc_u32 s1, s13, 0
	s_cmp_gt_u32 s17, 7
	s_cbranch_scc1 .LBB3_181
; %bb.178:                              ;   in Loop: Header=BB3_145 Depth=1
	s_cmp_eq_u32 s17, 0
	s_cbranch_scc1 .LBB3_182
; %bb.179:                              ;   in Loop: Header=BB3_145 Depth=1
	s_mov_b64 s[0:1], 0
	v_mov_b64_e32 v[18:19], 0
	s_mov_b64 s[14:15], 0
.LBB3_180:                              ;   Parent Loop BB3_145 Depth=1
                                        ; =>  This Inner Loop Header: Depth=2
	s_add_u32 s18, s12, s14
	s_addc_u32 s19, s13, s15
	global_load_ubyte v8, v33, s[18:19]
	s_add_u32 s14, s14, 1
	s_addc_u32 s15, s15, 0
	s_waitcnt vmcnt(0)
	v_and_b32_e32 v32, 0xffff, v8
	v_lshlrev_b64 v[8:9], s0, v[32:33]
	s_add_u32 s0, s0, 8
	s_addc_u32 s1, s1, 0
	v_or_b32_e32 v18, v8, v18
	s_cmp_lg_u32 s17, s14
	v_or_b32_e32 v19, v9, v19
	s_cbranch_scc1 .LBB3_180
	s_branch .LBB3_183
.LBB3_181:                              ;   in Loop: Header=BB3_145 Depth=1
	s_mov_b32 s16, 0
	s_branch .LBB3_184
.LBB3_182:                              ;   in Loop: Header=BB3_145 Depth=1
	v_mov_b64_e32 v[18:19], 0
.LBB3_183:                              ;   in Loop: Header=BB3_145 Depth=1
	s_mov_b64 s[0:1], s[12:13]
	s_mov_b32 s16, 0
	s_cbranch_execnz .LBB3_185
.LBB3_184:                              ;   in Loop: Header=BB3_145 Depth=1
	global_load_dwordx2 v[18:19], v33, s[12:13]
	s_add_i32 s16, s17, -8
.LBB3_185:                              ;   in Loop: Header=BB3_145 Depth=1
	s_add_u32 s12, s0, 8
	s_addc_u32 s13, s1, 0
	s_cmp_gt_u32 s16, 7
	s_cbranch_scc1 .LBB3_189
; %bb.186:                              ;   in Loop: Header=BB3_145 Depth=1
	s_cmp_eq_u32 s16, 0
	s_cbranch_scc1 .LBB3_190
; %bb.187:                              ;   in Loop: Header=BB3_145 Depth=1
	s_mov_b64 s[12:13], 0
	v_mov_b64_e32 v[20:21], 0
	s_mov_b64 s[14:15], 0
.LBB3_188:                              ;   Parent Loop BB3_145 Depth=1
                                        ; =>  This Inner Loop Header: Depth=2
	s_add_u32 s18, s0, s14
	s_addc_u32 s19, s1, s15
	global_load_ubyte v8, v33, s[18:19]
	s_add_u32 s14, s14, 1
	s_addc_u32 s15, s15, 0
	s_waitcnt vmcnt(0)
	v_and_b32_e32 v32, 0xffff, v8
	v_lshlrev_b64 v[8:9], s12, v[32:33]
	s_add_u32 s12, s12, 8
	s_addc_u32 s13, s13, 0
	v_or_b32_e32 v20, v8, v20
	s_cmp_lg_u32 s16, s14
	v_or_b32_e32 v21, v9, v21
	s_cbranch_scc1 .LBB3_188
	s_branch .LBB3_191
.LBB3_189:                              ;   in Loop: Header=BB3_145 Depth=1
                                        ; implicit-def: $vgpr20_vgpr21
	s_mov_b32 s17, 0
	s_branch .LBB3_192
.LBB3_190:                              ;   in Loop: Header=BB3_145 Depth=1
	v_mov_b64_e32 v[20:21], 0
.LBB3_191:                              ;   in Loop: Header=BB3_145 Depth=1
	s_mov_b64 s[12:13], s[0:1]
	s_mov_b32 s17, 0
	s_cbranch_execnz .LBB3_193
.LBB3_192:                              ;   in Loop: Header=BB3_145 Depth=1
	global_load_dwordx2 v[20:21], v33, s[0:1]
	s_add_i32 s17, s16, -8
.LBB3_193:                              ;   in Loop: Header=BB3_145 Depth=1
	s_cmp_gt_u32 s17, 7
	s_cbranch_scc1 .LBB3_197
; %bb.194:                              ;   in Loop: Header=BB3_145 Depth=1
	s_cmp_eq_u32 s17, 0
	s_cbranch_scc1 .LBB3_198
; %bb.195:                              ;   in Loop: Header=BB3_145 Depth=1
	s_mov_b64 s[0:1], 0
	v_mov_b64_e32 v[22:23], 0
	s_mov_b64 s[14:15], s[12:13]
.LBB3_196:                              ;   Parent Loop BB3_145 Depth=1
                                        ; =>  This Inner Loop Header: Depth=2
	global_load_ubyte v8, v33, s[14:15]
	s_add_i32 s17, s17, -1
	s_waitcnt vmcnt(0)
	v_and_b32_e32 v32, 0xffff, v8
	v_lshlrev_b64 v[8:9], s0, v[32:33]
	s_add_u32 s0, s0, 8
	s_addc_u32 s1, s1, 0
	s_add_u32 s14, s14, 1
	s_addc_u32 s15, s15, 0
	v_or_b32_e32 v22, v8, v22
	s_cmp_lg_u32 s17, 0
	v_or_b32_e32 v23, v9, v23
	s_cbranch_scc1 .LBB3_196
	s_branch .LBB3_199
.LBB3_197:                              ;   in Loop: Header=BB3_145 Depth=1
	s_branch .LBB3_200
.LBB3_198:                              ;   in Loop: Header=BB3_145 Depth=1
	v_mov_b64_e32 v[22:23], 0
.LBB3_199:                              ;   in Loop: Header=BB3_145 Depth=1
	s_cbranch_execnz .LBB3_201
.LBB3_200:                              ;   in Loop: Header=BB3_145 Depth=1
	global_load_dwordx2 v[22:23], v33, s[12:13]
.LBB3_201:                              ;   in Loop: Header=BB3_145 Depth=1
	v_readfirstlane_b32 s0, v1
	v_mov_b64_e32 v[8:9], 0
	s_nop 0
	v_cmp_eq_u32_e64 s[0:1], s0, v1
	s_and_saveexec_b64 s[12:13], s[0:1]
	s_cbranch_execz .LBB3_207
; %bb.202:                              ;   in Loop: Header=BB3_145 Depth=1
	global_load_dwordx2 v[26:27], v33, s[2:3] offset:24 sc0 sc1
	s_waitcnt vmcnt(0)
	buffer_inv sc0 sc1
	global_load_dwordx2 v[8:9], v33, s[2:3] offset:40
	global_load_dwordx2 v[24:25], v33, s[2:3]
	s_waitcnt vmcnt(1)
	v_and_b32_e32 v8, v8, v26
	v_and_b32_e32 v9, v9, v27
	v_mul_lo_u32 v9, v9, 24
	v_mul_hi_u32 v29, v8, 24
	v_add_u32_e32 v9, v29, v9
	v_mul_lo_u32 v8, v8, 24
	s_waitcnt vmcnt(0)
	v_lshl_add_u64 v[8:9], v[24:25], 0, v[8:9]
	global_load_dwordx2 v[24:25], v[8:9], off sc0 sc1
	s_waitcnt vmcnt(0)
	global_atomic_cmpswap_x2 v[8:9], v33, v[24:27], s[2:3] offset:24 sc0 sc1
	s_waitcnt vmcnt(0)
	buffer_inv sc0 sc1
	v_cmp_ne_u64_e32 vcc, v[8:9], v[26:27]
	s_and_saveexec_b64 s[14:15], vcc
	s_cbranch_execz .LBB3_206
; %bb.203:                              ;   in Loop: Header=BB3_145 Depth=1
	s_mov_b64 s[16:17], 0
.LBB3_204:                              ;   Parent Loop BB3_145 Depth=1
                                        ; =>  This Inner Loop Header: Depth=2
	s_sleep 1
	global_load_dwordx2 v[24:25], v33, s[2:3] offset:40
	global_load_dwordx2 v[34:35], v33, s[2:3]
	v_mov_b64_e32 v[26:27], v[8:9]
	s_waitcnt vmcnt(1)
	v_and_b32_e32 v8, v24, v26
	s_waitcnt vmcnt(0)
	v_mad_u64_u32 v[8:9], s[18:19], v8, 24, v[34:35]
	v_and_b32_e32 v25, v25, v27
	v_mov_b32_e32 v24, v9
	v_mad_u64_u32 v[24:25], s[18:19], v25, 24, v[24:25]
	v_mov_b32_e32 v9, v24
	global_load_dwordx2 v[24:25], v[8:9], off sc0 sc1
	s_waitcnt vmcnt(0)
	global_atomic_cmpswap_x2 v[8:9], v33, v[24:27], s[2:3] offset:24 sc0 sc1
	s_waitcnt vmcnt(0)
	buffer_inv sc0 sc1
	v_cmp_eq_u64_e32 vcc, v[8:9], v[26:27]
	s_or_b64 s[16:17], vcc, s[16:17]
	s_andn2_b64 exec, exec, s[16:17]
	s_cbranch_execnz .LBB3_204
; %bb.205:                              ;   in Loop: Header=BB3_145 Depth=1
	s_or_b64 exec, exec, s[16:17]
.LBB3_206:                              ;   in Loop: Header=BB3_145 Depth=1
	s_or_b64 exec, exec, s[14:15]
.LBB3_207:                              ;   in Loop: Header=BB3_145 Depth=1
	s_or_b64 exec, exec, s[12:13]
	global_load_dwordx2 v[34:35], v33, s[2:3] offset:40
	global_load_dwordx4 v[24:27], v33, s[2:3]
	v_readfirstlane_b32 s13, v9
	v_readfirstlane_b32 s12, v8
	s_mov_b64 s[14:15], exec
	s_waitcnt vmcnt(1)
	v_readfirstlane_b32 s16, v34
	v_readfirstlane_b32 s17, v35
	s_and_b64 s[16:17], s[16:17], s[12:13]
	s_mul_i32 s18, s17, 24
	s_mul_hi_u32 s19, s16, 24
	s_add_i32 s19, s19, s18
	s_mul_i32 s18, s16, 24
	s_waitcnt vmcnt(0)
	v_lshl_add_u64 v[34:35], v[24:25], 0, s[18:19]
	s_and_saveexec_b64 s[18:19], s[0:1]
	s_cbranch_execz .LBB3_209
; %bb.208:                              ;   in Loop: Header=BB3_145 Depth=1
	v_mov_b64_e32 v[8:9], s[14:15]
	global_store_dwordx4 v[34:35], v[8:11], off offset:8
.LBB3_209:                              ;   in Loop: Header=BB3_145 Depth=1
	s_or_b64 exec, exec, s[18:19]
	s_lshl_b64 s[14:15], s[16:17], 12
	v_lshl_add_u64 v[8:9], v[26:27], 0, s[14:15]
	v_cmp_lt_u64_e64 vcc, s[4:5], 57
	s_lshl_b32 s14, s10, 2
	s_add_i32 s14, s14, 28
	v_cndmask_b32_e32 v26, 0, v30, vcc
	v_and_b32_e32 v4, 0xffffff1f, v4
	s_and_b32 s14, s14, 0x1e0
	v_or_b32_e32 v4, v4, v26
	v_or_b32_e32 v4, s14, v4
	v_readfirstlane_b32 s14, v8
	v_readfirstlane_b32 s15, v9
	s_nop 4
	global_store_dwordx4 v28, v[4:7], s[14:15]
	global_store_dwordx4 v28, v[12:15], s[14:15] offset:16
	global_store_dwordx4 v28, v[16:19], s[14:15] offset:32
	;; [unrolled: 1-line block ×3, first 2 shown]
	s_and_saveexec_b64 s[14:15], s[0:1]
	s_cbranch_execz .LBB3_217
; %bb.210:                              ;   in Loop: Header=BB3_145 Depth=1
	global_load_dwordx2 v[16:17], v33, s[2:3] offset:32 sc0 sc1
	global_load_dwordx2 v[4:5], v33, s[2:3] offset:40
	v_mov_b32_e32 v14, s12
	v_mov_b32_e32 v15, s13
	s_waitcnt vmcnt(0)
	v_readfirstlane_b32 s16, v4
	v_readfirstlane_b32 s17, v5
	s_and_b64 s[16:17], s[16:17], s[12:13]
	s_mul_i32 s17, s17, 24
	s_mul_hi_u32 s18, s16, 24
	s_mul_i32 s16, s16, 24
	s_add_i32 s17, s18, s17
	v_lshl_add_u64 v[12:13], v[24:25], 0, s[16:17]
	global_store_dwordx2 v[12:13], v[16:17], off
	buffer_wbl2 sc0 sc1
	s_waitcnt vmcnt(0)
	global_atomic_cmpswap_x2 v[6:7], v33, v[14:17], s[2:3] offset:32 sc0 sc1
	s_waitcnt vmcnt(0)
	v_cmp_ne_u64_e32 vcc, v[6:7], v[16:17]
	s_and_saveexec_b64 s[16:17], vcc
	s_cbranch_execz .LBB3_213
; %bb.211:                              ;   in Loop: Header=BB3_145 Depth=1
	s_mov_b64 s[18:19], 0
.LBB3_212:                              ;   Parent Loop BB3_145 Depth=1
                                        ; =>  This Inner Loop Header: Depth=2
	s_sleep 1
	global_store_dwordx2 v[12:13], v[6:7], off
	v_mov_b32_e32 v4, s12
	v_mov_b32_e32 v5, s13
	buffer_wbl2 sc0 sc1
	s_waitcnt vmcnt(0)
	global_atomic_cmpswap_x2 v[4:5], v33, v[4:7], s[2:3] offset:32 sc0 sc1
	s_waitcnt vmcnt(0)
	v_cmp_eq_u64_e32 vcc, v[4:5], v[6:7]
	s_or_b64 s[18:19], vcc, s[18:19]
	v_mov_b64_e32 v[6:7], v[4:5]
	s_andn2_b64 exec, exec, s[18:19]
	s_cbranch_execnz .LBB3_212
.LBB3_213:                              ;   in Loop: Header=BB3_145 Depth=1
	s_or_b64 exec, exec, s[16:17]
	global_load_dwordx2 v[4:5], v33, s[2:3] offset:16
	s_mov_b64 s[18:19], exec
	v_mbcnt_lo_u32_b32 v6, s18, 0
	v_mbcnt_hi_u32_b32 v6, s19, v6
	v_cmp_eq_u32_e32 vcc, 0, v6
	s_and_saveexec_b64 s[16:17], vcc
	s_cbranch_execz .LBB3_215
; %bb.214:                              ;   in Loop: Header=BB3_145 Depth=1
	s_bcnt1_i32_b64 s18, s[18:19]
	v_mov_b32_e32 v32, s18
	buffer_wbl2 sc0 sc1
	s_waitcnt vmcnt(0)
	global_atomic_add_x2 v[4:5], v[32:33], off offset:8 sc1
.LBB3_215:                              ;   in Loop: Header=BB3_145 Depth=1
	s_or_b64 exec, exec, s[16:17]
	s_waitcnt vmcnt(0)
	global_load_dwordx2 v[6:7], v[4:5], off offset:16
	s_waitcnt vmcnt(0)
	v_cmp_eq_u64_e32 vcc, 0, v[6:7]
	s_cbranch_vccnz .LBB3_217
; %bb.216:                              ;   in Loop: Header=BB3_145 Depth=1
	global_load_dword v32, v[4:5], off offset:24
	s_waitcnt vmcnt(0)
	v_readfirstlane_b32 s16, v32
	s_and_b32 m0, s16, 0xffffff
	buffer_wbl2 sc0 sc1
	global_store_dwordx2 v[6:7], v[32:33], off sc0 sc1
	s_sendmsg sendmsg(MSG_INTERRUPT)
.LBB3_217:                              ;   in Loop: Header=BB3_145 Depth=1
	s_or_b64 exec, exec, s[14:15]
	v_mov_b32_e32 v29, v33
	v_lshl_add_u64 v[4:5], v[8:9], 0, v[28:29]
	s_branch .LBB3_221
.LBB3_218:                              ;   in Loop: Header=BB3_221 Depth=2
	s_or_b64 exec, exec, s[14:15]
	v_readfirstlane_b32 s14, v6
	s_cmp_eq_u32 s14, 0
	s_cbranch_scc1 .LBB3_220
; %bb.219:                              ;   in Loop: Header=BB3_221 Depth=2
	s_sleep 1
	s_cbranch_execnz .LBB3_221
	s_branch .LBB3_223
.LBB3_220:                              ;   in Loop: Header=BB3_145 Depth=1
	s_branch .LBB3_223
.LBB3_221:                              ;   Parent Loop BB3_145 Depth=1
                                        ; =>  This Inner Loop Header: Depth=2
	v_mov_b32_e32 v6, 1
	s_and_saveexec_b64 s[14:15], s[0:1]
	s_cbranch_execz .LBB3_218
; %bb.222:                              ;   in Loop: Header=BB3_221 Depth=2
	global_load_dword v6, v[34:35], off offset:20 sc0 sc1
	s_waitcnt vmcnt(0)
	buffer_inv sc0 sc1
	v_and_b32_e32 v6, 1, v6
	s_branch .LBB3_218
.LBB3_223:                              ;   in Loop: Header=BB3_145 Depth=1
	global_load_dwordx2 v[4:5], v[4:5], off
	s_and_saveexec_b64 s[14:15], s[0:1]
	s_cbranch_execz .LBB3_144
; %bb.224:                              ;   in Loop: Header=BB3_145 Depth=1
	global_load_dwordx2 v[6:7], v33, s[2:3] offset:40
	global_load_dwordx2 v[16:17], v33, s[2:3] offset:24 sc0 sc1
	global_load_dwordx2 v[8:9], v33, s[2:3]
	s_waitcnt vmcnt(2)
	v_readfirstlane_b32 s16, v6
	v_readfirstlane_b32 s17, v7
	s_add_u32 s18, s16, 1
	s_addc_u32 s19, s17, 0
	s_add_u32 s0, s18, s12
	s_addc_u32 s1, s19, s13
	s_cmp_eq_u64 s[0:1], 0
	s_cselect_b32 s1, s19, s1
	s_cselect_b32 s0, s18, s0
	s_and_b64 s[12:13], s[0:1], s[16:17]
	s_mul_i32 s13, s13, 24
	s_mul_hi_u32 s16, s12, 24
	s_mul_i32 s12, s12, 24
	s_add_i32 s13, s16, s13
	s_waitcnt vmcnt(0)
	v_lshl_add_u64 v[12:13], v[8:9], 0, s[12:13]
	v_mov_b32_e32 v14, s0
	global_store_dwordx2 v[12:13], v[16:17], off
	v_mov_b32_e32 v15, s1
	buffer_wbl2 sc0 sc1
	s_waitcnt vmcnt(0)
	global_atomic_cmpswap_x2 v[8:9], v33, v[14:17], s[2:3] offset:24 sc0 sc1
	s_waitcnt vmcnt(0)
	v_cmp_ne_u64_e32 vcc, v[8:9], v[16:17]
	s_and_b64 exec, exec, vcc
	s_cbranch_execz .LBB3_144
; %bb.225:                              ;   in Loop: Header=BB3_145 Depth=1
	s_mov_b64 s[12:13], 0
.LBB3_226:                              ;   Parent Loop BB3_145 Depth=1
                                        ; =>  This Inner Loop Header: Depth=2
	s_sleep 1
	global_store_dwordx2 v[12:13], v[8:9], off
	v_mov_b32_e32 v6, s0
	v_mov_b32_e32 v7, s1
	buffer_wbl2 sc0 sc1
	s_waitcnt vmcnt(0)
	global_atomic_cmpswap_x2 v[6:7], v33, v[6:9], s[2:3] offset:24 sc0 sc1
	s_waitcnt vmcnt(0)
	v_cmp_eq_u64_e32 vcc, v[6:7], v[8:9]
	s_or_b64 s[12:13], vcc, s[12:13]
	v_mov_b64_e32 v[8:9], v[6:7]
	s_andn2_b64 exec, exec, s[12:13]
	s_cbranch_execnz .LBB3_226
	s_branch .LBB3_144
.LBB3_227:
                                        ; implicit-def: $vgpr4_vgpr5
	s_cbranch_execnz .LBB3_229
	s_branch .LBB3_255
.LBB3_228:
	s_branch .LBB3_255
.LBB3_229:
	v_readfirstlane_b32 s0, v1
	s_waitcnt vmcnt(0)
	v_mov_b64_e32 v[4:5], 0
	v_cmp_eq_u32_e64 s[0:1], s0, v1
	s_and_saveexec_b64 s[4:5], s[0:1]
	s_cbranch_execz .LBB3_235
; %bb.230:
	v_mov_b32_e32 v6, 0
	global_load_dwordx2 v[10:11], v6, s[2:3] offset:24 sc0 sc1
	s_waitcnt vmcnt(0)
	buffer_inv sc0 sc1
	global_load_dwordx2 v[4:5], v6, s[2:3] offset:40
	global_load_dwordx2 v[8:9], v6, s[2:3]
	s_waitcnt vmcnt(1)
	v_and_b32_e32 v4, v4, v10
	v_and_b32_e32 v5, v5, v11
	v_mul_lo_u32 v5, v5, 24
	v_mul_hi_u32 v7, v4, 24
	v_add_u32_e32 v5, v7, v5
	v_mul_lo_u32 v4, v4, 24
	s_waitcnt vmcnt(0)
	v_lshl_add_u64 v[4:5], v[8:9], 0, v[4:5]
	global_load_dwordx2 v[8:9], v[4:5], off sc0 sc1
	s_waitcnt vmcnt(0)
	global_atomic_cmpswap_x2 v[4:5], v6, v[8:11], s[2:3] offset:24 sc0 sc1
	s_waitcnt vmcnt(0)
	buffer_inv sc0 sc1
	v_cmp_ne_u64_e32 vcc, v[4:5], v[10:11]
	s_and_saveexec_b64 s[6:7], vcc
	s_cbranch_execz .LBB3_234
; %bb.231:
	s_mov_b64 s[10:11], 0
.LBB3_232:                              ; =>This Inner Loop Header: Depth=1
	s_sleep 1
	global_load_dwordx2 v[8:9], v6, s[2:3] offset:40
	global_load_dwordx2 v[12:13], v6, s[2:3]
	v_mov_b64_e32 v[10:11], v[4:5]
	s_waitcnt vmcnt(1)
	v_and_b32_e32 v4, v8, v10
	s_waitcnt vmcnt(0)
	v_mad_u64_u32 v[4:5], s[12:13], v4, 24, v[12:13]
	v_and_b32_e32 v7, v9, v11
	v_mov_b32_e32 v8, v5
	v_mad_u64_u32 v[8:9], s[12:13], v7, 24, v[8:9]
	v_mov_b32_e32 v5, v8
	global_load_dwordx2 v[8:9], v[4:5], off sc0 sc1
	s_waitcnt vmcnt(0)
	global_atomic_cmpswap_x2 v[4:5], v6, v[8:11], s[2:3] offset:24 sc0 sc1
	s_waitcnt vmcnt(0)
	buffer_inv sc0 sc1
	v_cmp_eq_u64_e32 vcc, v[4:5], v[10:11]
	s_or_b64 s[10:11], vcc, s[10:11]
	s_andn2_b64 exec, exec, s[10:11]
	s_cbranch_execnz .LBB3_232
; %bb.233:
	s_or_b64 exec, exec, s[10:11]
.LBB3_234:
	s_or_b64 exec, exec, s[6:7]
.LBB3_235:
	s_or_b64 exec, exec, s[4:5]
	v_mov_b32_e32 v29, 0
	global_load_dwordx2 v[10:11], v29, s[2:3] offset:40
	global_load_dwordx4 v[6:9], v29, s[2:3]
	v_readfirstlane_b32 s5, v5
	v_readfirstlane_b32 s4, v4
	s_mov_b64 s[6:7], exec
	s_waitcnt vmcnt(1)
	v_readfirstlane_b32 s10, v10
	v_readfirstlane_b32 s11, v11
	s_and_b64 s[10:11], s[10:11], s[4:5]
	s_mul_i32 s12, s11, 24
	s_mul_hi_u32 s13, s10, 24
	s_add_i32 s13, s13, s12
	s_mul_i32 s12, s10, 24
	s_waitcnt vmcnt(0)
	v_lshl_add_u64 v[10:11], v[6:7], 0, s[12:13]
	s_and_saveexec_b64 s[12:13], s[0:1]
	s_cbranch_execz .LBB3_237
; %bb.236:
	v_mov_b64_e32 v[12:13], s[6:7]
	v_mov_b32_e32 v14, 2
	v_mov_b32_e32 v15, 1
	global_store_dwordx4 v[10:11], v[12:15], off offset:8
.LBB3_237:
	s_or_b64 exec, exec, s[12:13]
	s_lshl_b64 s[6:7], s[10:11], 12
	v_lshl_add_u64 v[8:9], v[8:9], 0, s[6:7]
	s_movk_i32 s6, 0xff1f
	s_mov_b32 s12, 0
	v_and_or_b32 v2, v2, s6, 32
	v_mov_b32_e32 v4, v29
	v_mov_b32_e32 v5, v29
	v_readfirstlane_b32 s6, v8
	v_readfirstlane_b32 s7, v9
	s_mov_b32 s13, s12
	s_mov_b32 s14, s12
	;; [unrolled: 1-line block ×3, first 2 shown]
	s_nop 1
	global_store_dwordx4 v28, v[2:5], s[6:7]
	s_nop 1
	v_mov_b64_e32 v[2:3], s[12:13]
	v_mov_b64_e32 v[4:5], s[14:15]
	global_store_dwordx4 v28, v[2:5], s[6:7] offset:16
	global_store_dwordx4 v28, v[2:5], s[6:7] offset:32
	;; [unrolled: 1-line block ×3, first 2 shown]
	s_and_saveexec_b64 s[6:7], s[0:1]
	s_cbranch_execz .LBB3_245
; %bb.238:
	v_mov_b32_e32 v12, 0
	global_load_dwordx2 v[16:17], v12, s[2:3] offset:32 sc0 sc1
	global_load_dwordx2 v[2:3], v12, s[2:3] offset:40
	v_mov_b32_e32 v14, s4
	v_mov_b32_e32 v15, s5
	s_waitcnt vmcnt(0)
	v_readfirstlane_b32 s10, v2
	v_readfirstlane_b32 s11, v3
	s_and_b64 s[10:11], s[10:11], s[4:5]
	s_mul_i32 s11, s11, 24
	s_mul_hi_u32 s12, s10, 24
	s_mul_i32 s10, s10, 24
	s_add_i32 s11, s12, s11
	v_lshl_add_u64 v[6:7], v[6:7], 0, s[10:11]
	global_store_dwordx2 v[6:7], v[16:17], off
	buffer_wbl2 sc0 sc1
	s_waitcnt vmcnt(0)
	global_atomic_cmpswap_x2 v[4:5], v12, v[14:17], s[2:3] offset:32 sc0 sc1
	s_waitcnt vmcnt(0)
	v_cmp_ne_u64_e32 vcc, v[4:5], v[16:17]
	s_and_saveexec_b64 s[10:11], vcc
	s_cbranch_execz .LBB3_241
; %bb.239:
	s_mov_b64 s[12:13], 0
.LBB3_240:                              ; =>This Inner Loop Header: Depth=1
	s_sleep 1
	global_store_dwordx2 v[6:7], v[4:5], off
	v_mov_b32_e32 v2, s4
	v_mov_b32_e32 v3, s5
	buffer_wbl2 sc0 sc1
	s_waitcnt vmcnt(0)
	global_atomic_cmpswap_x2 v[2:3], v12, v[2:5], s[2:3] offset:32 sc0 sc1
	s_waitcnt vmcnt(0)
	v_cmp_eq_u64_e32 vcc, v[2:3], v[4:5]
	s_or_b64 s[12:13], vcc, s[12:13]
	v_mov_b64_e32 v[4:5], v[2:3]
	s_andn2_b64 exec, exec, s[12:13]
	s_cbranch_execnz .LBB3_240
.LBB3_241:
	s_or_b64 exec, exec, s[10:11]
	v_mov_b32_e32 v5, 0
	global_load_dwordx2 v[2:3], v5, s[2:3] offset:16
	s_mov_b64 s[10:11], exec
	v_mbcnt_lo_u32_b32 v4, s10, 0
	v_mbcnt_hi_u32_b32 v4, s11, v4
	v_cmp_eq_u32_e32 vcc, 0, v4
	s_and_saveexec_b64 s[12:13], vcc
	s_cbranch_execz .LBB3_243
; %bb.242:
	s_bcnt1_i32_b64 s10, s[10:11]
	v_mov_b32_e32 v4, s10
	buffer_wbl2 sc0 sc1
	s_waitcnt vmcnt(0)
	global_atomic_add_x2 v[2:3], v[4:5], off offset:8 sc1
.LBB3_243:
	s_or_b64 exec, exec, s[12:13]
	s_waitcnt vmcnt(0)
	global_load_dwordx2 v[4:5], v[2:3], off offset:16
	s_waitcnt vmcnt(0)
	v_cmp_eq_u64_e32 vcc, 0, v[4:5]
	s_cbranch_vccnz .LBB3_245
; %bb.244:
	global_load_dword v2, v[2:3], off offset:24
	v_mov_b32_e32 v3, 0
	s_waitcnt vmcnt(0)
	v_readfirstlane_b32 s10, v2
	s_and_b32 m0, s10, 0xffffff
	buffer_wbl2 sc0 sc1
	global_store_dwordx2 v[4:5], v[2:3], off sc0 sc1
	s_sendmsg sendmsg(MSG_INTERRUPT)
.LBB3_245:
	s_or_b64 exec, exec, s[6:7]
	v_lshl_add_u64 v[2:3], v[8:9], 0, v[28:29]
	s_branch .LBB3_249
.LBB3_246:                              ;   in Loop: Header=BB3_249 Depth=1
	s_or_b64 exec, exec, s[6:7]
	v_readfirstlane_b32 s6, v4
	s_cmp_eq_u32 s6, 0
	s_cbranch_scc1 .LBB3_248
; %bb.247:                              ;   in Loop: Header=BB3_249 Depth=1
	s_sleep 1
	s_cbranch_execnz .LBB3_249
	s_branch .LBB3_251
.LBB3_248:
	s_branch .LBB3_251
.LBB3_249:                              ; =>This Inner Loop Header: Depth=1
	v_mov_b32_e32 v4, 1
	s_and_saveexec_b64 s[6:7], s[0:1]
	s_cbranch_execz .LBB3_246
; %bb.250:                              ;   in Loop: Header=BB3_249 Depth=1
	global_load_dword v4, v[10:11], off offset:20 sc0 sc1
	s_waitcnt vmcnt(0)
	buffer_inv sc0 sc1
	v_and_b32_e32 v4, 1, v4
	s_branch .LBB3_246
.LBB3_251:
	global_load_dwordx2 v[4:5], v[2:3], off
	s_and_saveexec_b64 s[6:7], s[0:1]
	s_cbranch_execz .LBB3_254
; %bb.252:
	v_mov_b32_e32 v10, 0
	global_load_dwordx2 v[2:3], v10, s[2:3] offset:40
	global_load_dwordx2 v[14:15], v10, s[2:3] offset:24 sc0 sc1
	global_load_dwordx2 v[6:7], v10, s[2:3]
	s_waitcnt vmcnt(2)
	v_readfirstlane_b32 s10, v2
	v_readfirstlane_b32 s11, v3
	s_add_u32 s12, s10, 1
	s_addc_u32 s13, s11, 0
	s_add_u32 s0, s12, s4
	s_addc_u32 s1, s13, s5
	s_cmp_eq_u64 s[0:1], 0
	s_cselect_b32 s1, s13, s1
	s_cselect_b32 s0, s12, s0
	s_and_b64 s[4:5], s[0:1], s[10:11]
	s_mul_i32 s5, s5, 24
	s_mul_hi_u32 s10, s4, 24
	s_mul_i32 s4, s4, 24
	s_add_i32 s5, s10, s5
	s_waitcnt vmcnt(0)
	v_lshl_add_u64 v[2:3], v[6:7], 0, s[4:5]
	v_mov_b32_e32 v12, s0
	global_store_dwordx2 v[2:3], v[14:15], off
	v_mov_b32_e32 v13, s1
	buffer_wbl2 sc0 sc1
	s_waitcnt vmcnt(0)
	global_atomic_cmpswap_x2 v[8:9], v10, v[12:15], s[2:3] offset:24 sc0 sc1
	s_mov_b64 s[4:5], 0
	s_waitcnt vmcnt(0)
	v_cmp_ne_u64_e32 vcc, v[8:9], v[14:15]
	s_and_b64 exec, exec, vcc
	s_cbranch_execz .LBB3_254
.LBB3_253:                              ; =>This Inner Loop Header: Depth=1
	s_sleep 1
	global_store_dwordx2 v[2:3], v[8:9], off
	v_mov_b32_e32 v6, s0
	v_mov_b32_e32 v7, s1
	buffer_wbl2 sc0 sc1
	s_waitcnt vmcnt(0)
	global_atomic_cmpswap_x2 v[6:7], v10, v[6:9], s[2:3] offset:24 sc0 sc1
	s_waitcnt vmcnt(0)
	v_cmp_eq_u64_e32 vcc, v[6:7], v[8:9]
	s_or_b64 s[4:5], vcc, s[4:5]
	v_mov_b64_e32 v[8:9], v[6:7]
	s_andn2_b64 exec, exec, s[4:5]
	s_cbranch_execnz .LBB3_253
.LBB3_254:
	s_or_b64 exec, exec, s[6:7]
.LBB3_255:
	v_readfirstlane_b32 s0, v1
	s_waitcnt vmcnt(0)
	v_mov_b64_e32 v[2:3], 0
	v_cmp_eq_u32_e64 s[0:1], s0, v1
	s_and_saveexec_b64 s[4:5], s[0:1]
	s_cbranch_execz .LBB3_261
; %bb.256:
	v_mov_b32_e32 v1, 0
	global_load_dwordx2 v[8:9], v1, s[2:3] offset:24 sc0 sc1
	s_waitcnt vmcnt(0)
	buffer_inv sc0 sc1
	global_load_dwordx2 v[2:3], v1, s[2:3] offset:40
	global_load_dwordx2 v[6:7], v1, s[2:3]
	s_waitcnt vmcnt(1)
	v_and_b32_e32 v2, v2, v8
	v_and_b32_e32 v3, v3, v9
	v_mul_lo_u32 v3, v3, 24
	v_mul_hi_u32 v10, v2, 24
	v_add_u32_e32 v3, v10, v3
	v_mul_lo_u32 v2, v2, 24
	s_waitcnt vmcnt(0)
	v_lshl_add_u64 v[2:3], v[6:7], 0, v[2:3]
	global_load_dwordx2 v[6:7], v[2:3], off sc0 sc1
	s_waitcnt vmcnt(0)
	global_atomic_cmpswap_x2 v[2:3], v1, v[6:9], s[2:3] offset:24 sc0 sc1
	s_waitcnt vmcnt(0)
	buffer_inv sc0 sc1
	v_cmp_ne_u64_e32 vcc, v[2:3], v[8:9]
	s_and_saveexec_b64 s[6:7], vcc
	s_cbranch_execz .LBB3_260
; %bb.257:
	s_mov_b64 s[10:11], 0
.LBB3_258:                              ; =>This Inner Loop Header: Depth=1
	s_sleep 1
	global_load_dwordx2 v[6:7], v1, s[2:3] offset:40
	global_load_dwordx2 v[10:11], v1, s[2:3]
	v_mov_b64_e32 v[8:9], v[2:3]
	s_waitcnt vmcnt(1)
	v_and_b32_e32 v2, v6, v8
	s_waitcnt vmcnt(0)
	v_mad_u64_u32 v[2:3], s[12:13], v2, 24, v[10:11]
	v_and_b32_e32 v7, v7, v9
	v_mov_b32_e32 v6, v3
	v_mad_u64_u32 v[6:7], s[12:13], v7, 24, v[6:7]
	v_mov_b32_e32 v3, v6
	global_load_dwordx2 v[6:7], v[2:3], off sc0 sc1
	s_waitcnt vmcnt(0)
	global_atomic_cmpswap_x2 v[2:3], v1, v[6:9], s[2:3] offset:24 sc0 sc1
	s_waitcnt vmcnt(0)
	buffer_inv sc0 sc1
	v_cmp_eq_u64_e32 vcc, v[2:3], v[8:9]
	s_or_b64 s[10:11], vcc, s[10:11]
	s_andn2_b64 exec, exec, s[10:11]
	s_cbranch_execnz .LBB3_258
; %bb.259:
	s_or_b64 exec, exec, s[10:11]
.LBB3_260:
	s_or_b64 exec, exec, s[6:7]
.LBB3_261:
	s_or_b64 exec, exec, s[4:5]
	v_mov_b32_e32 v29, 0
	global_load_dwordx2 v[6:7], v29, s[2:3] offset:40
	global_load_dwordx4 v[8:11], v29, s[2:3]
	v_readfirstlane_b32 s5, v3
	v_readfirstlane_b32 s4, v2
	s_mov_b64 s[6:7], exec
	s_waitcnt vmcnt(1)
	v_readfirstlane_b32 s10, v6
	v_readfirstlane_b32 s11, v7
	s_and_b64 s[10:11], s[10:11], s[4:5]
	s_mul_i32 s12, s11, 24
	s_mul_hi_u32 s13, s10, 24
	s_add_i32 s13, s13, s12
	s_mul_i32 s12, s10, 24
	s_waitcnt vmcnt(0)
	v_lshl_add_u64 v[12:13], v[8:9], 0, s[12:13]
	s_and_saveexec_b64 s[12:13], s[0:1]
	s_cbranch_execz .LBB3_263
; %bb.262:
	v_mov_b64_e32 v[14:15], s[6:7]
	v_mov_b32_e32 v16, 2
	v_mov_b32_e32 v17, 1
	global_store_dwordx4 v[12:13], v[14:17], off offset:8
.LBB3_263:
	s_or_b64 exec, exec, s[12:13]
	s_mov_b32 s12, 0
	s_lshl_b64 s[6:7], s[10:11], 12
	s_mov_b32 s13, s12
	v_lshl_add_u64 v[10:11], v[10:11], 0, s[6:7]
	s_movk_i32 s6, 0xff1f
	v_mov_b32_e32 v6, v0
	s_mov_b32 s14, s12
	s_mov_b32 s15, s12
	v_mov_b64_e32 v[0:1], s[12:13]
	v_and_or_b32 v4, v4, s6, 32
	v_mov_b32_e32 v7, v29
	v_readfirstlane_b32 s6, v10
	v_readfirstlane_b32 s7, v11
	v_mov_b64_e32 v[2:3], s[14:15]
	s_nop 3
	global_store_dwordx4 v28, v[4:7], s[6:7]
	global_store_dwordx4 v28, v[0:3], s[6:7] offset:16
	global_store_dwordx4 v28, v[0:3], s[6:7] offset:32
	;; [unrolled: 1-line block ×3, first 2 shown]
	s_and_saveexec_b64 s[6:7], s[0:1]
	s_cbranch_execz .LBB3_271
; %bb.264:
	v_mov_b32_e32 v6, 0
	global_load_dwordx2 v[16:17], v6, s[2:3] offset:32 sc0 sc1
	global_load_dwordx2 v[0:1], v6, s[2:3] offset:40
	v_mov_b32_e32 v14, s4
	v_mov_b32_e32 v15, s5
	s_waitcnt vmcnt(0)
	v_readfirstlane_b32 s10, v0
	v_readfirstlane_b32 s11, v1
	s_and_b64 s[10:11], s[10:11], s[4:5]
	s_mul_i32 s11, s11, 24
	s_mul_hi_u32 s12, s10, 24
	s_mul_i32 s10, s10, 24
	s_add_i32 s11, s12, s11
	v_lshl_add_u64 v[4:5], v[8:9], 0, s[10:11]
	global_store_dwordx2 v[4:5], v[16:17], off
	buffer_wbl2 sc0 sc1
	s_waitcnt vmcnt(0)
	global_atomic_cmpswap_x2 v[2:3], v6, v[14:17], s[2:3] offset:32 sc0 sc1
	s_waitcnt vmcnt(0)
	v_cmp_ne_u64_e32 vcc, v[2:3], v[16:17]
	s_and_saveexec_b64 s[10:11], vcc
	s_cbranch_execz .LBB3_267
; %bb.265:
	s_mov_b64 s[12:13], 0
.LBB3_266:                              ; =>This Inner Loop Header: Depth=1
	s_sleep 1
	global_store_dwordx2 v[4:5], v[2:3], off
	v_mov_b32_e32 v0, s4
	v_mov_b32_e32 v1, s5
	buffer_wbl2 sc0 sc1
	s_waitcnt vmcnt(0)
	global_atomic_cmpswap_x2 v[0:1], v6, v[0:3], s[2:3] offset:32 sc0 sc1
	s_waitcnt vmcnt(0)
	v_cmp_eq_u64_e32 vcc, v[0:1], v[2:3]
	s_or_b64 s[12:13], vcc, s[12:13]
	v_mov_b64_e32 v[2:3], v[0:1]
	s_andn2_b64 exec, exec, s[12:13]
	s_cbranch_execnz .LBB3_266
.LBB3_267:
	s_or_b64 exec, exec, s[10:11]
	v_mov_b32_e32 v3, 0
	global_load_dwordx2 v[0:1], v3, s[2:3] offset:16
	s_mov_b64 s[10:11], exec
	v_mbcnt_lo_u32_b32 v2, s10, 0
	v_mbcnt_hi_u32_b32 v2, s11, v2
	v_cmp_eq_u32_e32 vcc, 0, v2
	s_and_saveexec_b64 s[12:13], vcc
	s_cbranch_execz .LBB3_269
; %bb.268:
	s_bcnt1_i32_b64 s10, s[10:11]
	v_mov_b32_e32 v2, s10
	buffer_wbl2 sc0 sc1
	s_waitcnt vmcnt(0)
	global_atomic_add_x2 v[0:1], v[2:3], off offset:8 sc1
.LBB3_269:
	s_or_b64 exec, exec, s[12:13]
	s_waitcnt vmcnt(0)
	global_load_dwordx2 v[2:3], v[0:1], off offset:16
	s_waitcnt vmcnt(0)
	v_cmp_eq_u64_e32 vcc, 0, v[2:3]
	s_cbranch_vccnz .LBB3_271
; %bb.270:
	global_load_dword v0, v[0:1], off offset:24
	v_mov_b32_e32 v1, 0
	s_waitcnt vmcnt(0)
	v_readfirstlane_b32 s10, v0
	s_and_b32 m0, s10, 0xffffff
	buffer_wbl2 sc0 sc1
	global_store_dwordx2 v[2:3], v[0:1], off sc0 sc1
	s_sendmsg sendmsg(MSG_INTERRUPT)
.LBB3_271:
	s_or_b64 exec, exec, s[6:7]
	v_lshl_add_u64 v[0:1], v[10:11], 0, v[28:29]
	s_branch .LBB3_275
.LBB3_272:                              ;   in Loop: Header=BB3_275 Depth=1
	s_or_b64 exec, exec, s[6:7]
	v_readfirstlane_b32 s6, v2
	s_cmp_eq_u32 s6, 0
	s_cbranch_scc1 .LBB3_274
; %bb.273:                              ;   in Loop: Header=BB3_275 Depth=1
	s_sleep 1
	s_cbranch_execnz .LBB3_275
	s_branch .LBB3_277
.LBB3_274:
	s_branch .LBB3_277
.LBB3_275:                              ; =>This Inner Loop Header: Depth=1
	v_mov_b32_e32 v2, 1
	s_and_saveexec_b64 s[6:7], s[0:1]
	s_cbranch_execz .LBB3_272
; %bb.276:                              ;   in Loop: Header=BB3_275 Depth=1
	global_load_dword v2, v[12:13], off offset:20 sc0 sc1
	s_waitcnt vmcnt(0)
	buffer_inv sc0 sc1
	v_and_b32_e32 v2, 1, v2
	s_branch .LBB3_272
.LBB3_277:
	global_load_dwordx2 v[0:1], v[0:1], off
	s_and_saveexec_b64 s[6:7], s[0:1]
	s_cbranch_execz .LBB3_280
; %bb.278:
	v_mov_b32_e32 v8, 0
	global_load_dwordx2 v[2:3], v8, s[2:3] offset:40
	global_load_dwordx2 v[12:13], v8, s[2:3] offset:24 sc0 sc1
	global_load_dwordx2 v[4:5], v8, s[2:3]
	s_waitcnt vmcnt(2)
	v_readfirstlane_b32 s10, v2
	v_readfirstlane_b32 s11, v3
	s_add_u32 s12, s10, 1
	s_addc_u32 s13, s11, 0
	s_add_u32 s0, s12, s4
	s_addc_u32 s1, s13, s5
	s_cmp_eq_u64 s[0:1], 0
	s_cselect_b32 s1, s13, s1
	s_cselect_b32 s0, s12, s0
	s_and_b64 s[4:5], s[0:1], s[10:11]
	s_mul_i32 s5, s5, 24
	s_mul_hi_u32 s10, s4, 24
	s_mul_i32 s4, s4, 24
	s_add_i32 s5, s10, s5
	s_waitcnt vmcnt(0)
	v_lshl_add_u64 v[6:7], v[4:5], 0, s[4:5]
	v_mov_b32_e32 v10, s0
	global_store_dwordx2 v[6:7], v[12:13], off
	v_mov_b32_e32 v11, s1
	buffer_wbl2 sc0 sc1
	s_waitcnt vmcnt(0)
	global_atomic_cmpswap_x2 v[4:5], v8, v[10:13], s[2:3] offset:24 sc0 sc1
	s_mov_b64 s[4:5], 0
	s_waitcnt vmcnt(0)
	v_cmp_ne_u64_e32 vcc, v[4:5], v[12:13]
	s_and_b64 exec, exec, vcc
	s_cbranch_execz .LBB3_280
.LBB3_279:                              ; =>This Inner Loop Header: Depth=1
	s_sleep 1
	global_store_dwordx2 v[6:7], v[4:5], off
	v_mov_b32_e32 v2, s0
	v_mov_b32_e32 v3, s1
	buffer_wbl2 sc0 sc1
	s_waitcnt vmcnt(0)
	global_atomic_cmpswap_x2 v[2:3], v8, v[2:5], s[2:3] offset:24 sc0 sc1
	s_waitcnt vmcnt(0)
	v_cmp_eq_u64_e32 vcc, v[2:3], v[4:5]
	s_or_b64 s[4:5], vcc, s[4:5]
	v_mov_b64_e32 v[4:5], v[2:3]
	s_andn2_b64 exec, exec, s[4:5]
	s_cbranch_execnz .LBB3_279
.LBB3_280:
	s_or_b64 exec, exec, s[6:7]
	s_getpc_b64 s[0:1]
	s_add_u32 s0, s0, __FUNCTION__._ZL18flash_attn_ext_f16ILi64ELi64ELi8ELi8ELb1ELb0EEvPKcS1_S1_S1_S1_PKiPfP15HIP_vector_typeIfLj2EEffffjfiS5_IjLj3EEiiiiiiiiiiiliiliiiiil@rel32@lo+4
	s_addc_u32 s1, s1, __FUNCTION__._ZL18flash_attn_ext_f16ILi64ELi64ELi8ELi8ELb1ELb0EEvPKcS1_S1_S1_S1_PKiPfP15HIP_vector_typeIfLj2EEffffjfiS5_IjLj3EEiiiiiiiiiiiliiliiiiil@rel32@hi+12
	s_cmp_lg_u64 s[0:1], 0
	s_cselect_b32 s4, 19, 0
	s_getpc_b64 s[2:3]
	s_add_u32 s2, s2, __ockl_printf_append_string_n@rel32@lo+4
	s_addc_u32 s3, s3, __ockl_printf_append_string_n@rel32@hi+12
	v_mov_b32_e32 v2, s0
	v_mov_b32_e32 v3, s1
	v_mov_b32_e32 v4, s4
	v_mov_b32_e32 v5, 0
	s_mov_b64 s[18:19], s[8:9]
	s_swappc_b64 s[30:31], s[2:3]
	s_getpc_b64 s[0:1]
	s_add_u32 s0, s0, __ockl_printf_append_args@rel32@lo+4
	s_addc_u32 s1, s1, __ockl_printf_append_args@rel32@hi+12
	s_mov_b64 s[8:9], s[18:19]
	v_mov_b32_e32 v2, 0x514
	v_mov_b32_e32 v3, 0
	;; [unrolled: 1-line block ×3, first 2 shown]
	s_swappc_b64 s[30:31], s[0:1]
	s_trap 2
.Lfunc_end3:
	.size	_ZL14no_device_codePKciS0_iS0_, .Lfunc_end3-_ZL14no_device_codePKciS0_iS0_
                                        ; -- End function
	.set .L_ZL14no_device_codePKciS0_iS0_.num_vgpr, max(36, .L__ockl_printf_append_string_n.num_vgpr, .L__ockl_printf_append_args.num_vgpr)
	.set .L_ZL14no_device_codePKciS0_iS0_.num_agpr, max(0, .L__ockl_printf_append_string_n.num_agpr, .L__ockl_printf_append_args.num_agpr)
	.set .L_ZL14no_device_codePKciS0_iS0_.numbered_sgpr, max(34, .L__ockl_printf_append_string_n.numbered_sgpr, .L__ockl_printf_append_args.numbered_sgpr)
	.set .L_ZL14no_device_codePKciS0_iS0_.num_named_barrier, max(0, .L__ockl_printf_append_string_n.num_named_barrier, .L__ockl_printf_append_args.num_named_barrier)
	.set .L_ZL14no_device_codePKciS0_iS0_.private_seg_size, 16+max(.L__ockl_printf_append_string_n.private_seg_size, .L__ockl_printf_append_args.private_seg_size)
	.set .L_ZL14no_device_codePKciS0_iS0_.uses_vcc, or(1, .L__ockl_printf_append_string_n.uses_vcc, .L__ockl_printf_append_args.uses_vcc)
	.set .L_ZL14no_device_codePKciS0_iS0_.uses_flat_scratch, or(0, .L__ockl_printf_append_string_n.uses_flat_scratch, .L__ockl_printf_append_args.uses_flat_scratch)
	.set .L_ZL14no_device_codePKciS0_iS0_.has_dyn_sized_stack, or(0, .L__ockl_printf_append_string_n.has_dyn_sized_stack, .L__ockl_printf_append_args.has_dyn_sized_stack)
	.set .L_ZL14no_device_codePKciS0_iS0_.has_recursion, or(0, .L__ockl_printf_append_string_n.has_recursion, .L__ockl_printf_append_args.has_recursion)
	.set .L_ZL14no_device_codePKciS0_iS0_.has_indirect_call, or(0, .L__ockl_printf_append_string_n.has_indirect_call, .L__ockl_printf_append_args.has_indirect_call)
	.section	.AMDGPU.csdata,"",@progbits
; Function info:
; codeLenInByte = 9528
; TotalNumSgprs: 40
; NumVgprs: 50
; NumAgprs: 0
; TotalNumVgprs: 50
; ScratchSize: 16
; MemoryBound: 0
	.section	.text._ZL18flash_attn_ext_f16ILi64ELi64ELi8ELi8ELb1ELb0EEvPKcS1_S1_S1_S1_PKiPfP15HIP_vector_typeIfLj2EEffffjfiS5_IjLj3EEiiiiiiiiiiiliiliiiiil,"axG",@progbits,_ZL18flash_attn_ext_f16ILi64ELi64ELi8ELi8ELb1ELb0EEvPKcS1_S1_S1_S1_PKiPfP15HIP_vector_typeIfLj2EEffffjfiS5_IjLj3EEiiiiiiiiiiiliiliiiiil,comdat
	.globl	_ZL18flash_attn_ext_f16ILi64ELi64ELi8ELi8ELb1ELb0EEvPKcS1_S1_S1_S1_PKiPfP15HIP_vector_typeIfLj2EEffffjfiS5_IjLj3EEiiiiiiiiiiiliiliiiiil ; -- Begin function _ZL18flash_attn_ext_f16ILi64ELi64ELi8ELi8ELb1ELb0EEvPKcS1_S1_S1_S1_PKiPfP15HIP_vector_typeIfLj2EEffffjfiS5_IjLj3EEiiiiiiiiiiiliiliiiiil
	.p2align	8
	.type	_ZL18flash_attn_ext_f16ILi64ELi64ELi8ELi8ELb1ELb0EEvPKcS1_S1_S1_S1_PKiPfP15HIP_vector_typeIfLj2EEffffjfiS5_IjLj3EEiiiiiiiiiiiliiliiiiil,@function
_ZL18flash_attn_ext_f16ILi64ELi64ELi8ELi8ELb1ELb0EEvPKcS1_S1_S1_S1_PKiPfP15HIP_vector_typeIfLj2EEffffjfiS5_IjLj3EEiiiiiiiiiiiliiliiiiil: ; @_ZL18flash_attn_ext_f16ILi64ELi64ELi8ELi8ELb1ELb0EEvPKcS1_S1_S1_S1_PKiPfP15HIP_vector_typeIfLj2EEffffjfiS5_IjLj3EEiiiiiiiiiiiliiliiiiil
; %bb.0:
	s_add_u32 s8, s0, 0xd0
	s_addc_u32 s9, s1, 0
	s_getpc_b64 s[0:1]
	s_add_u32 s0, s0, _ZL14no_device_codePKciS0_iS0_@rel32@lo+4
	s_addc_u32 s1, s1, _ZL14no_device_codePKciS0_iS0_@rel32@hi+12
	v_mov_b32_e32 v0, 0x6cc
	s_mov_b32 s32, 0
	s_swappc_b64 s[30:31], s[0:1]
	.section	.rodata,"a",@progbits
	.p2align	6, 0x0
	.amdhsa_kernel _ZL18flash_attn_ext_f16ILi64ELi64ELi8ELi8ELb1ELb0EEvPKcS1_S1_S1_S1_PKiPfP15HIP_vector_typeIfLj2EEffffjfiS5_IjLj3EEiiiiiiiiiiiliiliiiiil
		.amdhsa_group_segment_fixed_size 0
		.amdhsa_private_segment_fixed_size 16
		.amdhsa_kernarg_size 464
		.amdhsa_user_sgpr_count 2
		.amdhsa_user_sgpr_dispatch_ptr 0
		.amdhsa_user_sgpr_queue_ptr 0
		.amdhsa_user_sgpr_kernarg_segment_ptr 1
		.amdhsa_user_sgpr_dispatch_id 0
		.amdhsa_user_sgpr_kernarg_preload_length 0
		.amdhsa_user_sgpr_kernarg_preload_offset 0
		.amdhsa_user_sgpr_private_segment_size 0
		.amdhsa_uses_dynamic_stack 0
		.amdhsa_enable_private_segment 1
		.amdhsa_system_sgpr_workgroup_id_x 1
		.amdhsa_system_sgpr_workgroup_id_y 0
		.amdhsa_system_sgpr_workgroup_id_z 0
		.amdhsa_system_sgpr_workgroup_info 0
		.amdhsa_system_vgpr_workitem_id 0
		.amdhsa_next_free_vgpr 50
		.amdhsa_next_free_sgpr 34
		.amdhsa_accum_offset 52
		.amdhsa_reserve_vcc 1
		.amdhsa_float_round_mode_32 0
		.amdhsa_float_round_mode_16_64 0
		.amdhsa_float_denorm_mode_32 3
		.amdhsa_float_denorm_mode_16_64 3
		.amdhsa_dx10_clamp 1
		.amdhsa_ieee_mode 1
		.amdhsa_fp16_overflow 0
		.amdhsa_tg_split 0
		.amdhsa_exception_fp_ieee_invalid_op 0
		.amdhsa_exception_fp_denorm_src 0
		.amdhsa_exception_fp_ieee_div_zero 0
		.amdhsa_exception_fp_ieee_overflow 0
		.amdhsa_exception_fp_ieee_underflow 0
		.amdhsa_exception_fp_ieee_inexact 0
		.amdhsa_exception_int_div_zero 0
	.end_amdhsa_kernel
	.section	.text._ZL18flash_attn_ext_f16ILi64ELi64ELi8ELi8ELb1ELb0EEvPKcS1_S1_S1_S1_PKiPfP15HIP_vector_typeIfLj2EEffffjfiS5_IjLj3EEiiiiiiiiiiiliiliiiiil,"axG",@progbits,_ZL18flash_attn_ext_f16ILi64ELi64ELi8ELi8ELb1ELb0EEvPKcS1_S1_S1_S1_PKiPfP15HIP_vector_typeIfLj2EEffffjfiS5_IjLj3EEiiiiiiiiiiiliiliiiiil,comdat
.Lfunc_end4:
	.size	_ZL18flash_attn_ext_f16ILi64ELi64ELi8ELi8ELb1ELb0EEvPKcS1_S1_S1_S1_PKiPfP15HIP_vector_typeIfLj2EEffffjfiS5_IjLj3EEiiiiiiiiiiiliiliiiiil, .Lfunc_end4-_ZL18flash_attn_ext_f16ILi64ELi64ELi8ELi8ELb1ELb0EEvPKcS1_S1_S1_S1_PKiPfP15HIP_vector_typeIfLj2EEffffjfiS5_IjLj3EEiiiiiiiiiiiliiliiiiil
                                        ; -- End function
	.set _ZL18flash_attn_ext_f16ILi64ELi64ELi8ELi8ELb1ELb0EEvPKcS1_S1_S1_S1_PKiPfP15HIP_vector_typeIfLj2EEffffjfiS5_IjLj3EEiiiiiiiiiiiliiliiiiil.num_vgpr, max(1, .L_ZL14no_device_codePKciS0_iS0_.num_vgpr)
	.set _ZL18flash_attn_ext_f16ILi64ELi64ELi8ELi8ELb1ELb0EEvPKcS1_S1_S1_S1_PKiPfP15HIP_vector_typeIfLj2EEffffjfiS5_IjLj3EEiiiiiiiiiiiliiliiiiil.num_agpr, max(0, .L_ZL14no_device_codePKciS0_iS0_.num_agpr)
	.set _ZL18flash_attn_ext_f16ILi64ELi64ELi8ELi8ELb1ELb0EEvPKcS1_S1_S1_S1_PKiPfP15HIP_vector_typeIfLj2EEffffjfiS5_IjLj3EEiiiiiiiiiiiliiliiiiil.numbered_sgpr, max(33, .L_ZL14no_device_codePKciS0_iS0_.numbered_sgpr)
	.set _ZL18flash_attn_ext_f16ILi64ELi64ELi8ELi8ELb1ELb0EEvPKcS1_S1_S1_S1_PKiPfP15HIP_vector_typeIfLj2EEffffjfiS5_IjLj3EEiiiiiiiiiiiliiliiiiil.num_named_barrier, max(0, .L_ZL14no_device_codePKciS0_iS0_.num_named_barrier)
	.set _ZL18flash_attn_ext_f16ILi64ELi64ELi8ELi8ELb1ELb0EEvPKcS1_S1_S1_S1_PKiPfP15HIP_vector_typeIfLj2EEffffjfiS5_IjLj3EEiiiiiiiiiiiliiliiiiil.private_seg_size, 0+max(.L_ZL14no_device_codePKciS0_iS0_.private_seg_size)
	.set _ZL18flash_attn_ext_f16ILi64ELi64ELi8ELi8ELb1ELb0EEvPKcS1_S1_S1_S1_PKiPfP15HIP_vector_typeIfLj2EEffffjfiS5_IjLj3EEiiiiiiiiiiiliiliiiiil.uses_vcc, or(1, .L_ZL14no_device_codePKciS0_iS0_.uses_vcc)
	.set _ZL18flash_attn_ext_f16ILi64ELi64ELi8ELi8ELb1ELb0EEvPKcS1_S1_S1_S1_PKiPfP15HIP_vector_typeIfLj2EEffffjfiS5_IjLj3EEiiiiiiiiiiiliiliiiiil.uses_flat_scratch, or(0, .L_ZL14no_device_codePKciS0_iS0_.uses_flat_scratch)
	.set _ZL18flash_attn_ext_f16ILi64ELi64ELi8ELi8ELb1ELb0EEvPKcS1_S1_S1_S1_PKiPfP15HIP_vector_typeIfLj2EEffffjfiS5_IjLj3EEiiiiiiiiiiiliiliiiiil.has_dyn_sized_stack, or(0, .L_ZL14no_device_codePKciS0_iS0_.has_dyn_sized_stack)
	.set _ZL18flash_attn_ext_f16ILi64ELi64ELi8ELi8ELb1ELb0EEvPKcS1_S1_S1_S1_PKiPfP15HIP_vector_typeIfLj2EEffffjfiS5_IjLj3EEiiiiiiiiiiiliiliiiiil.has_recursion, or(0, .L_ZL14no_device_codePKciS0_iS0_.has_recursion)
	.set _ZL18flash_attn_ext_f16ILi64ELi64ELi8ELi8ELb1ELb0EEvPKcS1_S1_S1_S1_PKiPfP15HIP_vector_typeIfLj2EEffffjfiS5_IjLj3EEiiiiiiiiiiiliiliiiiil.has_indirect_call, or(0, .L_ZL14no_device_codePKciS0_iS0_.has_indirect_call)
	.section	.AMDGPU.csdata,"",@progbits
; Kernel info:
; codeLenInByte = 48
; TotalNumSgprs: 40
; NumVgprs: 50
; NumAgprs: 0
; TotalNumVgprs: 50
; ScratchSize: 16
; MemoryBound: 0
; FloatMode: 240
; IeeeMode: 1
; LDSByteSize: 0 bytes/workgroup (compile time only)
; SGPRBlocks: 4
; VGPRBlocks: 6
; NumSGPRsForWavesPerEU: 40
; NumVGPRsForWavesPerEU: 50
; AccumOffset: 52
; Occupancy: 8
; WaveLimiterHint : 1
; COMPUTE_PGM_RSRC2:SCRATCH_EN: 1
; COMPUTE_PGM_RSRC2:USER_SGPR: 2
; COMPUTE_PGM_RSRC2:TRAP_HANDLER: 0
; COMPUTE_PGM_RSRC2:TGID_X_EN: 1
; COMPUTE_PGM_RSRC2:TGID_Y_EN: 0
; COMPUTE_PGM_RSRC2:TGID_Z_EN: 0
; COMPUTE_PGM_RSRC2:TIDIG_COMP_CNT: 0
; COMPUTE_PGM_RSRC3_GFX90A:ACCUM_OFFSET: 12
; COMPUTE_PGM_RSRC3_GFX90A:TG_SPLIT: 0
	.section	.text._ZL25flash_attn_mask_to_KV_maxILi8EEvPK7__half2Piiii,"axG",@progbits,_ZL25flash_attn_mask_to_KV_maxILi8EEvPK7__half2Piiii,comdat
	.globl	_ZL25flash_attn_mask_to_KV_maxILi8EEvPK7__half2Piiii ; -- Begin function _ZL25flash_attn_mask_to_KV_maxILi8EEvPK7__half2Piiii
	.p2align	8
	.type	_ZL25flash_attn_mask_to_KV_maxILi8EEvPK7__half2Piiii,@function
_ZL25flash_attn_mask_to_KV_maxILi8EEvPK7__half2Piiii: ; @_ZL25flash_attn_mask_to_KV_maxILi8EEvPK7__half2Piiii
; %bb.0:
	s_load_dwordx4 s[4:7], s[0:1], 0x0
	v_cmp_gt_u32_e32 vcc, 32, v0
	s_and_saveexec_b64 s[8:9], vcc
; %bb.1:
	v_lshlrev_b32_e32 v1, 2, v0
	v_mov_b32_e32 v2, 1
	ds_write_b32 v1, v2
; %bb.2:
	s_or_b64 exec, exec, s[8:9]
	s_load_dwordx4 s[8:11], s[0:1], 0x10
	s_load_dword s33, s[0:1], 0x20
	v_and_b32_e32 v2, 31, v0
	v_lshlrev_b32_e32 v6, 2, v2
	v_lshrrev_b32_e32 v1, 3, v0
	s_waitcnt lgkmcnt(0)
	s_mul_i32 s1, s2, s9
	s_mul_i32 s0, s10, s3
	s_lshl_b32 s1, s1, 3
	s_add_i32 s0, s0, s1
	s_ashr_i32 s1, s0, 31
	s_lshl_b64 s[0:1], s[0:1], 2
	s_add_u32 s10, s4, s0
	s_addc_u32 s11, s5, s1
	v_cmp_eq_u32_e64 s[0:1], 0, v2
	v_mbcnt_lo_u32_b32 v2, -1, 0
	s_lshl_b32 s8, s8, 8
	s_mov_b64 s[12:13], 0
	v_mov_b32_e32 v3, 0
	s_movk_i32 s42, 0x204
	v_mbcnt_hi_u32_b32 v7, -1, v2
	s_barrier
                                        ; implicit-def: $sgpr4_sgpr5
	s_branch .LBB5_5
.LBB5_3:                                ;   in Loop: Header=BB5_5 Depth=1
	s_or_b64 exec, exec, s[14:15]
	s_waitcnt lgkmcnt(0)
	s_barrier
	ds_read_b32 v10, v6
	s_waitcnt lgkmcnt(0)
	s_barrier
	ds_bpermute_b32 v2, v2, v10
	v_cmp_ne_u32_e32 vcc, 0, v10
	s_waitcnt lgkmcnt(0)
	v_cmp_ne_u32_e64 s[4:5], 0, v2
	s_and_b64 s[4:5], vcc, s[4:5]
	s_nop 0
	v_cndmask_b32_e64 v2, 0, 1, s[4:5]
	ds_bpermute_b32 v2, v4, v2
	s_waitcnt lgkmcnt(0)
	v_cmp_ne_u32_e32 vcc, 0, v2
	s_and_b64 s[4:5], vcc, s[4:5]
	v_cndmask_b32_e64 v2, 0, 1, s[4:5]
	ds_bpermute_b32 v2, v5, v2
	s_waitcnt lgkmcnt(0)
	v_cmp_ne_u32_e32 vcc, 0, v2
	s_and_b64 s[4:5], vcc, s[4:5]
	;; [unrolled: 5-line block ×3, first 2 shown]
	v_cndmask_b32_e64 v2, 0, 1, s[4:5]
	ds_bpermute_b32 v2, v9, v2
	s_xor_b64 s[4:5], s[4:5], -1
	s_waitcnt lgkmcnt(0)
	v_cmp_eq_u32_e32 vcc, 0, v2
	s_or_b64 s[4:5], vcc, s[4:5]
.LBB5_4:                                ;   in Loop: Header=BB5_5 Depth=1
	s_and_b64 s[14:15], exec, s[4:5]
	s_or_b64 s[12:13], s[14:15], s[12:13]
	v_mov_b32_e32 v2, s8
	s_mov_b32 s8, s43
	s_andn2_b64 exec, exec, s[12:13]
	s_cbranch_execz .LBB5_36
.LBB5_5:                                ; =>This Inner Loop Header: Depth=1
	s_add_i32 s43, s8, 0xffffff00
	s_or_b64 s[4:5], s[4:5], exec
	s_cmp_lt_i32 s43, 0
	s_cbranch_scc1 .LBB5_4
; %bb.6:                                ;   in Loop: Header=BB5_5 Depth=1
	s_lshr_b32 s4, s43, 1
	v_add_u32_e32 v2, s4, v0
	v_lshl_add_u64 v[4:5], v[2:3], 2, s[10:11]
	global_load_dword v4, v[4:5], off
	v_mov_b32_e32 v5, 0
	s_waitcnt vmcnt(0)
	v_cmp_class_f16_e64 s[4:5], v4, s42
	v_cmp_class_f16_sdwa s[14:15], v4, s42 src0_sel:WORD_1 src1_sel:DWORD
	s_and_b64 s[14:15], s[4:5], s[14:15]
	s_and_saveexec_b64 s[4:5], s[14:15]
	s_cbranch_execz .LBB5_34
; %bb.7:                                ;   in Loop: Header=BB5_5 Depth=1
	v_add_u32_e32 v4, s9, v2
	v_ashrrev_i32_e32 v5, 31, v4
	v_lshl_add_u64 v[8:9], v[4:5], 2, s[10:11]
	global_load_dword v2, v[8:9], off
	v_mov_b32_e32 v5, 0
	s_waitcnt vmcnt(0)
	v_cmp_class_f16_e64 s[16:17], v2, s42
	s_and_saveexec_b64 s[14:15], s[16:17]
	s_cbranch_execz .LBB5_33
; %bb.8:                                ;   in Loop: Header=BB5_5 Depth=1
	v_cmp_class_f16_sdwa s[18:19], v2, s42 src0_sel:WORD_1 src1_sel:DWORD
	v_mov_b32_e32 v5, 0
	s_and_saveexec_b64 s[16:17], s[18:19]
	s_cbranch_execz .LBB5_32
; %bb.9:                                ;   in Loop: Header=BB5_5 Depth=1
	v_add_u32_e32 v4, s9, v4
	v_ashrrev_i32_e32 v5, 31, v4
	v_lshl_add_u64 v[8:9], v[4:5], 2, s[10:11]
	global_load_dword v2, v[8:9], off
	v_mov_b32_e32 v5, 0
	s_waitcnt vmcnt(0)
	v_cmp_class_f16_e64 s[20:21], v2, s42
	s_and_saveexec_b64 s[18:19], s[20:21]
	s_cbranch_execz .LBB5_31
; %bb.10:                               ;   in Loop: Header=BB5_5 Depth=1
	v_cmp_class_f16_sdwa s[22:23], v2, s42 src0_sel:WORD_1 src1_sel:DWORD
	v_mov_b32_e32 v5, 0
	s_and_saveexec_b64 s[20:21], s[22:23]
	s_cbranch_execz .LBB5_30
; %bb.11:                               ;   in Loop: Header=BB5_5 Depth=1
	v_add_u32_e32 v4, s9, v4
	v_ashrrev_i32_e32 v5, 31, v4
	v_lshl_add_u64 v[8:9], v[4:5], 2, s[10:11]
	global_load_dword v2, v[8:9], off
	v_mov_b32_e32 v5, 0
	s_waitcnt vmcnt(0)
	v_cmp_class_f16_e64 s[24:25], v2, s42
	s_and_saveexec_b64 s[22:23], s[24:25]
	s_cbranch_execz .LBB5_29
; %bb.12:                               ;   in Loop: Header=BB5_5 Depth=1
	v_cmp_class_f16_sdwa s[26:27], v2, s42 src0_sel:WORD_1 src1_sel:DWORD
	v_mov_b32_e32 v5, 0
	s_and_saveexec_b64 s[24:25], s[26:27]
	s_cbranch_execz .LBB5_28
; %bb.13:                               ;   in Loop: Header=BB5_5 Depth=1
	v_add_u32_e32 v4, s9, v4
	v_ashrrev_i32_e32 v5, 31, v4
	v_lshl_add_u64 v[8:9], v[4:5], 2, s[10:11]
	global_load_dword v2, v[8:9], off
	v_mov_b32_e32 v5, 0
	s_waitcnt vmcnt(0)
	v_cmp_class_f16_e64 s[28:29], v2, s42
	s_and_saveexec_b64 s[26:27], s[28:29]
	s_cbranch_execz .LBB5_27
; %bb.14:                               ;   in Loop: Header=BB5_5 Depth=1
	v_cmp_class_f16_sdwa s[30:31], v2, s42 src0_sel:WORD_1 src1_sel:DWORD
	v_mov_b32_e32 v5, 0
	s_and_saveexec_b64 s[28:29], s[30:31]
	s_cbranch_execz .LBB5_26
; %bb.15:                               ;   in Loop: Header=BB5_5 Depth=1
	v_add_u32_e32 v4, s9, v4
	v_ashrrev_i32_e32 v5, 31, v4
	v_lshl_add_u64 v[8:9], v[4:5], 2, s[10:11]
	global_load_dword v2, v[8:9], off
	v_mov_b32_e32 v5, 0
	s_waitcnt vmcnt(0)
	v_cmp_class_f16_e64 s[34:35], v2, s42
	s_and_saveexec_b64 s[30:31], s[34:35]
	s_cbranch_execz .LBB5_25
; %bb.16:                               ;   in Loop: Header=BB5_5 Depth=1
	v_cmp_class_f16_sdwa s[36:37], v2, s42 src0_sel:WORD_1 src1_sel:DWORD
	v_mov_b32_e32 v5, 0
	s_and_saveexec_b64 s[34:35], s[36:37]
	s_cbranch_execz .LBB5_24
; %bb.17:                               ;   in Loop: Header=BB5_5 Depth=1
	v_add_u32_e32 v4, s9, v4
	v_ashrrev_i32_e32 v5, 31, v4
	v_lshl_add_u64 v[8:9], v[4:5], 2, s[10:11]
	global_load_dword v2, v[8:9], off
	v_mov_b32_e32 v5, 0
	s_waitcnt vmcnt(0)
	v_cmp_class_f16_e64 s[38:39], v2, s42
	s_and_saveexec_b64 s[36:37], s[38:39]
	s_cbranch_execz .LBB5_23
; %bb.18:                               ;   in Loop: Header=BB5_5 Depth=1
	v_cmp_class_f16_sdwa s[40:41], v2, s42 src0_sel:WORD_1 src1_sel:DWORD
	v_mov_b32_e32 v5, 0
	s_and_saveexec_b64 s[38:39], s[40:41]
	s_cbranch_execz .LBB5_22
; %bb.19:                               ;   in Loop: Header=BB5_5 Depth=1
	v_add_u32_e32 v4, s9, v4
	v_ashrrev_i32_e32 v5, 31, v4
	v_lshl_add_u64 v[4:5], v[4:5], 2, s[10:11]
	global_load_dword v2, v[4:5], off
	v_mov_b32_e32 v5, 0
	s_waitcnt vmcnt(0)
	v_cmp_class_f16_e64 s[44:45], v2, s42
	s_and_saveexec_b64 s[40:41], s[44:45]
; %bb.20:                               ;   in Loop: Header=BB5_5 Depth=1
	v_cmp_class_f16_sdwa s[44:45], v2, s42 src0_sel:WORD_1 src1_sel:DWORD
	s_nop 1
	v_cndmask_b32_e64 v5, 0, 1, s[44:45]
; %bb.21:                               ;   in Loop: Header=BB5_5 Depth=1
	s_or_b64 exec, exec, s[40:41]
.LBB5_22:                               ;   in Loop: Header=BB5_5 Depth=1
	s_or_b64 exec, exec, s[38:39]
.LBB5_23:                               ;   in Loop: Header=BB5_5 Depth=1
	s_or_b64 exec, exec, s[36:37]
.LBB5_24:                               ;   in Loop: Header=BB5_5 Depth=1
	s_or_b64 exec, exec, s[34:35]
.LBB5_25:                               ;   in Loop: Header=BB5_5 Depth=1
	s_or_b64 exec, exec, s[30:31]
.LBB5_26:                               ;   in Loop: Header=BB5_5 Depth=1
	s_or_b64 exec, exec, s[28:29]
.LBB5_27:                               ;   in Loop: Header=BB5_5 Depth=1
	s_or_b64 exec, exec, s[26:27]
.LBB5_28:                               ;   in Loop: Header=BB5_5 Depth=1
	s_or_b64 exec, exec, s[24:25]
.LBB5_29:                               ;   in Loop: Header=BB5_5 Depth=1
	s_or_b64 exec, exec, s[22:23]
.LBB5_30:                               ;   in Loop: Header=BB5_5 Depth=1
	s_or_b64 exec, exec, s[20:21]
.LBB5_31:                               ;   in Loop: Header=BB5_5 Depth=1
	s_or_b64 exec, exec, s[18:19]
.LBB5_32:                               ;   in Loop: Header=BB5_5 Depth=1
	s_or_b64 exec, exec, s[16:17]
.LBB5_33:                               ;   in Loop: Header=BB5_5 Depth=1
	s_or_b64 exec, exec, s[14:15]
.LBB5_34:                               ;   in Loop: Header=BB5_5 Depth=1
	s_or_b64 exec, exec, s[4:5]
	v_and_b32_e32 v2, 0x60, v7
	v_add_u32_e32 v9, 32, v2
	v_xor_b32_e32 v2, 16, v7
	v_cmp_lt_i32_e32 vcc, v2, v9
	v_xor_b32_e32 v11, 1, v7
	s_nop 0
	v_cndmask_b32_e32 v2, v7, v2, vcc
	v_lshlrev_b32_e32 v2, 2, v2
	ds_bpermute_b32 v4, v2, v5
	v_cmp_ne_u32_e32 vcc, 0, v5
	s_waitcnt lgkmcnt(0)
	v_cmp_ne_u32_e64 s[4:5], 0, v4
	v_xor_b32_e32 v4, 8, v7
	s_and_b64 s[4:5], vcc, s[4:5]
	v_cmp_lt_i32_e32 vcc, v4, v9
	v_cndmask_b32_e64 v5, 0, 1, s[4:5]
	s_nop 0
	v_cndmask_b32_e32 v4, v7, v4, vcc
	v_lshlrev_b32_e32 v4, 2, v4
	ds_bpermute_b32 v5, v4, v5
	s_waitcnt lgkmcnt(0)
	v_cmp_ne_u32_e32 vcc, 0, v5
	v_xor_b32_e32 v5, 4, v7
	s_and_b64 s[4:5], vcc, s[4:5]
	v_cmp_lt_i32_e32 vcc, v5, v9
	v_cndmask_b32_e64 v8, 0, 1, s[4:5]
	s_nop 0
	v_cndmask_b32_e32 v5, v7, v5, vcc
	v_lshlrev_b32_e32 v5, 2, v5
	ds_bpermute_b32 v8, v5, v8
	s_waitcnt lgkmcnt(0)
	v_cmp_ne_u32_e32 vcc, 0, v8
	v_xor_b32_e32 v8, 2, v7
	s_and_b64 s[4:5], vcc, s[4:5]
	v_cmp_lt_i32_e32 vcc, v8, v9
	v_cndmask_b32_e64 v10, 0, 1, s[4:5]
	s_nop 0
	v_cndmask_b32_e32 v8, v7, v8, vcc
	v_lshlrev_b32_e32 v8, 2, v8
	ds_bpermute_b32 v10, v8, v10
	s_waitcnt lgkmcnt(0)
	v_cmp_ne_u32_e32 vcc, 0, v10
	s_and_b64 s[4:5], vcc, s[4:5]
	v_cmp_lt_i32_e32 vcc, v11, v9
	v_cndmask_b32_e64 v10, 0, 1, s[4:5]
	s_nop 0
	v_cndmask_b32_e32 v9, v7, v11, vcc
	v_lshlrev_b32_e32 v9, 2, v9
	ds_bpermute_b32 v10, v9, v10
	s_and_saveexec_b64 s[14:15], s[0:1]
	s_cbranch_execz .LBB5_3
; %bb.35:                               ;   in Loop: Header=BB5_5 Depth=1
	s_waitcnt lgkmcnt(0)
	v_cmp_ne_u32_e32 vcc, 0, v10
	s_and_b64 s[4:5], vcc, s[4:5]
	v_cndmask_b32_e64 v10, 0, 1, s[4:5]
	ds_write_b32 v1, v10
	s_branch .LBB5_3
.LBB5_36:
	s_or_b64 exec, exec, s[12:13]
	v_cmp_eq_u32_e32 vcc, 0, v0
	s_and_saveexec_b64 s[0:1], vcc
	s_cbranch_execz .LBB5_38
; %bb.37:
	s_mul_i32 s0, s33, s3
	s_add_i32 s0, s0, s2
	s_ashr_i32 s1, s0, 31
	s_lshl_b64 s[0:1], s[0:1], 2
	s_add_u32 s0, s6, s0
	s_addc_u32 s1, s7, s1
	v_mov_b32_e32 v0, 0
	global_store_dword v0, v2, s[0:1]
.LBB5_38:
	s_endpgm
	.section	.rodata,"a",@progbits
	.p2align	6, 0x0
	.amdhsa_kernel _ZL25flash_attn_mask_to_KV_maxILi8EEvPK7__half2Piiii
		.amdhsa_group_segment_fixed_size 128
		.amdhsa_private_segment_fixed_size 0
		.amdhsa_kernarg_size 288
		.amdhsa_user_sgpr_count 2
		.amdhsa_user_sgpr_dispatch_ptr 0
		.amdhsa_user_sgpr_queue_ptr 0
		.amdhsa_user_sgpr_kernarg_segment_ptr 1
		.amdhsa_user_sgpr_dispatch_id 0
		.amdhsa_user_sgpr_kernarg_preload_length 0
		.amdhsa_user_sgpr_kernarg_preload_offset 0
		.amdhsa_user_sgpr_private_segment_size 0
		.amdhsa_uses_dynamic_stack 0
		.amdhsa_enable_private_segment 0
		.amdhsa_system_sgpr_workgroup_id_x 1
		.amdhsa_system_sgpr_workgroup_id_y 1
		.amdhsa_system_sgpr_workgroup_id_z 0
		.amdhsa_system_sgpr_workgroup_info 0
		.amdhsa_system_vgpr_workitem_id 0
		.amdhsa_next_free_vgpr 12
		.amdhsa_next_free_sgpr 46
		.amdhsa_accum_offset 12
		.amdhsa_reserve_vcc 1
		.amdhsa_float_round_mode_32 0
		.amdhsa_float_round_mode_16_64 0
		.amdhsa_float_denorm_mode_32 3
		.amdhsa_float_denorm_mode_16_64 3
		.amdhsa_dx10_clamp 1
		.amdhsa_ieee_mode 1
		.amdhsa_fp16_overflow 0
		.amdhsa_tg_split 0
		.amdhsa_exception_fp_ieee_invalid_op 0
		.amdhsa_exception_fp_denorm_src 0
		.amdhsa_exception_fp_ieee_div_zero 0
		.amdhsa_exception_fp_ieee_overflow 0
		.amdhsa_exception_fp_ieee_underflow 0
		.amdhsa_exception_fp_ieee_inexact 0
		.amdhsa_exception_int_div_zero 0
	.end_amdhsa_kernel
	.section	.text._ZL25flash_attn_mask_to_KV_maxILi8EEvPK7__half2Piiii,"axG",@progbits,_ZL25flash_attn_mask_to_KV_maxILi8EEvPK7__half2Piiii,comdat
.Lfunc_end5:
	.size	_ZL25flash_attn_mask_to_KV_maxILi8EEvPK7__half2Piiii, .Lfunc_end5-_ZL25flash_attn_mask_to_KV_maxILi8EEvPK7__half2Piiii
                                        ; -- End function
	.set _ZL25flash_attn_mask_to_KV_maxILi8EEvPK7__half2Piiii.num_vgpr, 12
	.set _ZL25flash_attn_mask_to_KV_maxILi8EEvPK7__half2Piiii.num_agpr, 0
	.set _ZL25flash_attn_mask_to_KV_maxILi8EEvPK7__half2Piiii.numbered_sgpr, 46
	.set _ZL25flash_attn_mask_to_KV_maxILi8EEvPK7__half2Piiii.num_named_barrier, 0
	.set _ZL25flash_attn_mask_to_KV_maxILi8EEvPK7__half2Piiii.private_seg_size, 0
	.set _ZL25flash_attn_mask_to_KV_maxILi8EEvPK7__half2Piiii.uses_vcc, 1
	.set _ZL25flash_attn_mask_to_KV_maxILi8EEvPK7__half2Piiii.uses_flat_scratch, 0
	.set _ZL25flash_attn_mask_to_KV_maxILi8EEvPK7__half2Piiii.has_dyn_sized_stack, 0
	.set _ZL25flash_attn_mask_to_KV_maxILi8EEvPK7__half2Piiii.has_recursion, 0
	.set _ZL25flash_attn_mask_to_KV_maxILi8EEvPK7__half2Piiii.has_indirect_call, 0
	.section	.AMDGPU.csdata,"",@progbits
; Kernel info:
; codeLenInByte = 1292
; TotalNumSgprs: 52
; NumVgprs: 12
; NumAgprs: 0
; TotalNumVgprs: 12
; ScratchSize: 0
; MemoryBound: 0
; FloatMode: 240
; IeeeMode: 1
; LDSByteSize: 128 bytes/workgroup (compile time only)
; SGPRBlocks: 6
; VGPRBlocks: 1
; NumSGPRsForWavesPerEU: 52
; NumVGPRsForWavesPerEU: 12
; AccumOffset: 12
; Occupancy: 8
; WaveLimiterHint : 0
; COMPUTE_PGM_RSRC2:SCRATCH_EN: 0
; COMPUTE_PGM_RSRC2:USER_SGPR: 2
; COMPUTE_PGM_RSRC2:TRAP_HANDLER: 0
; COMPUTE_PGM_RSRC2:TGID_X_EN: 1
; COMPUTE_PGM_RSRC2:TGID_Y_EN: 1
; COMPUTE_PGM_RSRC2:TGID_Z_EN: 0
; COMPUTE_PGM_RSRC2:TIDIG_COMP_CNT: 0
; COMPUTE_PGM_RSRC3_GFX90A:ACCUM_OFFSET: 2
; COMPUTE_PGM_RSRC3_GFX90A:TG_SPLIT: 0
	.section	.text._ZL33flash_attn_stream_k_fixup_uniformILi64ELi8ELi8EEvPfPK15HIP_vector_typeIfLj2EEiiiiiiS1_IjLj3EES5_S5_,"axG",@progbits,_ZL33flash_attn_stream_k_fixup_uniformILi64ELi8ELi8EEvPfPK15HIP_vector_typeIfLj2EEiiiiiiS1_IjLj3EES5_S5_,comdat
	.globl	_ZL33flash_attn_stream_k_fixup_uniformILi64ELi8ELi8EEvPfPK15HIP_vector_typeIfLj2EEiiiiiiS1_IjLj3EES5_S5_ ; -- Begin function _ZL33flash_attn_stream_k_fixup_uniformILi64ELi8ELi8EEvPfPK15HIP_vector_typeIfLj2EEiiiiiiS1_IjLj3EES5_S5_
	.p2align	8
	.type	_ZL33flash_attn_stream_k_fixup_uniformILi64ELi8ELi8EEvPfPK15HIP_vector_typeIfLj2EEiiiiiiS1_IjLj3EES5_S5_,@function
_ZL33flash_attn_stream_k_fixup_uniformILi64ELi8ELi8EEvPfPK15HIP_vector_typeIfLj2EEiiiiiiS1_IjLj3EES5_S5_: ; @_ZL33flash_attn_stream_k_fixup_uniformILi64ELi8ELi8EEvPfPK15HIP_vector_typeIfLj2EEiiiiiiS1_IjLj3EES5_S5_
; %bb.0:
	s_load_dwordx8 s[8:15], s[0:1], 0x1c
	s_load_dwordx2 s[6:7], s[0:1], 0x10
	s_load_dwordx4 s[20:23], s[0:1], 0x3c
	s_waitcnt lgkmcnt(0)
	s_mul_hi_u32 s5, s11, s2
	s_add_i32 s5, s2, s5
	s_lshr_b32 s5, s5, s12
	s_mul_i32 s11, s5, s13
	s_sub_i32 s11, s2, s11
	s_mul_hi_u32 s12, s11, s14
	s_add_i32 s12, s11, s12
	s_lshr_b32 s16, s12, s15
	s_mul_i32 s12, s16, s20
	s_sub_i32 s11, s11, s12
	;; [unrolled: 5-line block ×3, first 2 shown]
	s_lshl_b32 s11, s12, 3
	s_lshl_b32 s12, s17, 3
	s_add_i32 s12, s12, s3
	s_cmp_lt_i32 s12, s6
	s_cselect_b64 s[12:13], -1, 0
	s_add_i32 s14, s11, s4
	s_cmp_lt_i32 s14, s9
	s_cselect_b64 s[14:15], -1, 0
	s_and_b64 s[12:13], s[12:13], s[14:15]
	s_andn2_b64 vcc, exec, s[12:13]
	s_cbranch_vccnz .LBB6_6
; %bb.1:
	s_load_dwordx4 s[12:15], s[0:1], 0x0
	s_mul_i32 s0, s5, s6
	s_add_i32 s0, s0, s3
	s_mul_i32 s0, s0, s7
	s_mul_i32 s16, s16, s9
	s_add_i32 s0, s0, s4
	s_add_i32 s0, s0, s16
	s_mul_i32 s1, s7, s17
	s_add_i32 s0, s0, s11
	s_lshl_b32 s1, s1, 9
	s_lshl_b32 s0, s0, 6
	s_add_i32 s1, s1, s0
	v_or_b32_e32 v4, s1, v0
	s_waitcnt lgkmcnt(0)
	v_mov_b32_e32 v2, s12
	v_mov_b32_e32 v3, s13
	v_ashrrev_i32_e32 v5, 31, v4
	v_lshl_add_u64 v[2:3], v[4:5], 2, v[2:3]
	global_load_dword v5, v[2:3], off
	s_mul_i32 s5, s10, s2
	s_lshl_b32 s11, s3, 3
	s_add_i32 s9, s5, s10
	s_add_i32 s0, s11, s4
	s_lshl_b32 s1, s9, 6
	s_add_i32 s0, s0, s1
	s_sub_i32 s0, s0, 64
	s_ashr_i32 s1, s0, 31
	s_lshl_b64 s[0:1], s[0:1], 3
	s_add_u32 s0, s14, s0
	s_addc_u32 s1, s15, s1
	s_load_dword s12, s[0:1], 0x4
	s_add_i32 s6, s9, -2
	s_cmp_lt_i32 s6, s5
	s_cbranch_scc1 .LBB6_4
; %bb.2:
	s_lshl_b32 s6, s8, 8
	s_ashr_i32 s7, s6, 31
	s_lshl_b64 s[6:7], s[6:7], 2
	s_add_u32 s6, s14, s6
	s_addc_u32 s7, s15, s7
	s_add_i32 s2, s2, 1
	s_load_dword s0, s[0:1], 0x0
	s_mul_i32 s1, s10, s2
	s_lshl_b32 s3, s3, 9
	s_lshl_b32 s10, s4, 6
	;; [unrolled: 1-line block ×3, first 2 shown]
	s_add_i32 s3, s10, s3
	s_lshl_b32 s1, s1, 6
	s_add_i32 s3, s3, s2
	s_add_i32 s1, s4, s1
	s_lshl_b32 s2, s8, 6
	s_add_i32 s1, s1, s2
	v_or_b32_e32 v0, s3, v0
	s_add_i32 s1, s1, s11
	s_add_i32 s9, s9, -1
	v_add_u32_e32 v0, 0xffffe000, v0
	s_add_i32 s2, s1, 0xffffff80
	s_waitcnt lgkmcnt(0)
	v_mov_b32_e32 v7, s0
	v_mov_b32_e32 v4, s12
	s_mov_b32 s4, 0x3fb8aa3b
	s_mov_b32 s8, 0xc2ce8ed0
	;; [unrolled: 1-line block ×3, first 2 shown]
	v_mov_b32_e32 v6, 0x7f800000
	s_mov_b32 s11, 0xc1a00000
.LBB6_3:                                ; =>This Inner Loop Header: Depth=1
	v_ashrrev_i32_e32 v1, 31, v0
	v_lshl_add_u64 v[8:9], v[0:1], 2, s[6:7]
	global_load_dword v9, v[8:9], off
	s_ashr_i32 s3, s2, 31
	s_lshl_b64 s[0:1], s[2:3], 3
	s_add_u32 s0, s14, s0
	s_addc_u32 s1, s15, s1
	s_load_dwordx2 s[0:1], s[0:1], 0x0
	v_max_f32_e32 v1, v7, v7
	s_add_i32 s9, s9, -1
	s_sub_i32 s2, s2, 64
	v_add_u32_e32 v0, 0xfffff000, v0
	s_waitcnt lgkmcnt(0)
	v_max_f32_e64 v10, s0, s0
	v_max_f32_e32 v1, v1, v10
	v_sub_f32_e32 v11, s0, v1
	v_sub_f32_e32 v10, v7, v1
	v_mul_f32_e32 v12, 0x3fb8aa3b, v11
	v_mov_b32_e32 v7, v1
	v_mul_f32_e32 v1, 0x3fb8aa3b, v10
	v_fma_f32 v15, v11, s4, -v12
	v_rndne_f32_e32 v16, v12
	v_fma_f32 v13, v10, s4, -v1
	v_rndne_f32_e32 v14, v1
	v_fmac_f32_e32 v15, 0x32a5705f, v11
	v_sub_f32_e32 v12, v12, v16
	v_fmac_f32_e32 v13, 0x32a5705f, v10
	v_sub_f32_e32 v1, v1, v14
	v_add_f32_e32 v12, v12, v15
	v_cvt_i32_f32_e32 v16, v16
	v_add_f32_e32 v1, v1, v13
	v_exp_f32_e32 v12, v12
	v_cvt_i32_f32_e32 v14, v14
	v_exp_f32_e32 v1, v1
	v_cmp_ngt_f32_e32 vcc, s8, v11
	v_ldexp_f32 v12, v12, v16
	v_mov_b32_e32 v8, s1
	v_ldexp_f32 v1, v1, v14
	v_cmp_ngt_f32_e64 s[0:1], s8, v10
	v_cndmask_b32_e32 v12, 0, v12, vcc
	v_cmp_nlt_f32_e32 vcc, s10, v11
	v_cndmask_b32_e64 v1, 0, v1, s[0:1]
	v_cmp_nlt_f32_e64 s[0:1], s10, v10
	v_cndmask_b32_e32 v12, v6, v12, vcc
	v_cmp_le_f32_e32 vcc, s11, v11
	v_cndmask_b32_e64 v1, v6, v1, s[0:1]
	v_cmp_le_f32_e64 s[0:1], s11, v10
	v_cndmask_b32_e32 v12, 0, v12, vcc
	s_cmp_le_i32 s9, s5
	v_cndmask_b32_e64 v10, 0, v1, s[0:1]
	s_waitcnt vmcnt(0)
	v_pk_mul_f32 v[8:9], v[8:9], v[12:13] op_sel_hi:[1,0]
	s_nop 0
	v_pk_fma_f32 v[4:5], v[4:5], v[10:11], v[8:9] op_sel_hi:[1,0,1]
	s_cbranch_scc0 .LBB6_3
	s_branch .LBB6_5
.LBB6_4:
	s_waitcnt lgkmcnt(0)
	v_mov_b32_e32 v4, s12
.LBB6_5:
	s_waitcnt vmcnt(0)
	v_div_scale_f32 v0, s[0:1], v4, v4, v5
	v_rcp_f32_e32 v1, v0
	v_div_scale_f32 v6, vcc, v5, v4, v5
	v_fma_f32 v7, -v0, v1, 1.0
	v_fmac_f32_e32 v1, v7, v1
	v_mul_f32_e32 v7, v6, v1
	v_fma_f32 v8, -v0, v7, v6
	v_fmac_f32_e32 v7, v8, v1
	v_fma_f32 v0, -v0, v7, v6
	v_div_fmas_f32 v0, v0, v1, v7
	v_div_fixup_f32 v0, v0, v4, v5
	global_store_dword v[2:3], v0, off
.LBB6_6:
	s_endpgm
	.section	.rodata,"a",@progbits
	.p2align	6, 0x0
	.amdhsa_kernel _ZL33flash_attn_stream_k_fixup_uniformILi64ELi8ELi8EEvPfPK15HIP_vector_typeIfLj2EEiiiiiiS1_IjLj3EES5_S5_
		.amdhsa_group_segment_fixed_size 0
		.amdhsa_private_segment_fixed_size 0
		.amdhsa_kernarg_size 76
		.amdhsa_user_sgpr_count 2
		.amdhsa_user_sgpr_dispatch_ptr 0
		.amdhsa_user_sgpr_queue_ptr 0
		.amdhsa_user_sgpr_kernarg_segment_ptr 1
		.amdhsa_user_sgpr_dispatch_id 0
		.amdhsa_user_sgpr_kernarg_preload_length 0
		.amdhsa_user_sgpr_kernarg_preload_offset 0
		.amdhsa_user_sgpr_private_segment_size 0
		.amdhsa_uses_dynamic_stack 0
		.amdhsa_enable_private_segment 0
		.amdhsa_system_sgpr_workgroup_id_x 1
		.amdhsa_system_sgpr_workgroup_id_y 1
		.amdhsa_system_sgpr_workgroup_id_z 1
		.amdhsa_system_sgpr_workgroup_info 0
		.amdhsa_system_vgpr_workitem_id 0
		.amdhsa_next_free_vgpr 17
		.amdhsa_next_free_sgpr 24
		.amdhsa_accum_offset 20
		.amdhsa_reserve_vcc 1
		.amdhsa_float_round_mode_32 0
		.amdhsa_float_round_mode_16_64 0
		.amdhsa_float_denorm_mode_32 3
		.amdhsa_float_denorm_mode_16_64 3
		.amdhsa_dx10_clamp 1
		.amdhsa_ieee_mode 1
		.amdhsa_fp16_overflow 0
		.amdhsa_tg_split 0
		.amdhsa_exception_fp_ieee_invalid_op 0
		.amdhsa_exception_fp_denorm_src 0
		.amdhsa_exception_fp_ieee_div_zero 0
		.amdhsa_exception_fp_ieee_overflow 0
		.amdhsa_exception_fp_ieee_underflow 0
		.amdhsa_exception_fp_ieee_inexact 0
		.amdhsa_exception_int_div_zero 0
	.end_amdhsa_kernel
	.section	.text._ZL33flash_attn_stream_k_fixup_uniformILi64ELi8ELi8EEvPfPK15HIP_vector_typeIfLj2EEiiiiiiS1_IjLj3EES5_S5_,"axG",@progbits,_ZL33flash_attn_stream_k_fixup_uniformILi64ELi8ELi8EEvPfPK15HIP_vector_typeIfLj2EEiiiiiiS1_IjLj3EES5_S5_,comdat
.Lfunc_end6:
	.size	_ZL33flash_attn_stream_k_fixup_uniformILi64ELi8ELi8EEvPfPK15HIP_vector_typeIfLj2EEiiiiiiS1_IjLj3EES5_S5_, .Lfunc_end6-_ZL33flash_attn_stream_k_fixup_uniformILi64ELi8ELi8EEvPfPK15HIP_vector_typeIfLj2EEiiiiiiS1_IjLj3EES5_S5_
                                        ; -- End function
	.set _ZL33flash_attn_stream_k_fixup_uniformILi64ELi8ELi8EEvPfPK15HIP_vector_typeIfLj2EEiiiiiiS1_IjLj3EES5_S5_.num_vgpr, 17
	.set _ZL33flash_attn_stream_k_fixup_uniformILi64ELi8ELi8EEvPfPK15HIP_vector_typeIfLj2EEiiiiiiS1_IjLj3EES5_S5_.num_agpr, 0
	.set _ZL33flash_attn_stream_k_fixup_uniformILi64ELi8ELi8EEvPfPK15HIP_vector_typeIfLj2EEiiiiiiS1_IjLj3EES5_S5_.numbered_sgpr, 24
	.set _ZL33flash_attn_stream_k_fixup_uniformILi64ELi8ELi8EEvPfPK15HIP_vector_typeIfLj2EEiiiiiiS1_IjLj3EES5_S5_.num_named_barrier, 0
	.set _ZL33flash_attn_stream_k_fixup_uniformILi64ELi8ELi8EEvPfPK15HIP_vector_typeIfLj2EEiiiiiiS1_IjLj3EES5_S5_.private_seg_size, 0
	.set _ZL33flash_attn_stream_k_fixup_uniformILi64ELi8ELi8EEvPfPK15HIP_vector_typeIfLj2EEiiiiiiS1_IjLj3EES5_S5_.uses_vcc, 1
	.set _ZL33flash_attn_stream_k_fixup_uniformILi64ELi8ELi8EEvPfPK15HIP_vector_typeIfLj2EEiiiiiiS1_IjLj3EES5_S5_.uses_flat_scratch, 0
	.set _ZL33flash_attn_stream_k_fixup_uniformILi64ELi8ELi8EEvPfPK15HIP_vector_typeIfLj2EEiiiiiiS1_IjLj3EES5_S5_.has_dyn_sized_stack, 0
	.set _ZL33flash_attn_stream_k_fixup_uniformILi64ELi8ELi8EEvPfPK15HIP_vector_typeIfLj2EEiiiiiiS1_IjLj3EES5_S5_.has_recursion, 0
	.set _ZL33flash_attn_stream_k_fixup_uniformILi64ELi8ELi8EEvPfPK15HIP_vector_typeIfLj2EEiiiiiiS1_IjLj3EES5_S5_.has_indirect_call, 0
	.section	.AMDGPU.csdata,"",@progbits
; Kernel info:
; codeLenInByte = 840
; TotalNumSgprs: 30
; NumVgprs: 17
; NumAgprs: 0
; TotalNumVgprs: 17
; ScratchSize: 0
; MemoryBound: 0
; FloatMode: 240
; IeeeMode: 1
; LDSByteSize: 0 bytes/workgroup (compile time only)
; SGPRBlocks: 3
; VGPRBlocks: 2
; NumSGPRsForWavesPerEU: 30
; NumVGPRsForWavesPerEU: 17
; AccumOffset: 20
; Occupancy: 8
; WaveLimiterHint : 0
; COMPUTE_PGM_RSRC2:SCRATCH_EN: 0
; COMPUTE_PGM_RSRC2:USER_SGPR: 2
; COMPUTE_PGM_RSRC2:TRAP_HANDLER: 0
; COMPUTE_PGM_RSRC2:TGID_X_EN: 1
; COMPUTE_PGM_RSRC2:TGID_Y_EN: 1
; COMPUTE_PGM_RSRC2:TGID_Z_EN: 1
; COMPUTE_PGM_RSRC2:TIDIG_COMP_CNT: 0
; COMPUTE_PGM_RSRC3_GFX90A:ACCUM_OFFSET: 4
; COMPUTE_PGM_RSRC3_GFX90A:TG_SPLIT: 0
	.section	.text._ZL33flash_attn_stream_k_fixup_generalILi64ELi8ELi8EEvPfPK15HIP_vector_typeIfLj2EEiiiiS1_IjLj3EES5_S5_S5_,"axG",@progbits,_ZL33flash_attn_stream_k_fixup_generalILi64ELi8ELi8EEvPfPK15HIP_vector_typeIfLj2EEiiiiS1_IjLj3EES5_S5_S5_,comdat
	.globl	_ZL33flash_attn_stream_k_fixup_generalILi64ELi8ELi8EEvPfPK15HIP_vector_typeIfLj2EEiiiiS1_IjLj3EES5_S5_S5_ ; -- Begin function _ZL33flash_attn_stream_k_fixup_generalILi64ELi8ELi8EEvPfPK15HIP_vector_typeIfLj2EEiiiiS1_IjLj3EES5_S5_S5_
	.p2align	8
	.type	_ZL33flash_attn_stream_k_fixup_generalILi64ELi8ELi8EEvPfPK15HIP_vector_typeIfLj2EEiiiiS1_IjLj3EES5_S5_S5_,@function
_ZL33flash_attn_stream_k_fixup_generalILi64ELi8ELi8EEvPfPK15HIP_vector_typeIfLj2EEiiiiS1_IjLj3EES5_S5_S5_: ; @_ZL33flash_attn_stream_k_fixup_generalILi64ELi8ELi8EEvPfPK15HIP_vector_typeIfLj2EEiiiiS1_IjLj3EES5_S5_S5_
; %bb.0:
	s_load_dwordx4 s[8:11], s[0:1], 0x10
	s_load_dword s22, s[0:1], 0x50
	s_mov_b32 s12, 0
	s_waitcnt lgkmcnt(0)
	s_mul_hi_i32 s13, s11, s2
	s_cmp_lg_u64 s[12:13], 0
	s_mul_i32 s5, s11, s2
	s_cbranch_scc0 .LBB7_20
; %bb.1:
	s_add_u32 s6, s22, 0
	s_addc_u32 s7, 0, 0
	s_xor_b64 s[6:7], s[6:7], 0
	v_cvt_f32_u32_e32 v1, s6
	v_cvt_f32_u32_e32 v2, s7
	s_sub_u32 s12, 0, s6
	s_subb_u32 s18, 0, s7
	v_fmamk_f32 v1, v2, 0x4f800000, v1
	v_rcp_f32_e32 v1, v1
	s_nop 0
	v_mul_f32_e32 v1, 0x5f7ffffc, v1
	v_mul_f32_e32 v2, 0x2f800000, v1
	v_trunc_f32_e32 v2, v2
	v_fmamk_f32 v1, v2, 0xcf800000, v1
	v_cvt_u32_f32_e32 v2, v2
	v_cvt_u32_f32_e32 v1, v1
	v_readfirstlane_b32 s19, v2
	v_readfirstlane_b32 s14, v1
	s_mul_i32 s15, s12, s19
	s_mul_hi_u32 s21, s12, s14
	s_mul_i32 s20, s18, s14
	s_add_i32 s15, s21, s15
	s_add_i32 s15, s15, s20
	s_mul_i32 s23, s12, s14
	s_mul_i32 s21, s14, s15
	s_mul_hi_u32 s24, s14, s23
	s_mul_hi_u32 s20, s14, s15
	s_add_u32 s21, s24, s21
	s_addc_u32 s20, 0, s20
	s_mul_hi_u32 s25, s19, s23
	s_mul_i32 s23, s19, s23
	s_add_u32 s21, s21, s23
	s_mul_hi_u32 s24, s19, s15
	s_addc_u32 s20, s20, s25
	s_addc_u32 s21, s24, 0
	s_mul_i32 s15, s19, s15
	s_add_u32 s15, s20, s15
	s_addc_u32 s20, 0, s21
	s_add_u32 s21, s14, s15
	s_cselect_b64 s[14:15], -1, 0
	s_cmp_lg_u64 s[14:15], 0
	s_addc_u32 s19, s19, s20
	s_mul_i32 s14, s12, s19
	s_mul_hi_u32 s15, s12, s21
	s_add_i32 s14, s15, s14
	s_mul_i32 s18, s18, s21
	s_add_i32 s14, s14, s18
	s_mul_i32 s12, s12, s21
	s_mul_hi_u32 s18, s19, s12
	s_mul_i32 s20, s19, s12
	s_mul_i32 s24, s21, s14
	s_mul_hi_u32 s12, s21, s12
	s_mul_hi_u32 s23, s21, s14
	s_add_u32 s12, s12, s24
	s_addc_u32 s23, 0, s23
	s_add_u32 s12, s12, s20
	s_mul_hi_u32 s15, s19, s14
	s_addc_u32 s12, s23, s18
	s_addc_u32 s15, s15, 0
	s_mul_i32 s14, s19, s14
	s_add_u32 s12, s12, s14
	s_addc_u32 s18, 0, s15
	s_add_u32 s20, s21, s12
	s_cselect_b64 s[14:15], -1, 0
	s_cmp_lg_u64 s[14:15], 0
	s_addc_u32 s18, s19, s18
	s_ashr_i32 s14, s13, 31
	s_add_u32 s12, s5, s14
	s_mov_b32 s15, s14
	s_addc_u32 s13, s13, s14
	s_xor_b64 s[12:13], s[12:13], s[14:15]
	s_mul_i32 s21, s12, s18
	s_mul_hi_u32 s23, s12, s20
	s_mul_hi_u32 s19, s12, s18
	s_add_u32 s21, s23, s21
	s_addc_u32 s19, 0, s19
	s_mul_hi_u32 s24, s13, s20
	s_mul_i32 s20, s13, s20
	s_add_u32 s20, s21, s20
	s_mul_hi_u32 s23, s13, s18
	s_addc_u32 s19, s19, s24
	s_addc_u32 s20, s23, 0
	s_mul_i32 s18, s13, s18
	s_add_u32 s23, s19, s18
	s_addc_u32 s24, 0, s20
	s_mul_i32 s18, s6, s24
	s_mul_hi_u32 s19, s6, s23
	s_add_i32 s18, s19, s18
	s_mul_i32 s19, s7, s23
	s_add_i32 s25, s18, s19
	s_sub_i32 s20, s13, s25
	s_mul_i32 s18, s6, s23
	s_sub_u32 s12, s12, s18
	s_cselect_b64 s[18:19], -1, 0
	s_cmp_lg_u64 s[18:19], 0
	s_subb_u32 s26, s20, s7
	s_sub_u32 s27, s12, s6
	s_cselect_b64 s[20:21], -1, 0
	s_cmp_lg_u64 s[20:21], 0
	s_subb_u32 s20, s26, 0
	s_cmp_ge_u32 s20, s7
	s_cselect_b32 s21, -1, 0
	s_cmp_ge_u32 s27, s6
	s_cselect_b32 s26, -1, 0
	s_cmp_eq_u32 s20, s7
	s_cselect_b32 s20, s26, s21
	s_add_u32 s21, s23, 1
	s_addc_u32 s26, s24, 0
	s_add_u32 s27, s23, 2
	s_addc_u32 s28, s24, 0
	s_cmp_lg_u32 s20, 0
	s_cselect_b32 s20, s27, s21
	s_cselect_b32 s21, s28, s26
	s_cmp_lg_u64 s[18:19], 0
	s_subb_u32 s13, s13, s25
	s_cmp_ge_u32 s13, s7
	s_cselect_b32 s18, -1, 0
	s_cmp_ge_u32 s12, s6
	s_cselect_b32 s6, -1, 0
	s_cmp_eq_u32 s13, s7
	s_cselect_b32 s6, s6, s18
	s_cmp_lg_u32 s6, 0
	s_cselect_b32 s7, s21, s24
	s_cselect_b32 s6, s20, s23
	s_xor_b64 s[12:13], s[14:15], 0
	s_xor_b64 s[6:7], s[6:7], s[12:13]
	s_sub_u32 s6, s6, s12
	s_load_dwordx4 s[12:15], s[0:1], 0x44
	s_cbranch_execnz .LBB7_3
.LBB7_2:
	v_cvt_f32_u32_e32 v1, s22
	s_sub_i32 s6, 0, s22
	v_rcp_iflag_f32_e32 v1, v1
	s_nop 0
	v_mul_f32_e32 v1, 0x4f7ffffe, v1
	v_cvt_u32_f32_e32 v1, v1
	s_nop 0
	v_readfirstlane_b32 s7, v1
	s_mul_i32 s6, s6, s7
	s_mul_hi_u32 s6, s7, s6
	s_add_i32 s7, s7, s6
	s_mul_hi_u32 s6, s5, s7
	s_waitcnt lgkmcnt(0)
	s_mul_i32 s15, s6, s22
	s_sub_i32 s5, s5, s15
	s_add_i32 s7, s6, 1
	s_sub_i32 s15, s5, s22
	s_cmp_ge_u32 s5, s22
	s_cselect_b32 s6, s7, s6
	s_cselect_b32 s5, s15, s5
	s_add_i32 s7, s6, 1
	s_cmp_ge_u32 s5, s22
	s_cselect_b32 s6, s7, s6
.LBB7_3:
	s_add_i32 s5, s2, 1
	s_mul_hi_i32 s21, s11, s5
	s_mov_b32 s20, 0
	s_cmp_lg_u64 s[20:21], 0
	s_mul_i32 s5, s11, s5
	s_cbranch_scc0 .LBB7_21
; %bb.4:
	s_add_u32 s16, s22, 0
	s_addc_u32 s17, 0, 0
	s_xor_b64 s[18:19], s[16:17], 0
	v_cvt_f32_u32_e32 v1, s18
	v_cvt_f32_u32_e32 v2, s19
	s_sub_u32 s7, 0, s18
	s_waitcnt lgkmcnt(0)
	s_subb_u32 s15, 0, s19
	v_fmamk_f32 v1, v2, 0x4f800000, v1
	v_rcp_f32_e32 v1, v1
	s_nop 0
	v_mul_f32_e32 v1, 0x5f7ffffc, v1
	v_mul_f32_e32 v2, 0x2f800000, v1
	v_trunc_f32_e32 v2, v2
	v_fmamk_f32 v1, v2, 0xcf800000, v1
	v_cvt_u32_f32_e32 v2, v2
	v_cvt_u32_f32_e32 v1, v1
	v_readfirstlane_b32 s20, v2
	v_readfirstlane_b32 s23, v1
	s_mul_i32 s24, s7, s20
	s_mul_hi_u32 s26, s7, s23
	s_mul_i32 s25, s15, s23
	s_add_i32 s24, s26, s24
	s_add_i32 s24, s24, s25
	s_mul_i32 s27, s7, s23
	s_mul_i32 s26, s23, s24
	s_mul_hi_u32 s28, s23, s27
	s_mul_hi_u32 s25, s23, s24
	s_add_u32 s26, s28, s26
	s_addc_u32 s25, 0, s25
	s_mul_hi_u32 s29, s20, s27
	s_mul_i32 s27, s20, s27
	s_add_u32 s26, s26, s27
	s_mul_hi_u32 s28, s20, s24
	s_addc_u32 s25, s25, s29
	s_addc_u32 s26, s28, 0
	s_mul_i32 s24, s20, s24
	s_add_u32 s24, s25, s24
	s_addc_u32 s26, 0, s26
	s_add_u32 s23, s23, s24
	s_cselect_b64 s[24:25], -1, 0
	s_cmp_lg_u64 s[24:25], 0
	s_addc_u32 s20, s20, s26
	s_mul_i32 s24, s7, s20
	s_mul_hi_u32 s25, s7, s23
	s_add_i32 s24, s25, s24
	s_mul_i32 s15, s15, s23
	s_add_i32 s24, s24, s15
	s_mul_i32 s7, s7, s23
	s_mul_hi_u32 s25, s20, s7
	s_mul_i32 s26, s20, s7
	s_mul_i32 s28, s23, s24
	s_mul_hi_u32 s7, s23, s7
	s_mul_hi_u32 s27, s23, s24
	s_add_u32 s7, s7, s28
	s_addc_u32 s27, 0, s27
	s_add_u32 s7, s7, s26
	s_mul_hi_u32 s15, s20, s24
	s_addc_u32 s7, s27, s25
	s_addc_u32 s15, s15, 0
	s_mul_i32 s24, s20, s24
	s_add_u32 s7, s7, s24
	s_addc_u32 s15, 0, s15
	s_add_u32 s7, s23, s7
	s_cselect_b64 s[24:25], -1, 0
	s_cmp_lg_u64 s[24:25], 0
	s_addc_u32 s15, s20, s15
	s_ashr_i32 s24, s21, 31
	s_add_u32 s20, s5, s24
	s_mov_b32 s25, s24
	s_addc_u32 s21, s21, s24
	s_xor_b64 s[20:21], s[20:21], s[24:25]
	s_mul_i32 s26, s20, s15
	s_mul_hi_u32 s27, s20, s7
	s_mul_hi_u32 s23, s20, s15
	s_add_u32 s26, s27, s26
	s_addc_u32 s23, 0, s23
	s_mul_hi_u32 s28, s21, s7
	s_mul_i32 s7, s21, s7
	s_add_u32 s7, s26, s7
	s_mul_hi_u32 s27, s21, s15
	s_addc_u32 s7, s23, s28
	s_addc_u32 s23, s27, 0
	s_mul_i32 s15, s21, s15
	s_add_u32 s7, s7, s15
	s_addc_u32 s15, 0, s23
	s_mul_i32 s23, s18, s15
	s_mul_hi_u32 s26, s18, s7
	s_add_i32 s23, s26, s23
	s_mul_i32 s26, s19, s7
	s_add_i32 s23, s23, s26
	s_sub_i32 s28, s21, s23
	s_mul_i32 s26, s18, s7
	s_sub_u32 s20, s20, s26
	s_cselect_b64 s[26:27], -1, 0
	s_cmp_lg_u64 s[26:27], 0
	s_subb_u32 s30, s28, s19
	s_sub_u32 s31, s20, s18
	s_cselect_b64 s[28:29], -1, 0
	s_cmp_lg_u64 s[28:29], 0
	s_subb_u32 s28, s30, 0
	s_cmp_ge_u32 s28, s19
	s_cselect_b32 s29, -1, 0
	s_cmp_ge_u32 s31, s18
	s_cselect_b32 s30, -1, 0
	s_cmp_eq_u32 s28, s19
	s_cselect_b32 s28, s30, s29
	s_add_u32 s29, s7, 1
	s_addc_u32 s30, s15, 0
	s_add_u32 s31, s7, 2
	s_addc_u32 s33, s15, 0
	s_cmp_lg_u32 s28, 0
	s_cselect_b32 s28, s31, s29
	s_cselect_b32 s29, s33, s30
	s_cmp_lg_u64 s[26:27], 0
	s_subb_u32 s21, s21, s23
	s_cmp_ge_u32 s21, s19
	s_cselect_b32 s23, -1, 0
	s_cmp_ge_u32 s20, s18
	s_cselect_b32 s18, -1, 0
	s_cmp_eq_u32 s21, s19
	s_cselect_b32 s18, s18, s23
	s_cmp_lg_u32 s18, 0
	s_cselect_b32 s19, s29, s15
	s_cselect_b32 s18, s28, s7
	s_xor_b64 s[20:21], s[24:25], 0
	s_xor_b64 s[18:19], s[18:19], s[20:21]
	s_sub_u32 s18, s18, s20
	s_cbranch_execnz .LBB7_6
.LBB7_5:
	v_cvt_f32_u32_e32 v1, s22
	s_sub_i32 s7, 0, s22
	v_rcp_iflag_f32_e32 v1, v1
	s_nop 0
	v_mul_f32_e32 v1, 0x4f7ffffe, v1
	v_cvt_u32_f32_e32 v1, v1
	s_waitcnt lgkmcnt(0)
	v_readfirstlane_b32 s15, v1
	s_mul_i32 s7, s7, s15
	s_mul_hi_u32 s7, s15, s7
	s_add_i32 s15, s15, s7
	s_mul_hi_u32 s7, s5, s15
	s_mul_i32 s16, s7, s22
	s_sub_i32 s5, s5, s16
	s_add_i32 s15, s7, 1
	s_sub_i32 s16, s5, s22
	s_cmp_ge_u32 s5, s22
	s_cselect_b32 s7, s15, s7
	s_cselect_b32 s5, s16, s5
	s_add_i32 s15, s7, 1
	s_cmp_ge_u32 s5, s22
	s_cselect_b32 s18, s15, s7
.LBB7_6:
	s_cmp_eq_u32 s6, s18
	s_waitcnt lgkmcnt(0)
	s_mul_hi_u32 s5, s6, s12
	s_cselect_b64 s[16:17], -1, 0
	s_add_i32 s5, s5, s6
	s_lshr_b32 s7, s5, s13
	s_mul_i32 s5, s7, s14
	s_cmp_eq_u32 s5, s6
	s_mul_hi_u32 s5, s18, s12
	s_cselect_b64 s[20:21], -1, 0
	s_add_i32 s5, s5, s18
	s_lshr_b32 s5, s5, s13
	s_cmp_eq_u32 s7, s5
	s_mul_i32 s5, s5, s14
	s_cselect_b64 s[24:25], -1, 0
	s_cmp_lg_u32 s5, s18
	s_cselect_b64 s[18:19], -1, 0
	s_and_b64 s[18:19], s[24:25], s[18:19]
	s_or_b64 s[16:17], s[16:17], s[20:21]
	s_or_b64 s[16:17], s[16:17], s[18:19]
	s_and_b64 vcc, exec, s[16:17]
	s_cbranch_vccnz .LBB7_23
; %bb.7:
	s_load_dwordx8 s[24:31], s[0:1], 0x20
	s_load_dword s15, s[0:1], 0x40
	s_waitcnt lgkmcnt(0)
	s_mul_hi_u32 s5, s6, s24
	s_add_i32 s5, s5, s6
	s_lshr_b32 s5, s5, s25
	s_mul_i32 s16, s5, s26
	s_sub_i32 s16, s6, s16
	s_mul_hi_u32 s17, s16, s27
	s_add_i32 s17, s16, s17
	s_lshr_b32 s20, s17, s28
	s_mul_i32 s17, s20, s29
	s_sub_i32 s16, s16, s17
	;; [unrolled: 5-line block ×3, first 2 shown]
	s_mul_hi_u32 s16, s15, s12
	s_add_i32 s15, s15, s16
	s_lshr_b32 s23, s15, s13
	s_lshl_b32 s15, s23, 3
	s_lshl_b32 s21, s17, 3
	s_add_i32 s15, s15, s3
	s_cmp_lt_i32 s15, s8
	s_cselect_b64 s[16:17], -1, 0
	s_add_i32 s15, s21, s4
	s_cmp_lt_i32 s15, s10
	s_cselect_b64 s[18:19], -1, 0
	s_and_b64 s[16:17], s[16:17], s[18:19]
	s_andn2_b64 vcc, exec, s[16:17]
	s_cbranch_vccnz .LBB7_23
; %bb.8:
	s_load_dwordx4 s[16:19], s[0:1], 0x0
	s_mov_b32 s0, 0
	s_lshl_b32 s15, s3, 3
	s_lshl_b32 s24, s22, 8
	s_mov_b32 s25, s0
	s_add_i32 s15, s15, s4
	s_waitcnt lgkmcnt(0)
	v_mov_b32_e32 v2, s16
	v_mov_b32_e32 v3, s17
	s_lshl_b64 s[16:17], s[24:25], 2
	s_add_u32 s16, s18, s16
	s_mul_i32 s1, s5, s8
	s_addc_u32 s17, s19, s17
	s_add_i32 s1, s1, s3
	s_mul_i32 s1, s1, s9
	s_mul_i32 s20, s20, s10
	s_add_i32 s1, s1, s4
	s_add_i32 s1, s1, s20
	s_mul_i32 s5, s9, s23
	s_add_i32 s1, s1, s21
	s_lshl_b32 s5, s5, 9
	s_lshl_b32 s1, s1, 6
	s_add_i32 s5, s5, s1
	v_or_b32_e32 v4, s5, v0
	v_ashrrev_i32_e32 v5, 31, v4
	v_lshl_add_u64 v[2:3], v[4:5], 2, v[2:3]
	global_load_dword v1, v[2:3], off
	v_cvt_f32_u32_e32 v4, s22
	s_lshl_b32 s1, s2, 6
	s_add_i32 s4, s15, s1
	s_ashr_i32 s5, s4, 31
	s_lshl_b64 s[4:5], s[4:5], 3
	v_rcp_iflag_f32_e32 v4, v4
	s_add_u32 s4, s18, s4
	s_addc_u32 s5, s19, s5
	s_load_dwordx2 s[4:5], s[4:5], 0x0
	v_mul_f32_e32 v4, 0x4f7ffffe, v4
	v_cvt_u32_f32_e32 v7, v4
	s_add_i32 s24, s2, -1
	v_lshl_or_b32 v6, s15, 6, v0
	s_waitcnt lgkmcnt(0)
	v_mov_b32_e32 v0, s5
	v_mov_b32_e32 v9, s4
	s_mov_b32 s10, 0x3fb8aa3b
	s_mov_b32 s20, 0xc2ce8ed0
	;; [unrolled: 1-line block ×4, first 2 shown]
	v_mov_b32_e32 v8, 0x7f800000
	s_mul_hi_i32 s1, s24, s11
	s_cmp_lg_u64 s[0:1], 0
	s_mul_i32 s8, s24, s11
	s_cbranch_scc0 .LBB7_19
.LBB7_9:
	s_add_u32 s2, s22, 0
	s_addc_u32 s3, 0, 0
	s_xor_b64 s[2:3], s[2:3], 0
	v_cvt_f32_u32_e32 v4, s2
	v_cvt_f32_u32_e32 v5, s3
	s_sub_u32 s9, 0, s2
	s_subb_u32 s25, 0, s3
	v_fmac_f32_e32 v4, 0x4f800000, v5
	v_rcp_f32_e32 v4, v4
	s_nop 0
	v_mul_f32_e32 v4, 0x5f7ffffc, v4
	v_mul_f32_e32 v5, 0x2f800000, v4
	v_trunc_f32_e32 v5, v5
	v_fmac_f32_e32 v4, 0xcf800000, v5
	v_cvt_u32_f32_e32 v5, v5
	v_cvt_u32_f32_e32 v4, v4
	v_readfirstlane_b32 s26, v5
	v_readfirstlane_b32 s4, v4
	s_mul_i32 s5, s9, s26
	s_mul_hi_u32 s28, s9, s4
	s_mul_i32 s27, s25, s4
	s_add_i32 s5, s28, s5
	s_mul_i32 s29, s9, s4
	s_add_i32 s5, s5, s27
	s_mul_i32 s28, s4, s5
	s_mul_hi_u32 s30, s4, s29
	s_mul_hi_u32 s27, s4, s5
	s_add_u32 s28, s30, s28
	s_addc_u32 s27, 0, s27
	s_mul_hi_u32 s31, s26, s29
	s_mul_i32 s29, s26, s29
	s_add_u32 s28, s28, s29
	s_mul_hi_u32 s30, s26, s5
	s_addc_u32 s27, s27, s31
	s_addc_u32 s28, s30, 0
	s_mul_i32 s5, s26, s5
	s_add_u32 s5, s27, s5
	s_addc_u32 s27, 0, s28
	s_add_u32 s28, s4, s5
	s_cselect_b64 s[4:5], -1, 0
	s_cmp_lg_u64 s[4:5], 0
	s_addc_u32 s26, s26, s27
	s_mul_i32 s4, s9, s26
	s_mul_hi_u32 s5, s9, s28
	s_add_i32 s4, s5, s4
	s_mul_i32 s25, s25, s28
	s_add_i32 s4, s4, s25
	s_mul_i32 s9, s9, s28
	s_mul_hi_u32 s25, s26, s9
	s_mul_i32 s27, s26, s9
	s_mul_i32 s30, s28, s4
	s_mul_hi_u32 s9, s28, s9
	s_mul_hi_u32 s29, s28, s4
	s_add_u32 s9, s9, s30
	s_addc_u32 s29, 0, s29
	s_add_u32 s9, s9, s27
	s_mul_hi_u32 s5, s26, s4
	s_addc_u32 s9, s29, s25
	s_addc_u32 s5, s5, 0
	s_mul_i32 s4, s26, s4
	s_add_u32 s4, s9, s4
	s_addc_u32 s9, 0, s5
	s_add_u32 s25, s28, s4
	s_cselect_b64 s[4:5], -1, 0
	s_cmp_lg_u64 s[4:5], 0
	s_addc_u32 s9, s26, s9
	s_ashr_i32 s4, s1, 31
	s_add_u32 s26, s8, s4
	s_mov_b32 s5, s4
	s_addc_u32 s27, s1, s4
	s_xor_b64 s[26:27], s[26:27], s[4:5]
	s_mul_i32 s28, s26, s9
	s_mul_hi_u32 s29, s26, s25
	s_mul_hi_u32 s1, s26, s9
	s_add_u32 s28, s29, s28
	s_addc_u32 s1, 0, s1
	s_mul_hi_u32 s30, s27, s25
	s_mul_i32 s25, s27, s25
	s_add_u32 s25, s28, s25
	s_mul_hi_u32 s29, s27, s9
	s_addc_u32 s1, s1, s30
	s_addc_u32 s25, s29, 0
	s_mul_i32 s9, s27, s9
	s_add_u32 s1, s1, s9
	s_addc_u32 s9, 0, s25
	s_mul_i32 s25, s2, s9
	s_mul_hi_u32 s28, s2, s1
	s_add_i32 s25, s28, s25
	s_mul_i32 s28, s3, s1
	s_add_i32 s25, s25, s28
	s_sub_i32 s30, s27, s25
	s_mul_i32 s28, s2, s1
	s_sub_u32 s26, s26, s28
	s_cselect_b64 s[28:29], -1, 0
	s_cmp_lg_u64 s[28:29], 0
	s_subb_u32 s33, s30, s3
	s_sub_u32 s34, s26, s2
	s_cselect_b64 s[30:31], -1, 0
	s_cmp_lg_u64 s[30:31], 0
	s_subb_u32 s30, s33, 0
	s_cmp_ge_u32 s30, s3
	s_cselect_b32 s31, -1, 0
	s_cmp_ge_u32 s34, s2
	s_cselect_b32 s33, -1, 0
	s_cmp_eq_u32 s30, s3
	s_cselect_b32 s30, s33, s31
	s_add_u32 s31, s1, 1
	s_addc_u32 s33, s9, 0
	s_add_u32 s34, s1, 2
	s_addc_u32 s35, s9, 0
	s_cmp_lg_u32 s30, 0
	s_cselect_b32 s30, s34, s31
	s_cselect_b32 s31, s35, s33
	s_cmp_lg_u64 s[28:29], 0
	s_subb_u32 s25, s27, s25
	s_cmp_ge_u32 s25, s3
	s_cselect_b32 s27, -1, 0
	s_cmp_ge_u32 s26, s2
	s_cselect_b32 s2, -1, 0
	s_cmp_eq_u32 s25, s3
	s_cselect_b32 s2, s2, s27
	s_cmp_lg_u32 s2, 0
	s_cselect_b32 s3, s31, s9
	s_cselect_b32 s2, s30, s1
	s_xor_b64 s[4:5], s[4:5], 0
	s_xor_b64 s[2:3], s[2:3], s[4:5]
	s_sub_u32 s4, s2, s4
	s_cbranch_execnz .LBB7_11
.LBB7_10:
	s_sub_i32 s1, 0, s22
	v_readfirstlane_b32 s2, v7
	s_mul_i32 s1, s1, s2
	s_mul_hi_u32 s1, s2, s1
	s_add_i32 s2, s2, s1
	s_mul_hi_u32 s1, s8, s2
	s_mul_i32 s3, s1, s22
	s_sub_i32 s3, s8, s3
	s_add_i32 s2, s1, 1
	s_sub_i32 s4, s3, s22
	s_cmp_ge_u32 s3, s22
	s_cselect_b32 s1, s2, s1
	s_cselect_b32 s3, s4, s3
	s_add_i32 s2, s1, 1
	s_cmp_ge_u32 s3, s22
	s_cselect_b32 s4, s2, s1
.LBB7_11:
	s_cmp_lg_u32 s6, s4
	s_cbranch_scc0 .LBB7_15
; %bb.12:
	s_add_i32 s1, s24, s22
	s_lshl_b32 s1, s1, 6
	s_add_i32 s2, s1, s15
	s_mov_b32 s3, s0
	s_lshl_b64 s[2:3], s[2:3], 3
	s_add_u32 s8, s18, s2
	s_mul_hi_u32 s1, s4, s12
	s_addc_u32 s9, s19, s3
	s_add_i32 s1, s1, s4
	s_lshr_b32 s1, s1, s13
	s_mul_i32 s2, s1, s14
	s_cmp_eq_u32 s2, s4
	s_cselect_b64 s[2:3], -1, 0
	s_cmp_lt_u32 s1, s7
	s_cselect_b64 s[26:27], -1, 0
	s_or_b64 s[26:27], s[26:27], s[2:3]
	s_mov_b64 s[2:3], -1
	s_and_b64 vcc, exec, s[26:27]
	s_mov_b32 s1, s24
	s_mov_b32 s25, s6
	s_cbranch_vccnz .LBB7_14
; %bb.13:
	s_add_i32 s1, s24, -1
	s_mov_b64 s[2:3], 0
	s_mov_b32 s25, s4
.LBB7_14:
	v_lshl_add_u32 v4, s24, 12, v6
	v_ashrrev_i32_e32 v5, 31, v4
	v_lshl_add_u64 v[4:5], v[4:5], 2, s[16:17]
	global_load_dword v5, v[4:5], off
	s_load_dwordx2 s[4:5], s[8:9], 0x0
	v_max_f32_e32 v4, v9, v9
	s_waitcnt lgkmcnt(0)
	v_max_f32_e64 v10, s4, s4
	v_max_f32_e32 v10, v4, v10
	v_sub_f32_e32 v11, v9, v10
	v_sub_f32_e32 v13, s4, v10
	v_mul_f32_e32 v4, 0x3fb8aa3b, v11
	v_mul_f32_e32 v12, 0x3fb8aa3b, v13
	v_fma_f32 v14, v11, s10, -v4
	v_rndne_f32_e32 v15, v4
	v_fma_f32 v16, v13, s10, -v12
	v_rndne_f32_e32 v17, v12
	v_fmac_f32_e32 v14, 0x32a5705f, v11
	v_sub_f32_e32 v4, v4, v15
	v_fmac_f32_e32 v16, 0x32a5705f, v13
	v_sub_f32_e32 v12, v12, v17
	v_add_f32_e32 v4, v4, v14
	v_cvt_i32_f32_e32 v15, v15
	v_add_f32_e32 v12, v12, v16
	v_exp_f32_e32 v14, v4
	v_cvt_i32_f32_e32 v17, v17
	v_exp_f32_e32 v12, v12
	v_cmp_ngt_f32_e32 vcc, s20, v11
	v_ldexp_f32 v14, v14, v15
	v_mov_b32_e32 v4, s5
	v_ldexp_f32 v12, v12, v17
	v_cndmask_b32_e32 v14, 0, v14, vcc
	v_cmp_ngt_f32_e32 vcc, s20, v13
	s_nop 1
	v_cndmask_b32_e32 v12, 0, v12, vcc
	v_cmp_nlt_f32_e32 vcc, s21, v11
	s_nop 1
	v_cndmask_b32_e32 v14, v8, v14, vcc
	v_cmp_nlt_f32_e32 vcc, s21, v13
	s_nop 1
	v_cndmask_b32_e32 v15, v8, v12, vcc
	v_cmp_le_f32_e32 vcc, s23, v11
	s_nop 1
	v_cndmask_b32_e32 v12, 0, v14, vcc
	v_cmp_le_f32_e32 vcc, s23, v13
	s_nop 1
	v_cndmask_b32_e32 v14, 0, v15, vcc
	s_waitcnt vmcnt(0)
	v_pk_mul_f32 v[4:5], v[4:5], v[14:15] op_sel_hi:[1,0]
	s_nop 0
	v_pk_fma_f32 v[4:5], v[0:1], v[12:13], v[4:5] op_sel_hi:[1,0,1]
	s_cbranch_execz .LBB7_16
	s_branch .LBB7_17
.LBB7_15:
                                        ; implicit-def: $vgpr4_vgpr5
                                        ; implicit-def: $sgpr2_sgpr3
                                        ; implicit-def: $vgpr10
                                        ; implicit-def: $sgpr1
                                        ; implicit-def: $sgpr25
.LBB7_16:
	s_add_i32 s1, s24, -1
	s_mov_b64 s[2:3], 0
	s_mov_b32 s25, s6
	v_mov_b32_e32 v10, v9
	s_waitcnt vmcnt(0)
	v_mov_b64_e32 v[4:5], v[0:1]
.LBB7_17:
	s_andn2_b64 vcc, exec, s[2:3]
	s_cbranch_vccz .LBB7_22
; %bb.18:
	s_mov_b32 s6, s25
	s_mov_b32 s24, s1
	v_mov_b32_e32 v9, v10
	s_waitcnt vmcnt(0)
	v_mov_b64_e32 v[0:1], v[4:5]
	s_mul_hi_i32 s1, s24, s11
	s_cmp_lg_u64 s[0:1], 0
	s_mul_i32 s8, s24, s11
	s_cbranch_scc1 .LBB7_9
.LBB7_19:
                                        ; implicit-def: $sgpr4_sgpr5
	s_branch .LBB7_10
.LBB7_20:
                                        ; implicit-def: $sgpr6_sgpr7
	s_load_dwordx4 s[12:15], s[0:1], 0x44
	s_branch .LBB7_2
.LBB7_21:
                                        ; implicit-def: $sgpr18_sgpr19
	s_branch .LBB7_5
.LBB7_22:
	v_div_scale_f32 v0, s[0:1], v4, v4, v5
	s_waitcnt vmcnt(0)
	v_rcp_f32_e32 v1, v0
	v_div_scale_f32 v6, vcc, v5, v4, v5
	v_fma_f32 v7, -v0, v1, 1.0
	v_fmac_f32_e32 v1, v7, v1
	v_mul_f32_e32 v7, v6, v1
	v_fma_f32 v8, -v0, v7, v6
	v_fmac_f32_e32 v7, v8, v1
	v_fma_f32 v0, -v0, v7, v6
	v_div_fmas_f32 v0, v0, v1, v7
	v_div_fixup_f32 v0, v0, v4, v5
	global_store_dword v[2:3], v0, off
.LBB7_23:
	s_endpgm
	.section	.rodata,"a",@progbits
	.p2align	6, 0x0
	.amdhsa_kernel _ZL33flash_attn_stream_k_fixup_generalILi64ELi8ELi8EEvPfPK15HIP_vector_typeIfLj2EEiiiiS1_IjLj3EES5_S5_S5_
		.amdhsa_group_segment_fixed_size 0
		.amdhsa_private_segment_fixed_size 0
		.amdhsa_kernarg_size 336
		.amdhsa_user_sgpr_count 2
		.amdhsa_user_sgpr_dispatch_ptr 0
		.amdhsa_user_sgpr_queue_ptr 0
		.amdhsa_user_sgpr_kernarg_segment_ptr 1
		.amdhsa_user_sgpr_dispatch_id 0
		.amdhsa_user_sgpr_kernarg_preload_length 0
		.amdhsa_user_sgpr_kernarg_preload_offset 0
		.amdhsa_user_sgpr_private_segment_size 0
		.amdhsa_uses_dynamic_stack 0
		.amdhsa_enable_private_segment 0
		.amdhsa_system_sgpr_workgroup_id_x 1
		.amdhsa_system_sgpr_workgroup_id_y 1
		.amdhsa_system_sgpr_workgroup_id_z 1
		.amdhsa_system_sgpr_workgroup_info 0
		.amdhsa_system_vgpr_workitem_id 0
		.amdhsa_next_free_vgpr 18
		.amdhsa_next_free_sgpr 36
		.amdhsa_accum_offset 20
		.amdhsa_reserve_vcc 1
		.amdhsa_float_round_mode_32 0
		.amdhsa_float_round_mode_16_64 0
		.amdhsa_float_denorm_mode_32 3
		.amdhsa_float_denorm_mode_16_64 3
		.amdhsa_dx10_clamp 1
		.amdhsa_ieee_mode 1
		.amdhsa_fp16_overflow 0
		.amdhsa_tg_split 0
		.amdhsa_exception_fp_ieee_invalid_op 0
		.amdhsa_exception_fp_denorm_src 0
		.amdhsa_exception_fp_ieee_div_zero 0
		.amdhsa_exception_fp_ieee_overflow 0
		.amdhsa_exception_fp_ieee_underflow 0
		.amdhsa_exception_fp_ieee_inexact 0
		.amdhsa_exception_int_div_zero 0
	.end_amdhsa_kernel
	.section	.text._ZL33flash_attn_stream_k_fixup_generalILi64ELi8ELi8EEvPfPK15HIP_vector_typeIfLj2EEiiiiS1_IjLj3EES5_S5_S5_,"axG",@progbits,_ZL33flash_attn_stream_k_fixup_generalILi64ELi8ELi8EEvPfPK15HIP_vector_typeIfLj2EEiiiiS1_IjLj3EES5_S5_S5_,comdat
.Lfunc_end7:
	.size	_ZL33flash_attn_stream_k_fixup_generalILi64ELi8ELi8EEvPfPK15HIP_vector_typeIfLj2EEiiiiS1_IjLj3EES5_S5_S5_, .Lfunc_end7-_ZL33flash_attn_stream_k_fixup_generalILi64ELi8ELi8EEvPfPK15HIP_vector_typeIfLj2EEiiiiS1_IjLj3EES5_S5_S5_
                                        ; -- End function
	.set _ZL33flash_attn_stream_k_fixup_generalILi64ELi8ELi8EEvPfPK15HIP_vector_typeIfLj2EEiiiiS1_IjLj3EES5_S5_S5_.num_vgpr, 18
	.set _ZL33flash_attn_stream_k_fixup_generalILi64ELi8ELi8EEvPfPK15HIP_vector_typeIfLj2EEiiiiS1_IjLj3EES5_S5_S5_.num_agpr, 0
	.set _ZL33flash_attn_stream_k_fixup_generalILi64ELi8ELi8EEvPfPK15HIP_vector_typeIfLj2EEiiiiS1_IjLj3EES5_S5_S5_.numbered_sgpr, 36
	.set _ZL33flash_attn_stream_k_fixup_generalILi64ELi8ELi8EEvPfPK15HIP_vector_typeIfLj2EEiiiiS1_IjLj3EES5_S5_S5_.num_named_barrier, 0
	.set _ZL33flash_attn_stream_k_fixup_generalILi64ELi8ELi8EEvPfPK15HIP_vector_typeIfLj2EEiiiiS1_IjLj3EES5_S5_S5_.private_seg_size, 0
	.set _ZL33flash_attn_stream_k_fixup_generalILi64ELi8ELi8EEvPfPK15HIP_vector_typeIfLj2EEiiiiS1_IjLj3EES5_S5_S5_.uses_vcc, 1
	.set _ZL33flash_attn_stream_k_fixup_generalILi64ELi8ELi8EEvPfPK15HIP_vector_typeIfLj2EEiiiiS1_IjLj3EES5_S5_S5_.uses_flat_scratch, 0
	.set _ZL33flash_attn_stream_k_fixup_generalILi64ELi8ELi8EEvPfPK15HIP_vector_typeIfLj2EEiiiiS1_IjLj3EES5_S5_S5_.has_dyn_sized_stack, 0
	.set _ZL33flash_attn_stream_k_fixup_generalILi64ELi8ELi8EEvPfPK15HIP_vector_typeIfLj2EEiiiiS1_IjLj3EES5_S5_S5_.has_recursion, 0
	.set _ZL33flash_attn_stream_k_fixup_generalILi64ELi8ELi8EEvPfPK15HIP_vector_typeIfLj2EEiiiiS1_IjLj3EES5_S5_S5_.has_indirect_call, 0
	.section	.AMDGPU.csdata,"",@progbits
; Kernel info:
; codeLenInByte = 2940
; TotalNumSgprs: 42
; NumVgprs: 18
; NumAgprs: 0
; TotalNumVgprs: 18
; ScratchSize: 0
; MemoryBound: 0
; FloatMode: 240
; IeeeMode: 1
; LDSByteSize: 0 bytes/workgroup (compile time only)
; SGPRBlocks: 5
; VGPRBlocks: 2
; NumSGPRsForWavesPerEU: 42
; NumVGPRsForWavesPerEU: 18
; AccumOffset: 20
; Occupancy: 8
; WaveLimiterHint : 0
; COMPUTE_PGM_RSRC2:SCRATCH_EN: 0
; COMPUTE_PGM_RSRC2:USER_SGPR: 2
; COMPUTE_PGM_RSRC2:TRAP_HANDLER: 0
; COMPUTE_PGM_RSRC2:TGID_X_EN: 1
; COMPUTE_PGM_RSRC2:TGID_Y_EN: 1
; COMPUTE_PGM_RSRC2:TGID_Z_EN: 1
; COMPUTE_PGM_RSRC2:TIDIG_COMP_CNT: 0
; COMPUTE_PGM_RSRC3_GFX90A:ACCUM_OFFSET: 4
; COMPUTE_PGM_RSRC3_GFX90A:TG_SPLIT: 0
	.section	.text._ZL26flash_attn_combine_resultsILi64EEvPKfPK15HIP_vector_typeIfLj2EEPfi,"axG",@progbits,_ZL26flash_attn_combine_resultsILi64EEvPKfPK15HIP_vector_typeIfLj2EEPfi,comdat
	.globl	_ZL26flash_attn_combine_resultsILi64EEvPKfPK15HIP_vector_typeIfLj2EEPfi ; -- Begin function _ZL26flash_attn_combine_resultsILi64EEvPKfPK15HIP_vector_typeIfLj2EEPfi
	.p2align	8
	.type	_ZL26flash_attn_combine_resultsILi64EEvPKfPK15HIP_vector_typeIfLj2EEPfi,@function
_ZL26flash_attn_combine_resultsILi64EEvPKfPK15HIP_vector_typeIfLj2EEPfi: ; @_ZL26flash_attn_combine_resultsILi64EEvPKfPK15HIP_vector_typeIfLj2EEPfi
; %bb.0:
	s_load_dwordx2 s[6:7], s[0:1], 0x20
	s_load_dword s19, s[0:1], 0x18
	s_load_dwordx4 s[8:11], s[0:1], 0x0
	s_load_dwordx2 s[14:15], s[0:1], 0x10
	s_waitcnt lgkmcnt(0)
	s_mul_i32 s0, s6, s4
	s_add_i32 s0, s0, s2
	s_mul_i32 s18, s0, s7
	s_add_i32 s18, s18, s3
	s_lshl_b32 s20, s19, 1
	s_mul_i32 s2, s18, s19
	v_cmp_gt_i32_e32 vcc, s20, v0
	s_and_saveexec_b64 s[0:1], vcc
	s_cbranch_execz .LBB8_13
; %bb.1:
	v_xad_u32 v1, v0, -1, s20
	s_ashr_i32 s3, s2, 31
	v_cmp_lt_u32_e32 vcc, 63, v1
	s_mov_b64 s[6:7], -1
	v_mov_b32_e32 v2, v0
	s_and_saveexec_b64 s[4:5], vcc
	s_cbranch_execz .LBB8_10
; %bb.2:
	v_lshrrev_b32_e32 v6, 6, v1
	s_lshl_b64 s[6:7], s[2:3], 3
	v_add_u32_e32 v2, -1, v6
	s_add_u32 s6, s10, s6
	v_or_b32_e32 v1, 64, v0
	v_lshrrev_b32_e32 v3, 1, v2
	s_addc_u32 s7, s11, s7
	s_mov_b32 s21, 0
	v_add_u32_e32 v7, 1, v3
	v_cmp_lt_u32_e32 vcc, 13, v2
	v_mov_b32_e32 v4, 0
	v_mov_b64_e32 v[2:3], v[0:1]
	s_and_saveexec_b64 s[12:13], vcc
	s_cbranch_execz .LBB8_6
; %bb.3:
	v_and_b32_e32 v8, -8, v7
	v_lshl_add_u32 v9, v0, 2, 0
	s_mov_b64 s[16:17], 0
	v_mov_b32_e32 v5, 0
	v_mov_b64_e32 v[2:3], v[0:1]
.LBB8_4:                                ; =>This Inner Loop Header: Depth=1
	v_mov_b32_e32 v4, v2
	v_lshl_add_u64 v[24:25], v[4:5], 2, s[6:7]
	v_mov_b32_e32 v4, v3
	v_add_u32_e32 v10, 0x80, v3
	v_mov_b32_e32 v11, v5
	v_lshl_add_u64 v[26:27], v[4:5], 2, s[6:7]
	v_add_u32_e32 v4, 0x80, v2
	v_lshl_add_u64 v[10:11], v[10:11], 2, s[6:7]
	global_load_dword v1, v[24:25], off
	v_lshl_add_u64 v[24:25], v[4:5], 2, s[6:7]
	v_add_u32_e32 v4, 0x100, v2
	global_load_dword v28, v[26:27], off
	global_load_dword v29, v[24:25], off
	;; [unrolled: 1-line block ×3, first 2 shown]
	v_lshl_add_u64 v[10:11], v[4:5], 2, s[6:7]
	v_add_u32_e32 v4, 0x180, v2
	v_add_u32_e32 v12, 0x100, v3
	v_mov_b32_e32 v13, v5
	v_add_u32_e32 v14, 0x180, v3
	v_mov_b32_e32 v15, v5
	v_lshl_add_u64 v[24:25], v[4:5], 2, s[6:7]
	v_add_u32_e32 v4, 0x200, v2
	v_lshl_add_u64 v[12:13], v[12:13], 2, s[6:7]
	v_lshl_add_u64 v[14:15], v[14:15], 2, s[6:7]
	global_load_dword v26, v[10:11], off
	global_load_dword v27, v[12:13], off
	;; [unrolled: 1-line block ×4, first 2 shown]
	v_lshl_add_u64 v[10:11], v[4:5], 2, s[6:7]
	v_add_u32_e32 v4, 0x280, v2
	v_add_u32_e32 v16, 0x200, v3
	v_mov_b32_e32 v17, v5
	v_add_u32_e32 v18, 0x280, v3
	v_mov_b32_e32 v19, v5
	v_lshl_add_u64 v[12:13], v[4:5], 2, s[6:7]
	v_add_u32_e32 v4, 0x300, v2
	v_add_u32_e32 v20, 0x300, v3
	v_mov_b32_e32 v21, v5
	v_add_u32_e32 v22, 0x380, v3
	v_mov_b32_e32 v23, v5
	v_lshl_add_u64 v[16:17], v[16:17], 2, s[6:7]
	v_lshl_add_u64 v[18:19], v[18:19], 2, s[6:7]
	global_load_dword v14, v[10:11], off
	global_load_dword v15, v[16:17], off
	;; [unrolled: 1-line block ×4, first 2 shown]
	v_lshl_add_u64 v[10:11], v[4:5], 2, s[6:7]
	v_add_u32_e32 v4, 0x380, v2
	v_lshl_add_u64 v[20:21], v[20:21], 2, s[6:7]
	v_lshl_add_u64 v[22:23], v[22:23], 2, s[6:7]
	;; [unrolled: 1-line block ×3, first 2 shown]
	global_load_dword v16, v[10:11], off
	global_load_dword v17, v[20:21], off
	;; [unrolled: 1-line block ×4, first 2 shown]
	v_add_u32_e32 v8, -8, v8
	s_add_i32 s21, s21, 16
	v_cmp_eq_u32_e32 vcc, 0, v8
	v_add_u32_e32 v3, 0x400, v3
	v_mov_b32_e32 v4, s21
	s_or_b64 s[16:17], vcc, s[16:17]
	v_add_u32_e32 v2, 0x400, v2
	s_waitcnt vmcnt(14)
	ds_write2st64_b32 v9, v1, v28 offset1:1
	s_waitcnt vmcnt(12)
	ds_write2st64_b32 v9, v29, v30 offset0:2 offset1:3
	s_waitcnt vmcnt(10)
	ds_write2st64_b32 v9, v26, v27 offset0:4 offset1:5
	;; [unrolled: 2-line block ×7, first 2 shown]
	v_add_u32_e32 v9, 0x1000, v9
	s_andn2_b64 exec, exec, s[16:17]
	s_cbranch_execnz .LBB8_4
; %bb.5:
	s_or_b64 exec, exec, s[16:17]
.LBB8_6:
	s_or_b64 exec, exec, s[12:13]
	v_and_b32_e32 v1, 7, v7
	v_cmp_ne_u32_e32 vcc, 0, v1
	s_and_saveexec_b64 s[12:13], vcc
	s_cbranch_execz .LBB8_9
; %bb.7:
	v_lshlrev_b32_e32 v5, 2, v0
	v_lshl_or_b32 v4, v4, 8, v5
	v_add_u32_e32 v7, 0, v4
	s_mov_b64 s[16:17], 0
	v_mov_b32_e32 v5, 0
.LBB8_8:                                ; =>This Inner Loop Header: Depth=1
	v_mov_b32_e32 v4, v2
	v_lshl_add_u64 v[8:9], v[4:5], 2, s[6:7]
	v_mov_b32_e32 v4, v3
	v_lshl_add_u64 v[10:11], v[4:5], 2, s[6:7]
	global_load_dword v4, v[8:9], off
	global_load_dword v12, v[10:11], off
	v_add_u32_e32 v1, -1, v1
	v_cmp_eq_u32_e32 vcc, 0, v1
	v_add_u32_e32 v2, 0x80, v2
	v_add_u32_e32 v3, 0x80, v3
	s_or_b64 s[16:17], vcc, s[16:17]
	s_waitcnt vmcnt(0)
	ds_write2st64_b32 v7, v4, v12 offset1:1
	v_add_u32_e32 v7, 0x200, v7
	s_andn2_b64 exec, exec, s[16:17]
	s_cbranch_execnz .LBB8_8
.LBB8_9:
	s_or_b64 exec, exec, s[12:13]
	v_add_u32_e32 v1, 1, v6
	v_and_b32_e32 v3, 0x7fffffe, v1
	v_cmp_ne_u32_e32 vcc, v1, v3
	v_lshl_or_b32 v2, v3, 6, v0
	s_orn2_b64 s[6:7], vcc, exec
.LBB8_10:
	s_or_b64 exec, exec, s[4:5]
	s_and_b64 exec, exec, s[6:7]
	s_cbranch_execz .LBB8_13
; %bb.11:
	s_lshl_b64 s[4:5], s[2:3], 3
	s_add_u32 s4, s10, s4
	v_mov_b32_e32 v3, 0
	s_addc_u32 s5, s11, s5
	v_lshl_add_u64 v[4:5], v[2:3], 2, s[4:5]
	v_lshl_add_u32 v1, v2, 2, 0
	s_mov_b64 s[4:5], 0
	s_mov_b64 s[6:7], 0x100
.LBB8_12:                               ; =>This Inner Loop Header: Depth=1
	global_load_dword v3, v[4:5], off
	v_add_u32_e32 v2, 64, v2
	v_cmp_le_i32_e32 vcc, s20, v2
	v_lshl_add_u64 v[4:5], v[4:5], 0, s[6:7]
	s_or_b64 s[4:5], vcc, s[4:5]
	s_waitcnt vmcnt(0)
	ds_write_b32 v1, v3
	v_add_u32_e32 v1, 0x100, v1
	s_andn2_b64 exec, exec, s[4:5]
	s_cbranch_execnz .LBB8_12
.LBB8_13:
	s_or_b64 exec, exec, s[0:1]
	v_mov_b32_e32 v1, 0
	s_waitcnt lgkmcnt(0)
	; wave barrier
	ds_read_b32 v1, v1
	s_cmp_lt_i32 s19, 2
	s_cbranch_scc1 .LBB8_21
; %bb.14:
	s_cmp_eq_u32 s19, 2
	s_cbranch_scc1 .LBB8_18
; %bb.15:
	s_add_i32 s3, s19, -1
	s_and_b32 s4, s3, -2
	s_add_i32 s6, 0, 8
	s_mov_b32 s5, 2
	s_waitcnt lgkmcnt(0)
	v_mov_b32_e32 v4, v1
.LBB8_16:                               ; =>This Inner Loop Header: Depth=1
	v_mov_b32_e32 v2, v1
	v_mov_b32_e32 v1, s6
	;; [unrolled: 1-line block ×3, first 2 shown]
	ds_read2_b32 v[4:5], v1 offset1:2
	s_cmp_lg_u32 s4, s5
	s_cselect_b64 s[10:11], -1, 0
	v_max_f32_e32 v1, v3, v3
	v_max_f32_e32 v6, v2, v2
	s_waitcnt lgkmcnt(0)
	v_cmp_u_f32_e32 vcc, v5, v5
	v_max_f32_e32 v7, v5, v5
	v_max_f32_e32 v8, v4, v4
	v_cndmask_b32_e64 v5, 0, 1, vcc
	v_cmp_u_f32_e32 vcc, v4, v4
	v_readfirstlane_b32 s0, v5
	s_lshl_b32 s0, s0, 1
	v_cndmask_b32_e64 v9, 0, 1, vcc
	v_max_f32_e32 v4, v1, v7
	v_readfirstlane_b32 s1, v9
	s_or_b32 s0, s1, s0
	s_and_b32 s7, s0, 3
	s_cmp_lg_u32 s7, 0
	s_cselect_b64 s[0:1], -1, 0
	s_cmp_eq_u32 s7, 0
	s_cselect_b64 s[12:13], -1, 0
	s_and_b64 s[10:11], s[12:13], s[10:11]
	v_max_f32_e32 v1, v6, v8
	s_add_i32 s5, s5, 2
	s_add_i32 s6, s6, 16
	s_and_b64 vcc, exec, s[10:11]
	s_cbranch_vccnz .LBB8_16
; %bb.17:
	s_add_i32 s5, s5, -4
	s_and_b64 s[6:7], s[0:1], exec
	s_cselect_b32 s5, s5, s3
	s_or_b32 s5, s5, 1
	v_cndmask_b32_e64 v1, v1, v2, s[0:1]
	v_cndmask_b32_e64 v2, v4, v3, s[0:1]
	s_cmp_lg_u32 s3, s4
	v_max_f32_e32 v2, v2, v2
	v_max_f32_e32 v1, v1, v1
	s_cselect_b64 s[6:7], -1, 0
	v_max_f32_e32 v1, v1, v2
	s_or_b64 s[0:1], s[6:7], s[0:1]
	s_and_b64 vcc, exec, s[0:1]
	s_cbranch_vccnz .LBB8_19
	s_branch .LBB8_21
.LBB8_18:
	s_mov_b32 s5, 1
	s_cbranch_execz .LBB8_21
.LBB8_19:
	s_lshl_b32 s1, s5, 3
	s_sub_i32 s0, s19, s5
	s_add_i32 s1, s1, 0
.LBB8_20:                               ; =>This Inner Loop Header: Depth=1
	v_mov_b32_e32 v2, s1
	ds_read_b32 v2, v2
	s_waitcnt lgkmcnt(1)
	v_max_f32_e32 v1, v1, v1
	s_add_i32 s0, s0, -1
	s_add_i32 s1, s1, 8
	s_cmp_eq_u32 s0, 0
	s_waitcnt lgkmcnt(0)
	v_max_f32_e32 v2, v2, v2
	v_max_f32_e32 v1, v1, v2
	s_cbranch_scc0 .LBB8_20
.LBB8_21:
	s_cmp_lt_i32 s19, 1
	s_cbranch_scc1 .LBB8_26
; %bb.22:
	s_lshl_b32 s0, s2, 6
	s_ashr_i32 s1, s0, 31
	s_lshl_b64 s[0:1], s[0:1], 2
	s_add_u32 s16, s8, s0
	s_addc_u32 s17, s9, s1
	s_cmp_lt_u32 s19, 8
	s_cbranch_scc1 .LBB8_27
; %bb.23:
	v_mov_b32_e32 v7, 0
	s_and_b32 s20, s19, 0x7ffffff8
	v_or_b32_e32 v4, 0x1c0, v0
	s_mov_b32 s21, 0
	s_mov_b32 s22, 0x3fb8aa3b
	;; [unrolled: 1-line block ×4, first 2 shown]
	v_mov_b32_e32 v8, 0x7f800000
	s_mov_b32 s25, 0
	v_mov_b32_e32 v2, v7
	v_mov_b32_e32 v3, v7
.LBB8_24:                               ; =>This Inner Loop Header: Depth=1
	v_add_u32_e32 v6, 0xfffffe40, v4
	v_lshl_add_u64 v[26:27], v[6:7], 2, s[16:17]
	v_add_u32_e32 v6, 0xfffffe80, v4
	v_mov_b32_e32 v9, s21
	v_lshl_add_u64 v[30:31], v[6:7], 2, s[16:17]
	v_add_u32_e32 v6, 0xfffffec0, v4
	ds_read2_b64 v[10:13], v9 offset1:1
	ds_read2_b64 v[14:17], v9 offset0:2 offset1:3
	ds_read2_b64 v[18:21], v9 offset0:4 offset1:5
	;; [unrolled: 1-line block ×3, first 2 shown]
	global_load_dword v33, v[26:27], off
	global_load_dword v35, v[30:31], off
	v_lshl_add_u64 v[26:27], v[6:7], 2, s[16:17]
	v_add_u32_e32 v6, 0xffffff00, v4
	v_lshl_add_u64 v[30:31], v[6:7], 2, s[16:17]
	v_add_u32_e32 v6, 0xffffff40, v4
	global_load_dword v37, v[26:27], off
	global_load_dword v39, v[30:31], off
	v_lshl_add_u64 v[26:27], v[6:7], 2, s[16:17]
	v_add_u32_e32 v6, 0xffffff80, v4
	s_waitcnt lgkmcnt(3)
	v_mov_b32_e32 v32, v11
	v_sub_f32_e32 v9, v12, v1
	v_mov_b32_e32 v34, v13
	global_load_dword v11, v[26:27], off
	v_lshl_add_u64 v[12:13], v[6:7], 2, s[16:17]
	s_waitcnt lgkmcnt(2)
	v_mov_b32_e32 v36, v15
	v_subrev_u32_e32 v6, 64, v4
	global_load_dword v15, v[12:13], off
	v_mov_b32_e32 v5, v7
	v_lshl_add_u64 v[12:13], v[6:7], 2, s[16:17]
	v_lshl_add_u64 v[28:29], v[4:5], 2, s[16:17]
	v_sub_f32_e32 v5, v10, v1
	v_mov_b32_e32 v38, v17
	s_waitcnt lgkmcnt(1)
	v_mov_b32_e32 v10, v19
	global_load_dword v17, v[12:13], off
	global_load_dword v19, v[28:29], off
	v_sub_f32_e32 v30, v14, v1
	v_sub_f32_e32 v31, v16, v1
	;; [unrolled: 1-line block ×3, first 2 shown]
	v_mov_b32_e32 v14, v21
	s_waitcnt lgkmcnt(0)
	v_sub_f32_e32 v21, v22, v1
	v_mov_b32_e32 v16, v23
	v_sub_f32_e32 v22, v24, v1
	v_mul_f32_e32 v23, 0x3fb8aa3b, v5
	v_mov_b32_e32 v18, v25
	v_mul_f32_e32 v24, 0x3fb8aa3b, v9
	v_mul_f32_e32 v25, 0x3fb8aa3b, v30
	;; [unrolled: 1-line block ×5, first 2 shown]
	v_fma_f32 v43, v5, s22, -v23
	v_rndne_f32_e32 v44, v23
	v_sub_f32_e32 v20, v20, v1
	v_fma_f32 v45, v9, s22, -v24
	v_rndne_f32_e32 v46, v24
	v_fma_f32 v47, v30, s22, -v25
	v_rndne_f32_e32 v48, v25
	;; [unrolled: 2-line block ×5, first 2 shown]
	v_fmac_f32_e32 v43, 0x32a5705f, v5
	v_sub_f32_e32 v12, v23, v44
	v_mul_f32_e32 v26, 0x3fb8aa3b, v31
	v_mul_f32_e32 v41, 0x3fb8aa3b, v20
	v_fmac_f32_e32 v45, 0x32a5705f, v9
	v_sub_f32_e32 v23, v24, v46
	v_fmac_f32_e32 v47, 0x32a5705f, v30
	v_sub_f32_e32 v25, v25, v48
	;; [unrolled: 2-line block ×5, first 2 shown]
	v_add_f32_e32 v12, v12, v43
	v_fma_f32 v49, v31, s22, -v26
	v_rndne_f32_e32 v50, v26
	v_fma_f32 v53, v20, s22, -v41
	v_rndne_f32_e32 v54, v41
	v_cvt_i32_f32_e32 v13, v44
	v_add_f32_e32 v23, v23, v45
	v_add_f32_e32 v25, v25, v47
	;; [unrolled: 1-line block ×5, first 2 shown]
	v_exp_f32_e32 v12, v12
	v_cvt_i32_f32_e32 v24, v46
	v_cvt_i32_f32_e32 v28, v48
	v_fmac_f32_e32 v49, 0x32a5705f, v31
	v_sub_f32_e32 v26, v26, v50
	v_cvt_i32_f32_e32 v29, v50
	v_cvt_i32_f32_e32 v44, v52
	v_fmac_f32_e32 v53, 0x32a5705f, v20
	v_sub_f32_e32 v41, v41, v54
	v_cvt_i32_f32_e32 v48, v56
	v_cvt_i32_f32_e32 v50, v58
	v_exp_f32_e32 v23, v23
	v_exp_f32_e32 v25, v25
	;; [unrolled: 1-line block ×5, first 2 shown]
	v_add_f32_e32 v26, v26, v49
	v_add_f32_e32 v41, v41, v53
	v_cvt_i32_f32_e32 v46, v54
	v_exp_f32_e32 v26, v26
	v_exp_f32_e32 v41, v41
	v_ldexp_f32 v12, v12, v13
	v_cmp_ngt_f32_e64 s[12:13], s23, v5
	v_ldexp_f32 v13, v23, v24
	v_cmp_ngt_f32_e32 vcc, s23, v9
	v_ldexp_f32 v23, v25, v28
	v_ldexp_f32 v25, v27, v44
	;; [unrolled: 1-line block ×3, first 2 shown]
	v_cmp_ngt_f32_e64 s[8:9], s23, v21
	v_ldexp_f32 v6, v6, v50
	v_cmp_ngt_f32_e64 s[10:11], s23, v22
	v_cndmask_b32_e64 v12, 0, v12, s[12:13]
	v_cmp_nlt_f32_e64 s[12:13], s24, v5
	v_cmp_ngt_f32_e64 s[0:1], s23, v30
	v_cndmask_b32_e32 v13, 0, v13, vcc
	v_cmp_nlt_f32_e32 vcc, s24, v9
	v_cndmask_b32_e64 v27, 0, v27, s[8:9]
	v_cmp_nlt_f32_e64 s[8:9], s24, v21
	v_cndmask_b32_e64 v21, 0, v6, s[10:11]
	v_cndmask_b32_e64 v6, v8, v12, s[12:13]
	v_ldexp_f32 v24, v26, v29
	v_cmp_ngt_f32_e64 s[2:3], s23, v31
	v_cmp_ngt_f32_e64 s[4:5], s23, v40
	v_ldexp_f32 v26, v41, v46
	v_cmp_ngt_f32_e64 s[6:7], s23, v20
	v_cndmask_b32_e64 v9, 0, v23, s[0:1]
	v_cmp_nlt_f32_e64 s[0:1], s24, v30
	v_cndmask_b32_e32 v12, v8, v13, vcc
	s_waitcnt vmcnt(7)
	v_pk_fma_f32 v[2:3], v[6:7], v[32:33], v[2:3] op_sel_hi:[0,1,1]
	v_cndmask_b32_e64 v23, 0, v24, s[2:3]
	v_cmp_nlt_f32_e64 s[2:3], s24, v31
	v_cndmask_b32_e64 v24, 0, v25, s[4:5]
	v_cndmask_b32_e64 v25, 0, v26, s[6:7]
	v_cmp_nlt_f32_e64 s[6:7], s24, v20
	v_cndmask_b32_e64 v20, v8, v9, s[0:1]
	s_waitcnt vmcnt(6)
	v_pk_fma_f32 v[2:3], v[12:13], v[34:35], v[2:3] op_sel_hi:[0,1,1]
	v_cmp_nlt_f32_e64 s[4:5], s24, v40
	v_cmp_nlt_f32_e64 s[10:11], s24, v22
	v_cndmask_b32_e64 v22, v8, v23, s[2:3]
	s_waitcnt vmcnt(5)
	v_pk_fma_f32 v[2:3], v[20:21], v[36:37], v[2:3] op_sel_hi:[0,1,1]
	v_cndmask_b32_e64 v24, v8, v24, s[4:5]
	s_waitcnt vmcnt(4)
	v_pk_fma_f32 v[2:3], v[22:23], v[38:39], v[2:3] op_sel_hi:[0,1,1]
	;; [unrolled: 3-line block ×4, first 2 shown]
	s_add_i32 s25, s25, 8
	s_add_i32 s21, s21, 64
	v_cndmask_b32_e64 v30, v8, v21, s[10:11]
	s_waitcnt vmcnt(1)
	v_pk_fma_f32 v[2:3], v[28:29], v[16:17], v[2:3] op_sel_hi:[0,1,1]
	s_cmp_eq_u32 s20, s25
	v_add_u32_e32 v4, 0x200, v4
	s_waitcnt vmcnt(0)
	v_pk_fma_f32 v[2:3], v[30:31], v[18:19], v[2:3] op_sel_hi:[0,1,1]
	s_cbranch_scc0 .LBB8_24
; %bb.25:
	s_and_b32 s0, s19, 7
	s_cmp_eq_u32 s0, 0
	s_cbranch_scc0 .LBB8_28
	s_branch .LBB8_30
.LBB8_26:
	s_waitcnt lgkmcnt(0)
	v_mov_b32_e32 v1, 0x7fc00000
	s_branch .LBB8_31
.LBB8_27:
	v_mov_b32_e32 v2, 0
	s_mov_b32 s20, 0
	v_mov_b32_e32 v3, v2
	s_and_b32 s0, s19, 7
	s_cmp_eq_u32 s0, 0
	s_cbranch_scc1 .LBB8_30
.LBB8_28:
	s_lshl_b32 s1, s20, 3
	v_lshl_or_b32 v4, s20, 6, v0
	s_add_i32 s1, s1, 0
	s_mov_b32 s2, 0x3fb8aa3b
	s_mov_b32 s3, 0xc2ce8ed0
	;; [unrolled: 1-line block ×3, first 2 shown]
	v_mov_b32_e32 v6, 0x7f800000
	v_mov_b32_e32 v5, 0
.LBB8_29:                               ; =>This Inner Loop Header: Depth=1
	v_lshl_add_u64 v[8:9], v[4:5], 2, s[16:17]
	global_load_dword v9, v[8:9], off
	v_mov_b32_e32 v7, s1
	ds_read_b64 v[10:11], v7
	s_add_i32 s1, s1, 8
	s_add_i32 s0, s0, -1
	v_add_u32_e32 v4, 64, v4
	s_cmp_lg_u32 s0, 0
	s_waitcnt lgkmcnt(0)
	v_sub_f32_e32 v7, v10, v1
	v_mul_f32_e32 v8, 0x3fb8aa3b, v7
	v_fma_f32 v10, v7, s2, -v8
	v_rndne_f32_e32 v12, v8
	v_fmac_f32_e32 v10, 0x32a5705f, v7
	v_sub_f32_e32 v8, v8, v12
	v_add_f32_e32 v8, v8, v10
	v_cvt_i32_f32_e32 v12, v12
	v_exp_f32_e32 v10, v8
	v_cmp_ngt_f32_e32 vcc, s3, v7
	v_mov_b32_e32 v8, v11
	v_ldexp_f32 v10, v10, v12
	v_cndmask_b32_e32 v10, 0, v10, vcc
	v_cmp_nlt_f32_e32 vcc, s4, v7
	s_nop 1
	v_cndmask_b32_e32 v10, v6, v10, vcc
	s_waitcnt vmcnt(0)
	v_pk_fma_f32 v[2:3], v[10:11], v[8:9], v[2:3] op_sel_hi:[0,1,1]
	s_cbranch_scc1 .LBB8_29
.LBB8_30:
	s_waitcnt lgkmcnt(0)
	v_div_scale_f32 v1, s[0:1], v2, v2, v3
	v_rcp_f32_e32 v4, v1
	v_div_scale_f32 v5, vcc, v3, v2, v3
	v_fma_f32 v6, -v1, v4, 1.0
	v_fmac_f32_e32 v4, v6, v4
	v_mul_f32_e32 v6, v5, v4
	v_fma_f32 v7, -v1, v6, v5
	v_fmac_f32_e32 v6, v7, v4
	v_fma_f32 v1, -v1, v6, v5
	v_div_fmas_f32 v1, v1, v4, v6
	v_div_fixup_f32 v1, v1, v2, v3
.LBB8_31:
	s_lshl_b32 s0, s18, 6
	s_ashr_i32 s1, s0, 31
	s_lshl_b64 s[0:1], s[0:1], 2
	s_add_u32 s0, s14, s0
	s_addc_u32 s1, s15, s1
	v_lshlrev_b32_e32 v0, 2, v0
	global_store_dword v0, v1, s[0:1]
	s_endpgm
	.section	.rodata,"a",@progbits
	.p2align	6, 0x0
	.amdhsa_kernel _ZL26flash_attn_combine_resultsILi64EEvPKfPK15HIP_vector_typeIfLj2EEPfi
		.amdhsa_group_segment_fixed_size 0
		.amdhsa_private_segment_fixed_size 0
		.amdhsa_kernarg_size 288
		.amdhsa_user_sgpr_count 2
		.amdhsa_user_sgpr_dispatch_ptr 0
		.amdhsa_user_sgpr_queue_ptr 0
		.amdhsa_user_sgpr_kernarg_segment_ptr 1
		.amdhsa_user_sgpr_dispatch_id 0
		.amdhsa_user_sgpr_kernarg_preload_length 0
		.amdhsa_user_sgpr_kernarg_preload_offset 0
		.amdhsa_user_sgpr_private_segment_size 0
		.amdhsa_uses_dynamic_stack 0
		.amdhsa_enable_private_segment 0
		.amdhsa_system_sgpr_workgroup_id_x 1
		.amdhsa_system_sgpr_workgroup_id_y 1
		.amdhsa_system_sgpr_workgroup_id_z 1
		.amdhsa_system_sgpr_workgroup_info 0
		.amdhsa_system_vgpr_workitem_id 0
		.amdhsa_next_free_vgpr 59
		.amdhsa_next_free_sgpr 26
		.amdhsa_accum_offset 60
		.amdhsa_reserve_vcc 1
		.amdhsa_float_round_mode_32 0
		.amdhsa_float_round_mode_16_64 0
		.amdhsa_float_denorm_mode_32 3
		.amdhsa_float_denorm_mode_16_64 3
		.amdhsa_dx10_clamp 1
		.amdhsa_ieee_mode 1
		.amdhsa_fp16_overflow 0
		.amdhsa_tg_split 0
		.amdhsa_exception_fp_ieee_invalid_op 0
		.amdhsa_exception_fp_denorm_src 0
		.amdhsa_exception_fp_ieee_div_zero 0
		.amdhsa_exception_fp_ieee_overflow 0
		.amdhsa_exception_fp_ieee_underflow 0
		.amdhsa_exception_fp_ieee_inexact 0
		.amdhsa_exception_int_div_zero 0
	.end_amdhsa_kernel
	.section	.text._ZL26flash_attn_combine_resultsILi64EEvPKfPK15HIP_vector_typeIfLj2EEPfi,"axG",@progbits,_ZL26flash_attn_combine_resultsILi64EEvPKfPK15HIP_vector_typeIfLj2EEPfi,comdat
.Lfunc_end8:
	.size	_ZL26flash_attn_combine_resultsILi64EEvPKfPK15HIP_vector_typeIfLj2EEPfi, .Lfunc_end8-_ZL26flash_attn_combine_resultsILi64EEvPKfPK15HIP_vector_typeIfLj2EEPfi
                                        ; -- End function
	.set _ZL26flash_attn_combine_resultsILi64EEvPKfPK15HIP_vector_typeIfLj2EEPfi.num_vgpr, 59
	.set _ZL26flash_attn_combine_resultsILi64EEvPKfPK15HIP_vector_typeIfLj2EEPfi.num_agpr, 0
	.set _ZL26flash_attn_combine_resultsILi64EEvPKfPK15HIP_vector_typeIfLj2EEPfi.numbered_sgpr, 26
	.set _ZL26flash_attn_combine_resultsILi64EEvPKfPK15HIP_vector_typeIfLj2EEPfi.num_named_barrier, 0
	.set _ZL26flash_attn_combine_resultsILi64EEvPKfPK15HIP_vector_typeIfLj2EEPfi.private_seg_size, 0
	.set _ZL26flash_attn_combine_resultsILi64EEvPKfPK15HIP_vector_typeIfLj2EEPfi.uses_vcc, 1
	.set _ZL26flash_attn_combine_resultsILi64EEvPKfPK15HIP_vector_typeIfLj2EEPfi.uses_flat_scratch, 0
	.set _ZL26flash_attn_combine_resultsILi64EEvPKfPK15HIP_vector_typeIfLj2EEPfi.has_dyn_sized_stack, 0
	.set _ZL26flash_attn_combine_resultsILi64EEvPKfPK15HIP_vector_typeIfLj2EEPfi.has_recursion, 0
	.set _ZL26flash_attn_combine_resultsILi64EEvPKfPK15HIP_vector_typeIfLj2EEPfi.has_indirect_call, 0
	.section	.AMDGPU.csdata,"",@progbits
; Kernel info:
; codeLenInByte = 2900
; TotalNumSgprs: 32
; NumVgprs: 59
; NumAgprs: 0
; TotalNumVgprs: 59
; ScratchSize: 0
; MemoryBound: 0
; FloatMode: 240
; IeeeMode: 1
; LDSByteSize: 0 bytes/workgroup (compile time only)
; SGPRBlocks: 3
; VGPRBlocks: 7
; NumSGPRsForWavesPerEU: 32
; NumVGPRsForWavesPerEU: 59
; AccumOffset: 60
; Occupancy: 8
; WaveLimiterHint : 0
; COMPUTE_PGM_RSRC2:SCRATCH_EN: 0
; COMPUTE_PGM_RSRC2:USER_SGPR: 2
; COMPUTE_PGM_RSRC2:TRAP_HANDLER: 0
; COMPUTE_PGM_RSRC2:TGID_X_EN: 1
; COMPUTE_PGM_RSRC2:TGID_Y_EN: 1
; COMPUTE_PGM_RSRC2:TGID_Z_EN: 1
; COMPUTE_PGM_RSRC2:TIDIG_COMP_CNT: 0
; COMPUTE_PGM_RSRC3_GFX90A:ACCUM_OFFSET: 14
; COMPUTE_PGM_RSRC3_GFX90A:TG_SPLIT: 0
	.section	.text._ZL18flash_attn_ext_f16ILi80ELi80ELi8ELi8ELb0ELb0EEvPKcS1_S1_S1_S1_PKiPfP15HIP_vector_typeIfLj2EEffffjfiS5_IjLj3EEiiiiiiiiiiiliiliiiiil,"axG",@progbits,_ZL18flash_attn_ext_f16ILi80ELi80ELi8ELi8ELb0ELb0EEvPKcS1_S1_S1_S1_PKiPfP15HIP_vector_typeIfLj2EEffffjfiS5_IjLj3EEiiiiiiiiiiiliiliiiiil,comdat
	.globl	_ZL18flash_attn_ext_f16ILi80ELi80ELi8ELi8ELb0ELb0EEvPKcS1_S1_S1_S1_PKiPfP15HIP_vector_typeIfLj2EEffffjfiS5_IjLj3EEiiiiiiiiiiiliiliiiiil ; -- Begin function _ZL18flash_attn_ext_f16ILi80ELi80ELi8ELi8ELb0ELb0EEvPKcS1_S1_S1_S1_PKiPfP15HIP_vector_typeIfLj2EEffffjfiS5_IjLj3EEiiiiiiiiiiiliiliiiiil
	.p2align	8
	.type	_ZL18flash_attn_ext_f16ILi80ELi80ELi8ELi8ELb0ELb0EEvPKcS1_S1_S1_S1_PKiPfP15HIP_vector_typeIfLj2EEffffjfiS5_IjLj3EEiiiiiiiiiiiliiliiiiil,@function
_ZL18flash_attn_ext_f16ILi80ELi80ELi8ELi8ELb0ELb0EEvPKcS1_S1_S1_S1_PKiPfP15HIP_vector_typeIfLj2EEffffjfiS5_IjLj3EEiiiiiiiiiiiliiliiiiil: ; @_ZL18flash_attn_ext_f16ILi80ELi80ELi8ELi8ELb0ELb0EEvPKcS1_S1_S1_S1_PKiPfP15HIP_vector_typeIfLj2EEffffjfiS5_IjLj3EEiiiiiiiiiiiliiliiiiil
; %bb.0:
	s_mov_b32 s23, s2
	s_load_dwordx2 s[2:3], s[0:1], 0x80
	s_load_dwordx4 s[28:31], s[0:1], 0x64
                                        ; implicit-def: $vgpr181 : SGPR spill to VGPR lane
	s_load_dword s24, s[0:1], 0xd0
	s_mov_b32 s6, 0
	s_waitcnt lgkmcnt(0)
	s_abs_i32 s4, s3
	v_cvt_f32_u32_e32 v1, s4
	s_sub_i32 s8, 0, s4
	s_abs_i32 s7, s29
	s_xor_b32 s5, s29, s3
	v_rcp_iflag_f32_e32 v1, v1
	s_ashr_i32 s5, s5, 31
	v_mul_f32_e32 v1, 0x4f7ffffe, v1
	v_cvt_u32_f32_e32 v1, v1
	s_nop 0
	v_readfirstlane_b32 s9, v1
	s_mul_i32 s8, s8, s9
	s_mul_hi_u32 s8, s9, s8
	s_add_i32 s9, s9, s8
	s_mul_hi_u32 s8, s7, s9
	s_mul_i32 s9, s8, s4
	s_sub_i32 s7, s7, s9
	s_add_i32 s10, s8, 1
	s_sub_i32 s9, s7, s4
	s_cmp_ge_u32 s7, s4
	s_cselect_b32 s8, s10, s8
	s_cselect_b32 s7, s9, s7
	s_add_i32 s9, s8, 1
	s_cmp_ge_u32 s7, s4
	s_cselect_b32 s4, s9, s8
	s_add_i32 s2, s2, 63
	s_xor_b32 s4, s4, s5
	s_ashr_i32 s7, s2, 31
	s_sub_i32 s33, s4, s5
	s_lshr_b32 s4, s7, 26
	s_add_i32 s2, s2, s4
	s_ashr_i32 s64, s2, 6
	s_add_i32 s2, s28, 7
	s_lshr_b32 s5, s2, 3
	s_add_i32 s2, s33, 7
	s_ashr_i32 s4, s2, 31
	s_lshr_b32 s4, s4, 29
	s_add_i32 s2, s2, s4
	s_ashr_i32 s2, s2, 3
	v_writelane_b32 v181, s5, 0
	s_mul_i32 s4, s5, s64
	v_writelane_b32 v181, s4, 1
	s_mul_i32 s2, s4, s2
	;; [unrolled: 2-line block ×4, first 2 shown]
	s_ashr_i32 s3, s2, 31
	s_mul_i32 s4, s3, s23
	s_mul_hi_u32 s5, s2, s23
	s_add_i32 s7, s5, s4
	s_add_u32 s40, s0, 0xd0
	s_addc_u32 s41, s1, 0
	s_cmp_lg_u64 s[6:7], 0
	s_mul_i32 s6, s2, s23
	s_cbranch_scc0 .LBB9_2
; %bb.1:
	s_add_u32 s4, s24, 0
	s_addc_u32 s5, 0, 0
	s_xor_b64 s[8:9], s[4:5], 0
	v_cvt_f32_u32_e32 v1, s8
	v_cvt_f32_u32_e32 v2, s9
	s_sub_u32 s12, 0, s8
	s_subb_u32 s13, 0, s9
	s_mov_b64 s[4:5], 0
	v_fmamk_f32 v1, v2, 0x4f800000, v1
	v_rcp_f32_e32 v1, v1
	s_nop 0
	v_mul_f32_e32 v1, 0x5f7ffffc, v1
	v_mul_f32_e32 v2, 0x2f800000, v1
	v_trunc_f32_e32 v2, v2
	v_fmamk_f32 v1, v2, 0xcf800000, v1
	v_cvt_u32_f32_e32 v2, v2
	v_cvt_u32_f32_e32 v1, v1
	v_readfirstlane_b32 s14, v2
	v_readfirstlane_b32 s10, v1
	s_mul_i32 s11, s12, s14
	s_mul_hi_u32 s16, s12, s10
	s_mul_i32 s15, s13, s10
	s_add_i32 s11, s16, s11
	s_add_i32 s11, s11, s15
	s_mul_i32 s17, s12, s10
	s_mul_i32 s16, s10, s11
	s_mul_hi_u32 s18, s10, s17
	s_mul_hi_u32 s15, s10, s11
	s_add_u32 s16, s18, s16
	s_addc_u32 s15, 0, s15
	s_mul_hi_u32 s19, s14, s17
	s_mul_i32 s17, s14, s17
	s_add_u32 s16, s16, s17
	s_mul_hi_u32 s18, s14, s11
	s_addc_u32 s15, s15, s19
	s_addc_u32 s16, s18, 0
	s_mul_i32 s11, s14, s11
	s_add_u32 s11, s15, s11
	s_addc_u32 s15, 0, s16
	s_add_u32 s16, s10, s11
	s_cselect_b64 s[10:11], -1, 0
	s_cmp_lg_u64 s[10:11], 0
	s_addc_u32 s14, s14, s15
	s_mul_i32 s10, s12, s14
	s_mul_hi_u32 s11, s12, s16
	s_add_i32 s10, s11, s10
	s_mul_i32 s13, s13, s16
	s_add_i32 s10, s10, s13
	s_mul_i32 s12, s12, s16
	s_mul_hi_u32 s13, s14, s12
	s_mul_i32 s15, s14, s12
	s_mul_i32 s18, s16, s10
	s_mul_hi_u32 s12, s16, s12
	s_mul_hi_u32 s17, s16, s10
	s_add_u32 s12, s12, s18
	s_addc_u32 s17, 0, s17
	s_add_u32 s12, s12, s15
	s_mul_hi_u32 s11, s14, s10
	s_addc_u32 s12, s17, s13
	s_addc_u32 s11, s11, 0
	s_mul_i32 s10, s14, s10
	s_add_u32 s10, s12, s10
	s_addc_u32 s12, 0, s11
	s_add_u32 s15, s16, s10
	s_cselect_b64 s[10:11], -1, 0
	s_cmp_lg_u64 s[10:11], 0
	s_addc_u32 s14, s14, s12
	s_ashr_i32 s10, s7, 31
	s_add_u32 s12, s6, s10
	s_mov_b32 s11, s10
	s_addc_u32 s13, s7, s10
	s_xor_b64 s[12:13], s[12:13], s[10:11]
	s_mul_i32 s16, s12, s14
	s_mul_hi_u32 s17, s12, s15
	s_mul_hi_u32 s7, s12, s14
	s_add_u32 s16, s17, s16
	s_addc_u32 s7, 0, s7
	s_mul_hi_u32 s18, s13, s15
	s_mul_i32 s15, s13, s15
	s_add_u32 s15, s16, s15
	s_mul_hi_u32 s17, s13, s14
	s_addc_u32 s7, s7, s18
	s_addc_u32 s15, s17, 0
	s_mul_i32 s14, s13, s14
	s_add_u32 s7, s7, s14
	s_addc_u32 s18, 0, s15
	s_mul_i32 s14, s8, s18
	s_mul_hi_u32 s15, s8, s7
	s_add_i32 s14, s15, s14
	s_mul_i32 s15, s9, s7
	s_add_i32 s19, s14, s15
	s_sub_i32 s16, s13, s19
	s_mul_i32 s14, s8, s7
	s_sub_u32 s12, s12, s14
	s_cselect_b64 s[14:15], -1, 0
	s_cmp_lg_u64 s[14:15], 0
	s_subb_u32 s20, s16, s9
	s_sub_u32 s21, s12, s8
	s_cselect_b64 s[16:17], -1, 0
	s_cmp_lg_u64 s[16:17], 0
	s_subb_u32 s16, s20, 0
	s_cmp_ge_u32 s16, s9
	s_cselect_b32 s17, -1, 0
	s_cmp_ge_u32 s21, s8
	s_cselect_b32 s20, -1, 0
	s_cmp_eq_u32 s16, s9
	s_cselect_b32 s16, s20, s17
	s_add_u32 s17, s7, 1
	s_addc_u32 s20, s18, 0
	s_add_u32 s21, s7, 2
	s_addc_u32 s22, s18, 0
	s_cmp_lg_u32 s16, 0
	s_cselect_b32 s16, s21, s17
	s_cselect_b32 s17, s22, s20
	s_cmp_lg_u64 s[14:15], 0
	s_subb_u32 s13, s13, s19
	s_cmp_ge_u32 s13, s9
	s_cselect_b32 s14, -1, 0
	s_cmp_ge_u32 s12, s8
	s_cselect_b32 s8, -1, 0
	s_cmp_eq_u32 s13, s9
	s_cselect_b32 s8, s8, s14
	s_cmp_lg_u32 s8, 0
	s_cselect_b32 s9, s17, s18
	s_cselect_b32 s8, s16, s7
	s_xor_b64 s[10:11], s[10:11], 0
	s_xor_b64 s[8:9], s[8:9], s[10:11]
	s_sub_u32 s52, s8, s10
	s_branch .LBB9_3
.LBB9_2:
	s_mov_b64 s[4:5], -1
                                        ; implicit-def: $sgpr52_sgpr53
.LBB9_3:
	s_load_dwordx2 s[8:9], s[0:1], 0x74
	v_cvt_f32_u32_e32 v1, s24
	s_andn2_b64 vcc, exec, s[4:5]
	s_waitcnt lgkmcnt(0)
	v_writelane_b32 v181, s8, 4
	s_nop 1
	v_writelane_b32 v181, s9, 5
	s_cbranch_vccnz .LBB9_5
; %bb.4:
	v_rcp_iflag_f32_e32 v2, v1
	s_sub_i32 s4, 0, s24
	v_mul_f32_e32 v2, 0x4f7ffffe, v2
	v_cvt_u32_f32_e32 v2, v2
	s_nop 0
	v_readfirstlane_b32 s5, v2
	s_mul_i32 s4, s4, s5
	s_mul_hi_u32 s4, s5, s4
	s_add_i32 s5, s5, s4
	s_mul_hi_u32 s4, s6, s5
	s_mul_i32 s7, s4, s24
	s_sub_i32 s6, s6, s7
	s_add_i32 s5, s4, 1
	s_sub_i32 s7, s6, s24
	s_cmp_ge_u32 s6, s24
	s_cselect_b32 s4, s5, s4
	s_cselect_b32 s6, s7, s6
	s_add_i32 s5, s4, 1
	s_cmp_ge_u32 s6, s24
	s_cselect_b32 s52, s5, s4
.LBB9_5:
	s_add_i32 s4, s23, 1
	s_mul_i32 s3, s3, s4
	s_mul_hi_u32 s5, s2, s4
	s_add_i32 s9, s5, s3
	s_mov_b32 s8, 0
	s_cmp_lg_u64 s[8:9], 0
	s_mul_i32 s2, s2, s4
	s_cbranch_scc0 .LBB9_7
; %bb.6:
	s_add_u32 s4, s24, 0
	s_addc_u32 s5, 0, 0
	s_xor_b64 s[6:7], s[4:5], 0
	v_cvt_f32_u32_e32 v2, s6
	v_cvt_f32_u32_e32 v3, s7
	s_sub_u32 s3, 0, s6
	s_subb_u32 s8, 0, s7
	s_mov_b64 s[4:5], 0
	v_fmamk_f32 v2, v3, 0x4f800000, v2
	v_rcp_f32_e32 v2, v2
	s_nop 0
	v_mul_f32_e32 v2, 0x5f7ffffc, v2
	v_mul_f32_e32 v3, 0x2f800000, v2
	v_trunc_f32_e32 v3, v3
	v_fmamk_f32 v2, v3, 0xcf800000, v2
	v_cvt_u32_f32_e32 v3, v3
	v_cvt_u32_f32_e32 v2, v2
	v_readfirstlane_b32 s12, v3
	v_readfirstlane_b32 s10, v2
	s_mul_i32 s11, s3, s12
	s_mul_hi_u32 s14, s3, s10
	s_mul_i32 s13, s8, s10
	s_add_i32 s11, s14, s11
	s_add_i32 s11, s11, s13
	s_mul_i32 s15, s3, s10
	s_mul_i32 s14, s10, s11
	s_mul_hi_u32 s16, s10, s15
	s_mul_hi_u32 s13, s10, s11
	s_add_u32 s14, s16, s14
	s_addc_u32 s13, 0, s13
	s_mul_hi_u32 s17, s12, s15
	s_mul_i32 s15, s12, s15
	s_add_u32 s14, s14, s15
	s_mul_hi_u32 s16, s12, s11
	s_addc_u32 s13, s13, s17
	s_addc_u32 s14, s16, 0
	s_mul_i32 s11, s12, s11
	s_add_u32 s11, s13, s11
	s_addc_u32 s13, 0, s14
	s_add_u32 s14, s10, s11
	s_cselect_b64 s[10:11], -1, 0
	s_cmp_lg_u64 s[10:11], 0
	s_addc_u32 s12, s12, s13
	s_mul_i32 s10, s3, s12
	s_mul_hi_u32 s11, s3, s14
	s_add_i32 s10, s11, s10
	s_mul_i32 s8, s8, s14
	s_add_i32 s10, s10, s8
	s_mul_i32 s3, s3, s14
	s_mul_hi_u32 s11, s12, s3
	s_mul_i32 s13, s12, s3
	s_mul_i32 s16, s14, s10
	s_mul_hi_u32 s3, s14, s3
	s_mul_hi_u32 s15, s14, s10
	s_add_u32 s3, s3, s16
	s_addc_u32 s15, 0, s15
	s_add_u32 s3, s3, s13
	s_mul_hi_u32 s8, s12, s10
	s_addc_u32 s3, s15, s11
	s_addc_u32 s8, s8, 0
	s_mul_i32 s10, s12, s10
	s_add_u32 s3, s3, s10
	s_addc_u32 s8, 0, s8
	s_add_u32 s3, s14, s3
	s_cselect_b64 s[10:11], -1, 0
	s_cmp_lg_u64 s[10:11], 0
	s_addc_u32 s12, s12, s8
	s_ashr_i32 s10, s9, 31
	s_add_u32 s8, s2, s10
	s_mov_b32 s11, s10
	s_addc_u32 s9, s9, s10
	s_xor_b64 s[8:9], s[8:9], s[10:11]
	s_mul_i32 s14, s8, s12
	s_mul_hi_u32 s15, s8, s3
	s_mul_hi_u32 s13, s8, s12
	s_add_u32 s14, s15, s14
	s_addc_u32 s13, 0, s13
	s_mul_hi_u32 s16, s9, s3
	s_mul_i32 s3, s9, s3
	s_add_u32 s3, s14, s3
	s_mul_hi_u32 s15, s9, s12
	s_addc_u32 s3, s13, s16
	s_addc_u32 s13, s15, 0
	s_mul_i32 s12, s9, s12
	s_add_u32 s3, s3, s12
	s_addc_u32 s16, 0, s13
	s_mul_i32 s12, s6, s16
	s_mul_hi_u32 s13, s6, s3
	s_add_i32 s12, s13, s12
	s_mul_i32 s13, s7, s3
	s_add_i32 s17, s12, s13
	s_sub_i32 s14, s9, s17
	s_mul_i32 s12, s6, s3
	s_sub_u32 s8, s8, s12
	s_cselect_b64 s[12:13], -1, 0
	s_cmp_lg_u64 s[12:13], 0
	s_subb_u32 s18, s14, s7
	s_sub_u32 s19, s8, s6
	s_cselect_b64 s[14:15], -1, 0
	s_cmp_lg_u64 s[14:15], 0
	s_subb_u32 s14, s18, 0
	s_cmp_ge_u32 s14, s7
	s_cselect_b32 s15, -1, 0
	s_cmp_ge_u32 s19, s6
	s_cselect_b32 s18, -1, 0
	s_cmp_eq_u32 s14, s7
	s_cselect_b32 s14, s18, s15
	s_add_u32 s15, s3, 1
	s_addc_u32 s18, s16, 0
	s_add_u32 s19, s3, 2
	s_addc_u32 s20, s16, 0
	s_cmp_lg_u32 s14, 0
	s_cselect_b32 s14, s19, s15
	s_cselect_b32 s15, s20, s18
	s_cmp_lg_u64 s[12:13], 0
	s_subb_u32 s9, s9, s17
	s_cmp_ge_u32 s9, s7
	s_cselect_b32 s12, -1, 0
	s_cmp_ge_u32 s8, s6
	s_cselect_b32 s6, -1, 0
	s_cmp_eq_u32 s9, s7
	s_cselect_b32 s6, s6, s12
	s_cmp_lg_u32 s6, 0
	s_cselect_b32 s7, s15, s16
	s_cselect_b32 s6, s14, s3
	s_xor_b64 s[8:9], s[10:11], 0
	s_xor_b64 s[6:7], s[6:7], s[8:9]
	s_sub_u32 s56, s6, s8
	s_branch .LBB9_8
.LBB9_7:
	s_mov_b64 s[4:5], -1
                                        ; implicit-def: $sgpr56_sgpr57
.LBB9_8:
	s_load_dwordx2 s[42:43], s[0:1], 0x5c
	s_andn2_b64 vcc, exec, s[4:5]
	v_writelane_b32 v181, s23, 6
	s_cbranch_vccnz .LBB9_10
; %bb.9:
	v_rcp_iflag_f32_e32 v1, v1
	s_sub_i32 s3, 0, s24
	v_mul_f32_e32 v1, 0x4f7ffffe, v1
	v_cvt_u32_f32_e32 v1, v1
	s_nop 0
	v_readfirstlane_b32 s4, v1
	s_mul_i32 s3, s3, s4
	s_mul_hi_u32 s3, s4, s3
	s_add_i32 s4, s4, s3
	s_mul_hi_u32 s3, s2, s4
	s_mul_i32 s5, s3, s24
	s_sub_i32 s2, s2, s5
	s_add_i32 s4, s3, 1
	s_sub_i32 s5, s2, s24
	s_cmp_ge_u32 s2, s24
	s_cselect_b32 s3, s4, s3
	s_cselect_b32 s2, s5, s2
	s_add_i32 s4, s3, 1
	s_cmp_ge_u32 s2, s24
	s_cselect_b32 s56, s4, s3
.LBB9_10:
	s_abs_i32 s65, s64
	v_cvt_f32_u32_e32 v1, s65
	v_writelane_b32 v181, s24, 7
	s_load_dwordx16 s[12:27], s[0:1], 0x0
	s_load_dword s4, s[0:1], 0x40
	s_load_dwordx2 s[2:3], s[0:1], 0x8c
	s_load_dwordx4 s[36:39], s[0:1], 0x98
	s_load_dwordx2 s[44:45], s[0:1], 0xa8
	s_load_dwordx2 s[8:9], s[0:1], 0xb8
	;; [unrolled: 1-line block ×3, first 2 shown]
	v_readlane_b32 s0, v181, 4
	v_rcp_iflag_f32_e32 v1, v1
	v_readlane_b32 s1, v181, 5
	s_waitcnt lgkmcnt(0)
	s_mov_b32 s1, s3
	s_ashr_i32 s34, s2, 2
	v_mul_f32_e32 v1, 0x4f7ffffe, v1
	v_cvt_u32_f32_e32 v1, v1
	s_sub_i32 s2, 0, s65
	s_ashr_i32 s50, s0, 3
	v_writelane_b32 v181, s0, 8
	v_readfirstlane_b32 s3, v1
	s_mul_i32 s2, s2, s3
	v_writelane_b32 v181, s1, 9
	s_ashr_i32 s1, s64, 31
	s_mul_hi_u32 s2, s3, s2
	v_writelane_b32 v181, s1, 10
	s_abs_i32 s1, s52
	s_add_i32 s51, s3, s2
	s_mul_hi_u32 s2, s1, s51
	s_mul_i32 s2, s2, s65
	s_sub_i32 s1, s1, s2
	s_ashr_i32 s53, s31, 3
	s_ashr_i32 s48, s9, 1
	;; [unrolled: 1-line block ×4, first 2 shown]
	s_sub_i32 s2, s1, s65
	s_cmp_ge_u32 s1, s65
	s_cselect_b32 s1, s2, s1
	s_sub_i32 s2, s1, s65
	s_cmp_ge_u32 s1, s65
	s_cselect_b32 s1, s2, s1
	s_xor_b32 s1, s1, s0
	s_sub_i32 s84, s1, s0
	s_sub_i32 s0, s56, s52
	s_add_i32 s2, s0, s84
	s_min_i32 s10, s64, s2
	s_cmp_gt_i32 s56, s52
	s_cselect_b64 s[6:7], -1, 0
	s_cmp_le_i32 s56, s52
	s_cselect_b64 s[0:1], -1, 0
	s_cmp_gt_i32 s64, s2
	v_cvt_f16_f32_e32 v1, s4
	s_cselect_b64 s[2:3], -1, 0
	s_or_b64 s[0:1], s[2:3], s[0:1]
	v_bfe_u32 v2, v0, 5, 5
	v_bfe_u32 v63, v0, 10, 10
	s_mov_b32 s59, 0
	s_and_b64 vcc, exec, s[0:1]
	v_lshl_add_u32 v27, v63, 1, v2
	v_and_b32_e32 v26, 31, v0
	v_lshlrev_b32_e32 v41, 4, v63
	v_mbcnt_lo_u32_b32 v61, -1, 0
	v_writelane_b32 v181, s50, 11
	s_cbranch_vccnz .LBB9_227
; %bb.11:
	v_bfe_u32 v2, v0, 3, 7
	v_and_b32_e32 v4, 0x3ff, v0
	v_and_b32_e32 v5, 15, v0
	v_lshlrev_b32_e32 v7, 2, v2
	v_lshlrev_b32_e32 v9, 1, v4
	v_lshl_add_u32 v3, v63, 3, v2
	s_movk_i32 s6, 0xb0
	v_mul_u32_u24_e32 v6, 0xb0, v5
	v_and_b32_e32 v8, 0x78, v7
	v_and_b32_e32 v30, 62, v9
	v_lshlrev_b32_e32 v11, 2, v4
	v_writelane_b32 v181, s40, 14
	s_cmp_eq_u64 s[20:21], 0
	v_add3_u32 v29, 0, v6, v8
	v_mul_u32_u24_e32 v6, 0x90, v27
	v_bfe_u32 v9, v0, 1, 9
	v_and_b32_e32 v34, 28, v11
	v_lshlrev_b32_e32 v13, 1, v30
	v_mad_u32_u24 v65, v3, s6, 0
	v_writelane_b32 v181, s41, 15
	s_cselect_b64 s[0:1], -1, 0
	v_lshl_add_u32 v10, v63, 5, v9
	v_add3_u32 v35, 0, v6, v13
	v_lshlrev_b32_e32 v6, 2, v34
	v_add_u32_e32 v101, 0x1600, v65
	v_and_b32_e32 v40, 4, v11
	v_writelane_b32 v181, s0, 16
	s_cmp_lg_u64 s[22:23], 0
	v_add_u32_e32 v100, v65, v6
	v_add_u32_e32 v102, v101, v6
	v_mad_u32_u24 v6, v10, s6, 0
	v_lshlrev_b32_e32 v11, 2, v40
	s_movk_i32 s3, 0x80
	v_writelane_b32 v181, s1, 17
	s_cselect_b64 s[0:1], -1, 0
	v_add3_u32 v103, v6, v11, s3
	v_and_or_b32 v6, v0, 8, v41
	v_writelane_b32 v181, s0, 18
	s_movk_i32 s2, 0x90
	v_lshrrev_b32_e32 v6, 3, v6
	v_writelane_b32 v181, s1, 19
	v_mad_u32_u24 v6, v6, s2, 0
	v_cmp_gt_u32_e64 s[2:3], 16, v4
	s_ashr_i32 s49, s48, 31
	s_ashr_i32 s35, s34, 31
	v_writelane_b32 v181, s2, 20
	v_and_b32_e32 v9, 0x78, v9
	v_or_b32_e32 v7, 4, v7
	v_writelane_b32 v181, s3, 21
	s_ashr_i32 s31, s30, 31
	v_readlane_b32 s2, v181, 6
	s_lshl_b32 s58, s2, 6
	v_lshlrev_b32_e32 v2, 1, v2
	s_lshl_b64 s[2:3], s[58:59], 3
	v_add_u32_e32 v104, v6, v9
	v_add_u32_e32 v105, v6, v7
	v_or_b32_e32 v6, 3, v2
	s_add_u32 s2, s26, s2
	v_readlane_b32 s38, v181, 3
	v_mul_u32_u24_e32 v6, 0xb0, v6
	v_lshlrev_b32_e32 v9, 1, v5
	s_addc_u32 s3, s27, s3
	s_abs_i32 s57, s38
	v_or_b32_e32 v7, 2, v2
	v_and_b32_e32 v2, 60, v2
	v_add3_u32 v108, 0, v6, v9
	v_cvt_f32_u32_e32 v6, s57
	v_mul_u32_u24_e32 v2, 0xb0, v2
	v_add3_u32 v106, 0, v2, v9
	v_or_b32_e32 v2, v41, v4
	v_mov_b32_e32 v33, 0
	v_lshlrev_b32_e32 v32, 3, v2
	v_readlane_b32 s41, v181, 2
	v_readlane_b32 s40, v181, 1
	v_mul_u32_u24_e32 v7, 0xb0, v7
	v_lshl_add_u64 v[50:51], s[2:3], 0, v[32:33]
	v_rcp_iflag_f32_e32 v6, v6
	s_abs_i32 s3, s41
	s_abs_i32 s2, s40
	v_cmp_gt_u32_e64 s[0:1], 64, v10
	v_mul_lo_u32 v42, s34, v10
	v_mul_lo_u32 v44, s30, v10
	v_add3_u32 v107, 0, v7, v9
	v_cvt_f32_u32_e32 v9, s3
	v_cvt_f32_u32_e32 v10, s2
	v_or_b32_e32 v2, v41, v5
	v_mul_u32_u24_e32 v2, 0xb0, v2
	v_add3_u32 v109, 0, v2, v8
	v_add_u32_e32 v8, 40, v27
	v_mul_f32_e32 v6, 0x4f7ffffe, v6
	v_cvt_u32_f32_e32 v6, v6
	v_rcp_iflag_f32_e32 v9, v9
	v_lshrrev_b32_e32 v114, 3, v8
	v_rcp_iflag_f32_e32 v8, v10
	s_mov_b32 s54, s8
	v_writelane_b32 v181, s54, 22
	s_ashr_i32 s38, s38, 31
	v_readfirstlane_b32 s7, v6
	v_writelane_b32 v181, s55, 23
	v_mul_f32_e32 v6, 0x4f7ffffe, v9
	v_mul_f32_e32 v8, 0x4f7ffffe, v8
	s_abs_i32 s54, s8
	v_writelane_b32 v181, s38, 24
	s_sub_i32 s38, 0, s57
	v_cvt_u32_f32_e32 v6, v6
	v_cvt_u32_f32_e32 v8, v8
	v_cvt_f32_u32_e32 v9, s54
	s_mul_i32 s38, s38, s7
	s_mul_hi_u32 s38, s7, s38
	s_add_i32 s7, s7, s38
	v_writelane_b32 v181, s7, 25
	s_ashr_i32 s7, s41, 31
	v_readfirstlane_b32 s8, v6
	v_readfirstlane_b32 s9, v8
	v_rcp_iflag_f32_e32 v8, v9
	v_writelane_b32 v181, s7, 26
	s_sub_i32 s7, 0, s3
	s_mul_i32 s7, s7, s8
	s_mul_hi_u32 s7, s8, s7
	s_add_i32 s7, s8, s7
	v_mul_f32_e32 v8, 0x4f7ffffe, v8
	v_writelane_b32 v181, s7, 27
	s_ashr_i32 s7, s40, 31
	v_cvt_u32_f32_e32 v8, v8
	v_writelane_b32 v181, s7, 28
	s_sub_i32 s7, 0, s2
	v_add_u32_e32 v2, v41, v4
	s_mul_i32 s7, s7, s9
	v_mul_u32_u24_e32 v5, 0xb0, v2
	v_add_u32_e32 v2, 8, v27
	v_add_u32_e32 v7, 24, v27
	s_mul_hi_u32 s7, s9, s7
	v_lshrrev_b32_e32 v110, 3, v2
	v_add_u32_e32 v2, 16, v27
	v_lshrrev_b32_e32 v112, 3, v7
	v_add_u32_e32 v7, 32, v27
	v_add_u32_e32 v6, 48, v27
	v_and_b32_e32 v9, 15, v27
	s_movk_i32 s11, 0x7f0
	s_add_i32 s7, s9, s7
	v_and_b32_e32 v28, 7, v0
	v_lshrrev_b32_e32 v111, 3, v2
	v_lshrrev_b32_e32 v113, 3, v7
	v_and_or_b32 v2, v2, s11, v9
	v_and_or_b32 v7, v7, s11, v9
	v_and_or_b32 v9, v6, s11, v9
	v_lshrrev_b32_e32 v115, 3, v6
	v_readfirstlane_b32 s11, v8
	v_and_b32_e32 v6, 1, v0
	v_writelane_b32 v181, s7, 29
	s_sub_i32 s7, 0, s54
	v_mul_u32_u24_e32 v31, 0xb0, v3
	v_mul_lo_u32 v36, s34, v3
	v_add_u32_e32 v12, 32, v3
	v_mul_lo_u32 v48, s30, v3
	v_lshlrev_b32_e32 v32, 4, v6
	v_add_u32_e32 v6, 56, v27
	v_lshrrev_b32_e32 v117, 3, v3
	v_lshlrev_b32_e32 v3, 2, v28
	s_mul_i32 s7, s7, s11
	v_mad_u32_u24 v126, v27, s6, 0
	v_ashrrev_i32_e32 v45, 31, v44
	v_lshrrev_b32_e32 v116, 3, v6
	v_add_u32_e32 v119, 0, v3
	v_add_u32_e32 v120, v65, v3
	;; [unrolled: 1-line block ×3, first 2 shown]
	v_mul_u32_u24_e32 v6, 0xb0, v2
	v_mad_u32_u24 v122, v2, s6, 0
	v_mad_u32_u24 v123, v7, s6, 0
	;; [unrolled: 1-line block ×3, first 2 shown]
	s_mul_hi_u32 s7, s11, s7
	v_lshlrev_b32_e32 v2, 2, v26
	v_mov_b32_e32 v3, v33
	v_add_u32_e32 v128, 0x580, v126
	v_add_u32_e32 v131, 0x1080, v126
	;; [unrolled: 1-line block ×4, first 2 shown]
	s_add_i32 s7, s11, s7
	v_add_u32_e32 v125, 0, v2
	v_add_u32_e32 v127, v126, v2
	;; [unrolled: 1-line block ×9, first 2 shown]
	v_lshl_add_u64 v[52:53], s[18:19], 0, v[2:3]
	v_lshl_add_u64 v[2:3], v[44:45], 2, v[32:33]
	v_ashrrev_i32_e32 v43, 31, v42
	v_writelane_b32 v181, s7, 30
	s_mov_b32 s6, s48
	v_lshl_add_u64 v[2:3], s[16:17], 0, v[2:3]
	s_mov_b64 s[66:67], 0x80
	v_writelane_b32 v181, s6, 12
	v_lshl_add_u64 v[54:55], v[2:3], 0, s[66:67]
	v_lshl_add_u64 v[2:3], v[42:43], 2, v[32:33]
	v_lshl_add_u32 v38, s34, 5, v36
	v_mul_lo_u32 v46, s30, v12
	v_writelane_b32 v181, s7, 13
	s_lshl_b64 s[6:7], s[48:49], 1
	v_lshl_add_u64 v[2:3], s[14:15], 0, v[2:3]
	v_bfe_u32 v60, v4, 3, 3
	s_mov_b32 s4, 0x10001
	s_movk_i32 s5, 0xb00
	v_ashrrev_i32_e32 v37, 31, v36
	v_ashrrev_i32_e32 v39, 31, v38
	;; [unrolled: 1-line block ×4, first 2 shown]
	v_mul_u32_u24_e32 v8, 0xb0, v7
	v_mul_u32_u24_e32 v7, 0xb0, v9
	v_writelane_b32 v181, s6, 31
	v_lshl_add_u64 v[58:59], v[2:3], 0, s[66:67]
	v_mul_lo_u32 v2, s50, v60
	v_and_b32_e32 v64, 7, v27
	v_lshrrev_b32_e32 v118, 3, v12
	v_writelane_b32 v181, s7, 32
	s_lshl_b64 s[68:69], s[30:31], 8
	v_lshlrev_b32_e32 v56, 4, v28
	v_mov_b32_e32 v57, v33
	s_lshl_b64 s[70:71], s[34:35], 8
	s_mov_b32 s41, 0x3fb8aa3b
	s_mov_b32 s63, 0xc2ce8ed0
	;; [unrolled: 1-line block ×5, first 2 shown]
	v_add_u32_e32 v139, v125, v6
	v_add_u32_e32 v140, v125, v8
	;; [unrolled: 1-line block ×4, first 2 shown]
	v_mul_lo_u32 v143, v1, s4
	v_add3_u32 v62, v2, v28, 32
	v_mad_u32_u24 v144, v63, s5, v29
	v_add_u32_e32 v145, 32, v104
	v_add_u32_e32 v146, 64, v104
	v_add_u32_e32 v147, 0x60, v104
	v_lshrrev_b32_e32 v148, 3, v27
	v_mul_u32_u24_e32 v149, 0xb0, v27
	v_mbcnt_hi_u32_b32 v150, -1, v61
	v_mov_b32_e32 v151, 0x7f800000
	v_mad_u64_u32 v[66:67], s[4:5], v64, s50, v[26:27]
	v_lshl_add_u64 v[68:69], v[48:49], 2, s[16:17]
	v_lshl_add_u64 v[70:71], v[46:47], 2, s[16:17]
	v_lshl_add_u64 v[72:73], v[36:37], 2, s[14:15]
	v_lshl_add_u64 v[74:75], v[38:39], 2, s[14:15]
	v_writelane_b32 v181, s51, 33
	s_branch .LBB9_13
.LBB9_12:                               ;   in Loop: Header=BB9_13 Depth=1
	s_or_b64 exec, exec, s[6:7]
	s_add_i32 s4, s52, s64
	s_abs_i32 s6, s4
	v_readlane_b32 s51, v181, 33
	s_mul_hi_u32 s7, s6, s51
	s_mul_i32 s7, s7, s65
	s_sub_i32 s6, s6, s7
	s_ashr_i32 s5, s4, 31
	s_sub_i32 s7, s6, s65
	s_cmp_ge_u32 s6, s65
	s_cselect_b32 s6, s7, s6
	s_sub_i32 s7, s6, s65
	s_cmp_ge_u32 s6, s65
	s_cselect_b32 s6, s7, s6
	s_xor_b32 s6, s6, s5
	s_sub_i32 s5, s5, s6
	s_add_i32 s52, s4, s5
	s_sub_i32 s4, s56, s52
	s_min_i32 s10, s64, s4
	s_cmp_gt_i32 s56, s52
	s_cselect_b64 s[6:7], -1, 0
	s_cmp_le_i32 s64, s4
	s_cselect_b64 s[4:5], -1, 0
	s_and_b64 s[4:5], s[4:5], s[6:7]
	s_mov_b32 s84, 0
	s_and_b64 vcc, exec, s[4:5]
	s_cbranch_vccz .LBB9_229
.LBB9_13:                               ; =>This Loop Header: Depth=1
                                        ;     Child Loop BB9_58 Depth 2
                                        ;     Child Loop BB9_164 Depth 2
	s_ashr_i32 s4, s52, 31
	v_readlane_b32 s5, v181, 24
	s_xor_b32 s4, s4, s5
	s_abs_i32 s5, s52
	v_readlane_b32 s6, v181, 25
	s_mul_hi_u32 s6, s5, s6
	s_mul_i32 s7, s6, s57
	s_sub_i32 s5, s5, s7
	s_add_i32 s7, s6, 1
	s_sub_i32 s8, s5, s57
	s_cmp_ge_u32 s5, s57
	s_cselect_b32 s6, s7, s6
	s_cselect_b32 s5, s8, s5
	s_add_i32 s7, s6, 1
	s_cmp_ge_u32 s5, s57
	s_cselect_b32 s5, s7, s6
	s_xor_b32 s5, s5, s4
	s_sub_i32 s6, s5, s4
	v_readlane_b32 s4, v181, 3
	s_mul_i32 s4, s6, s4
	s_sub_i32 s4, s52, s4
	s_ashr_i32 s5, s4, 31
	v_readlane_b32 s7, v181, 26
	s_xor_b32 s5, s5, s7
	s_abs_i32 s7, s4
	v_readlane_b32 s8, v181, 27
	s_mul_hi_u32 s8, s7, s8
	s_mul_i32 s9, s8, s3
	s_sub_i32 s7, s7, s9
	s_add_i32 s9, s8, 1
	s_sub_i32 s11, s7, s3
	s_cmp_ge_u32 s7, s3
	s_cselect_b32 s8, s9, s8
	s_cselect_b32 s7, s11, s7
	s_add_i32 s9, s8, 1
	s_cmp_ge_u32 s7, s3
	s_cselect_b32 s7, s9, s8
	s_xor_b32 s7, s7, s5
	s_sub_i32 s7, s7, s5
	v_readlane_b32 s5, v181, 2
	s_mul_i32 s5, s7, s5
	s_sub_i32 s5, s4, s5
	;; [unrolled: 21-line block ×3, first 2 shown]
	s_ashr_i32 s8, s5, 31
	v_readlane_b32 s9, v181, 10
	s_abs_i32 s5, s5
	s_xor_b32 s8, s8, s9
	s_mul_hi_u32 s9, s5, s51
	s_mul_i32 s11, s9, s65
	s_sub_i32 s5, s5, s11
	s_add_i32 s11, s9, 1
	s_sub_i32 s38, s5, s65
	s_cmp_ge_u32 s5, s65
	s_cselect_b32 s9, s11, s9
	s_cselect_b32 s5, s38, s5
	s_add_i32 s11, s9, 1
	s_cmp_ge_u32 s5, s65
	s_cselect_b32 s5, s11, s9
	v_readlane_b32 s48, v181, 18
	s_xor_b32 s5, s5, s8
	v_readlane_b32 s49, v181, 19
	s_andn2_b64 vcc, exec, s[48:49]
	s_sub_i32 s90, s5, s8
	s_cbranch_vccnz .LBB9_15
; %bb.14:                               ;   in Loop: Header=BB9_13 Depth=1
	v_readlane_b32 s5, v181, 0
	s_mul_i32 s5, s6, s5
	s_add_i32 s8, s90, s5
	s_ashr_i32 s9, s8, 31
	s_lshl_b64 s[8:9], s[8:9], 2
	s_add_u32 s8, s22, s8
	s_addc_u32 s9, s23, s9
	global_load_dword v2, v33, s[8:9]
	s_waitcnt vmcnt(0)
	v_readfirstlane_b32 s5, v2
	s_ashr_i32 s8, s5, 31
	s_lshr_b32 s8, s8, 26
	s_add_i32 s5, s5, s8
	s_ashr_i32 s5, s5, 6
	s_min_i32 s10, s10, s5
.LBB9_15:                               ;   in Loop: Header=BB9_13 Depth=1
	v_readlane_b32 s48, v181, 4
	v_readlane_b32 s49, v181, 5
	s_mul_i32 s5, s7, s33
	s_lshl_b32 s89, s4, 3
	s_mul_i32 s4, s6, s49
	s_add_i32 s8, s89, s5
	s_ashr_i32 s5, s4, 31
	s_add_u32 s4, s12, s4
	s_mul_i32 s9, s8, s48
	s_addc_u32 s5, s13, s5
	s_ashr_i32 s11, s9, 31
	s_add_u32 s78, s4, s9
	s_addc_u32 s79, s5, s11
	s_ashr_i32 s9, s6, 31
	s_mul_hi_u32 s4, s36, s6
	s_mul_i32 s5, s36, s9
	s_add_i32 s4, s4, s5
	s_mul_i32 s5, s37, s6
	v_readlane_b32 s48, v181, 8
	s_add_i32 s11, s4, s5
	s_mul_i32 s55, s36, s6
	v_readlane_b32 s49, v181, 9
	s_add_u32 s4, s14, s55
	s_mul_i32 s40, s7, s49
	s_addc_u32 s38, s15, s11
	s_ashr_i32 s50, s40, 31
	s_add_u32 s5, s4, s40
	s_addc_u32 s4, s38, s50
	s_abs_i32 s38, s6
	v_readlane_b32 s48, v181, 30
	s_mul_hi_u32 s48, s38, s48
	s_mul_i32 s48, s48, s54
	s_sub_i32 s38, s38, s48
	s_sub_i32 s48, s38, s54
	s_cmp_ge_u32 s38, s54
	s_cselect_b32 s38, s48, s38
	s_sub_i32 s48, s38, s54
	s_cmp_ge_u32 s38, s54
	s_cselect_b32 s38, s48, s38
	s_xor_b32 s38, s38, s9
	s_sub_i32 s38, s38, s9
	s_ashr_i32 s48, s38, 31
	s_mul_i32 s48, s46, s48
	s_mul_hi_u32 s49, s46, s38
	s_add_i32 s48, s49, s48
	s_mul_i32 s49, s47, s38
	s_add_i32 s81, s48, s49
	s_mul_i32 s80, s46, s38
	s_mul_i32 s38, s28, s29
	s_add_u32 s76, s18, s80
	s_mul_i32 s38, s38, s6
	s_addc_u32 s77, s19, s81
	s_add_i32 s38, s8, s38
	s_mul_i32 s58, s38, 40
	s_lshl_b64 s[48:49], s[58:59], 3
	s_add_u32 s72, s24, s48
	s_mul_hi_u32 s38, s44, s6
	s_mul_i32 s9, s44, s9
	s_addc_u32 s73, s25, s49
	s_add_i32 s9, s38, s9
	s_mul_i32 s38, s45, s6
	s_add_i32 s51, s9, s38
	s_mul_i32 s58, s44, s6
	s_add_u32 s6, s16, s58
	s_mul_i32 s48, s7, s39
	s_addc_u32 s9, s17, s51
	s_ashr_i32 s88, s48, 31
	s_add_u32 s38, s6, s48
	s_addc_u32 s49, s9, s88
	s_ashr_i32 s9, s8, 31
	s_lshl_b64 s[6:7], s[8:9], 2
	s_add_u32 s8, s20, s6
	s_addc_u32 s9, s21, s7
	v_readlane_b32 s6, v181, 16
	v_readlane_b32 s7, v181, 17
	s_and_b64 s[6:7], s[6:7], exec
	s_cselect_b32 s75, 0, s9
	s_cselect_b32 s74, 0, s8
	s_cmp_lg_u32 s84, 0
	v_or_b32_e32 v90, s89, v64
	s_cbranch_scc0 .LBB9_64
; %bb.16:                               ;   in Loop: Header=BB9_13 Depth=1
	s_lshl_b32 s82, s90, 3
	v_add_u32_e32 v152, s82, v148
	v_cmp_le_i32_e64 s[6:7], s28, v152
	v_cmp_le_i32_e64 s[8:9], s33, v90
	v_cmp_gt_i32_e32 vcc, s33, v90
	s_or_b64 s[6:7], s[6:7], s[8:9]
	s_and_saveexec_b64 s[8:9], s[6:7]
	s_xor_b64 s[6:7], exec, s[8:9]
; %bb.17:                               ;   in Loop: Header=BB9_13 Depth=1
	v_add_u32_e32 v2, v125, v149
	ds_write_b32 v2, v33
; %bb.18:                               ;   in Loop: Header=BB9_13 Depth=1
	s_andn2_saveexec_b64 s[6:7], s[6:7]
	s_cbranch_execz .LBB9_20
; %bb.19:                               ;   in Loop: Header=BB9_13 Depth=1
	v_mad_u64_u32 v[2:3], s[8:9], v152, s53, v[66:67]
	v_ashrrev_i32_e32 v3, 31, v2
	v_lshl_add_u64 v[2:3], v[2:3], 3, s[78:79]
	global_load_dwordx2 v[2:3], v[2:3], off
	s_waitcnt vmcnt(0)
	v_cvt_pk_f16_f32 v2, v2, v3
	v_pk_mul_f16 v2, v2, v143
	v_add_u32_e32 v3, v125, v149
	ds_write_b32 v3, v2
.LBB9_20:                               ;   in Loop: Header=BB9_13 Depth=1
	s_or_b64 exec, exec, s[6:7]
	v_add_u32_e32 v99, s82, v110
	v_cmp_le_i32_e64 s[6:7], s28, v99
	s_xor_b64 s[8:9], vcc, -1
	s_or_b64 s[6:7], s[6:7], s[8:9]
	s_and_saveexec_b64 s[86:87], s[6:7]
	s_xor_b64 s[6:7], exec, s[86:87]
; %bb.21:                               ;   in Loop: Header=BB9_13 Depth=1
	v_add_u32_e32 v2, v125, v149
	ds_write_b32 v2, v33 offset:1408
; %bb.22:                               ;   in Loop: Header=BB9_13 Depth=1
	s_andn2_saveexec_b64 s[6:7], s[6:7]
	s_cbranch_execz .LBB9_24
; %bb.23:                               ;   in Loop: Header=BB9_13 Depth=1
	v_mad_u64_u32 v[2:3], s[86:87], v99, s53, v[66:67]
	v_ashrrev_i32_e32 v3, 31, v2
	v_lshl_add_u64 v[2:3], v[2:3], 3, s[78:79]
	global_load_dwordx2 v[2:3], v[2:3], off
	s_waitcnt vmcnt(0)
	v_cvt_pk_f16_f32 v2, v2, v3
	v_pk_mul_f16 v2, v2, v143
	v_add_u32_e32 v3, v125, v149
	ds_write_b32 v3, v2 offset:1408
.LBB9_24:                               ;   in Loop: Header=BB9_13 Depth=1
	s_or_b64 exec, exec, s[6:7]
	v_add_u32_e32 v98, s82, v111
	v_cmp_le_i32_e32 vcc, s28, v98
	s_or_b64 s[6:7], vcc, s[8:9]
	s_and_saveexec_b64 s[86:87], s[6:7]
	s_xor_b64 s[6:7], exec, s[86:87]
; %bb.25:                               ;   in Loop: Header=BB9_13 Depth=1
	v_add_u32_e32 v2, v125, v149
	ds_write_b32 v2, v33 offset:2816
; %bb.26:                               ;   in Loop: Header=BB9_13 Depth=1
	s_andn2_saveexec_b64 s[6:7], s[6:7]
	s_cbranch_execz .LBB9_28
; %bb.27:                               ;   in Loop: Header=BB9_13 Depth=1
	v_mad_u64_u32 v[2:3], s[86:87], v98, s53, v[66:67]
	v_ashrrev_i32_e32 v3, 31, v2
	v_lshl_add_u64 v[2:3], v[2:3], 3, s[78:79]
	global_load_dwordx2 v[2:3], v[2:3], off
	s_waitcnt vmcnt(0)
	v_cvt_pk_f16_f32 v2, v2, v3
	v_pk_mul_f16 v2, v2, v143
	v_add_u32_e32 v3, v125, v149
	ds_write_b32 v3, v2 offset:2816
.LBB9_28:                               ;   in Loop: Header=BB9_13 Depth=1
	s_or_b64 exec, exec, s[6:7]
	v_add_u32_e32 v97, s82, v112
	v_cmp_le_i32_e32 vcc, s28, v97
	s_or_b64 s[6:7], vcc, s[8:9]
	;; [unrolled: 23-line block ×6, first 2 shown]
	s_and_saveexec_b64 s[8:9], s[6:7]
	s_xor_b64 s[6:7], exec, s[8:9]
; %bb.45:                               ;   in Loop: Header=BB9_13 Depth=1
	v_add_u32_e32 v2, v125, v149
	ds_write_b32 v2, v33 offset:9856
; %bb.46:                               ;   in Loop: Header=BB9_13 Depth=1
	s_andn2_saveexec_b64 s[6:7], s[6:7]
	s_cbranch_execz .LBB9_48
; %bb.47:                               ;   in Loop: Header=BB9_13 Depth=1
	v_mad_u64_u32 v[2:3], s[8:9], v92, s53, v[66:67]
	v_ashrrev_i32_e32 v3, 31, v2
	v_lshl_add_u64 v[2:3], v[2:3], 3, s[78:79]
	global_load_dwordx2 v[2:3], v[2:3], off
	s_waitcnt vmcnt(0)
	v_cvt_pk_f16_f32 v2, v2, v3
	v_pk_mul_f16 v2, v2, v143
	v_add_u32_e32 v3, v125, v149
	ds_write_b32 v3, v2 offset:9856
.LBB9_48:                               ;   in Loop: Header=BB9_13 Depth=1
	s_or_b64 exec, exec, s[6:7]
	v_or_b32_e32 v93, s89, v60
	v_add_u32_e32 v91, s82, v117
	v_cmp_le_i32_e64 s[6:7], s33, v93
	v_cmp_le_i32_e64 s[8:9], s28, v91
	v_cmp_gt_i32_e32 vcc, s33, v93
	s_or_b64 s[6:7], s[8:9], s[6:7]
	s_and_saveexec_b64 s[8:9], s[6:7]
	s_xor_b64 s[6:7], exec, s[8:9]
; %bb.49:                               ;   in Loop: Header=BB9_13 Depth=1
	ds_write_b32 v120, v33 offset:128
; %bb.50:                               ;   in Loop: Header=BB9_13 Depth=1
	s_andn2_saveexec_b64 s[6:7], s[6:7]
	s_cbranch_execz .LBB9_52
; %bb.51:                               ;   in Loop: Header=BB9_13 Depth=1
	v_mad_u64_u32 v[2:3], s[8:9], v91, s53, v[62:63]
	v_ashrrev_i32_e32 v3, 31, v2
	v_lshl_add_u64 v[2:3], v[2:3], 3, s[78:79]
	global_load_dwordx2 v[2:3], v[2:3], off
	s_waitcnt vmcnt(0)
	v_cvt_pk_f16_f32 v2, v2, v3
	v_pk_mul_f16 v2, v2, v143
	v_add_u32_e32 v3, v119, v31
	ds_write_b32 v3, v2 offset:128
.LBB9_52:                               ;   in Loop: Header=BB9_13 Depth=1
	s_or_b64 exec, exec, s[6:7]
	v_add_u32_e32 v67, s82, v118
	v_cmp_le_i32_e64 s[6:7], s28, v67
	s_xor_b64 s[8:9], vcc, -1
	s_or_b64 s[6:7], s[6:7], s[8:9]
	s_and_saveexec_b64 s[8:9], s[6:7]
	s_xor_b64 s[6:7], exec, s[8:9]
; %bb.53:                               ;   in Loop: Header=BB9_13 Depth=1
	ds_write_b32 v121, v33 offset:128
; %bb.54:                               ;   in Loop: Header=BB9_13 Depth=1
	s_andn2_saveexec_b64 s[6:7], s[6:7]
	s_cbranch_execz .LBB9_56
; %bb.55:                               ;   in Loop: Header=BB9_13 Depth=1
	v_mad_u64_u32 v[2:3], s[8:9], v67, s53, v[62:63]
	v_ashrrev_i32_e32 v3, 31, v2
	v_lshl_add_u64 v[2:3], v[2:3], 3, s[78:79]
	global_load_dwordx2 v[2:3], v[2:3], off
	s_waitcnt vmcnt(0)
	v_cvt_pk_f16_f32 v2, v2, v3
	v_pk_mul_f16 v2, v2, v143
	v_add_u32_e32 v3, v119, v31
	ds_write_b32 v3, v2 offset:5760
.LBB9_56:                               ;   in Loop: Header=BB9_13 Depth=1
	s_or_b64 exec, exec, s[6:7]
	v_add_u32_e32 v10, s82, v27
	s_waitcnt lgkmcnt(0)
	s_barrier
	ds_read2_b64 v[6:9], v144 offset1:4
	ds_read2_b64 v[2:5], v144 offset0:8 offset1:12
	ds_read_b64 v[76:77], v144 offset:128
	v_mul_hi_u32 v11, s42, v10
	v_add_u32_e32 v11, v10, v11
	v_lshrrev_b32_e32 v11, s43, v11
	v_mul_lo_u32 v11, v11, s28
	v_readlane_b32 s6, v181, 12
	s_add_i32 s85, s10, -1
	v_sub_u32_e32 v10, v10, v11
	v_readlane_b32 s7, v181, 13
	s_cmp_ge_i32 s84, s85
	v_mad_i64_i32 v[78:79], s[6:7], v10, s6, 0
	s_waitcnt lgkmcnt(0)
	s_barrier
	s_cbranch_scc1 .LBB9_65
; %bb.57:                               ;   in Loop: Header=BB9_13 Depth=1
	v_lshl_add_u64 v[10:11], v[78:79], 1, s[76:77]
	v_lshlrev_b32_e32 v32, 1, v30
	v_lshl_add_u64 v[80:81], v[10:11], 0, v[32:33]
	v_and_b32_e32 v10, 64, v150
	v_add_u32_e32 v10, 64, v10
	v_xor_b32_e32 v11, 32, v150
	v_cmp_lt_i32_e32 vcc, v11, v10
	s_lshl_b32 s6, s84, 6
	v_mov_b32_e32 v82, 0
	v_cndmask_b32_e32 v11, v150, v11, vcc
	v_lshlrev_b32_e32 v155, 2, v11
	v_xor_b32_e32 v11, 16, v150
	v_cmp_lt_i32_e32 vcc, v11, v10
	v_mov_b32_e32 v21, 0xfeffffff
	v_mov_b32_e32 v14, 0
	v_cndmask_b32_e32 v10, v150, v11, vcc
	v_lshlrev_b32_e32 v156, 2, v10
	v_mov_b32_e32 v83, 0
	v_mov_b32_e32 v86, 0
	v_mov_b32_e32 v85, 0
	v_mov_b32_e32 v84, 0
	v_mov_b32_e32 v20, 0
	v_mov_b32_e32 v19, 0
	v_mov_b32_e32 v18, 0
	v_mov_b32_e32 v17, 0
	v_mov_b32_e32 v16, 0
.LBB9_58:                               ;   Parent Loop BB9_13 Depth=1
                                        ; =>  This Inner Loop Header: Depth=2
	s_ashr_i32 s7, s6, 31
	v_lshl_add_u64 v[10:11], s[6:7], 1, v[80:81]
	global_load_dword v10, v[10:11], off
	s_mul_hi_i32 s9, s6, s34
	s_mul_i32 s8, s6, s34
	s_lshl_b64 s[8:9], s[8:9], 2
	s_add_u32 s8, s5, s8
	s_addc_u32 s9, s4, s9
	s_waitcnt vmcnt(0)
	ds_write_b32 v35, v10 offset:11264
	s_and_saveexec_b64 s[82:83], s[0:1]
	s_cbranch_execz .LBB9_60
; %bb.59:                               ;   in Loop: Header=BB9_58 Depth=2
	v_lshl_add_u64 v[10:11], v[42:43], 2, s[8:9]
	v_lshlrev_b32_e32 v32, 2, v40
	v_lshl_add_u64 v[10:11], v[10:11], 0, v[32:33]
	global_load_dwordx4 v[10:13], v[10:11], off offset:128
	s_waitcnt vmcnt(0)
	ds_write_b128 v103, v[10:13]
.LBB9_60:                               ;   in Loop: Header=BB9_58 Depth=2
	s_or_b64 exec, exec, s[82:83]
	v_lshl_add_u64 v[10:11], v[36:37], 2, s[8:9]
	v_lshlrev_b32_e32 v32, 2, v34
	v_lshl_add_u64 v[10:11], v[10:11], 0, v[32:33]
	v_lshl_add_u64 v[12:13], v[38:39], 2, s[8:9]
	;; [unrolled: 1-line block ×3, first 2 shown]
	global_load_dwordx4 v[10:13], v[10:11], off
	v_add_u32_e32 v15, 0x800, v29
	s_mul_hi_i32 s9, s6, s30
	s_mul_i32 s8, s6, s30
	s_lshl_b64 s[8:9], s[8:9], 2
	s_add_u32 s8, s38, s8
	s_addc_u32 s9, s49, s9
	s_waitcnt vmcnt(0)
	ds_write_b128 v100, v[10:13]
	global_load_dwordx4 v[10:13], v[22:23], off
	s_waitcnt vmcnt(0)
	ds_write_b128 v102, v[10:13]
	s_waitcnt lgkmcnt(0)
	s_barrier
	ds_read2_b64 v[10:13], v29 offset1:4
	s_waitcnt lgkmcnt(0)
	v_mfma_f32_16x16x16_f16 v[22:25], v[10:11], v[6:7], 0
	v_mfma_f32_16x16x16_f16 v[10:13], v[12:13], v[8:9], v[22:25]
	s_nop 6
	ds_read2_b64 v[22:25], v29 offset0:8 offset1:12
	s_waitcnt lgkmcnt(0)
	v_mfma_f32_16x16x16_f16 v[10:13], v[22:23], v[2:3], v[10:13]
	ds_read_b64 v[22:23], v29 offset:128
	v_mfma_f32_16x16x16_f16 v[10:13], v[24:25], v[4:5], v[10:13]
	s_waitcnt lgkmcnt(0)
	v_mfma_f32_16x16x16_f16 v[158:161], v[22:23], v[76:77], v[10:13]
	s_nop 5
	ds_read2_b64 v[10:13], v15 offset0:96 offset1:100
	s_waitcnt lgkmcnt(0)
	v_mfma_f32_16x16x16_f16 v[22:25], v[10:11], v[6:7], 0
	v_mfma_f32_16x16x16_f16 v[10:13], v[12:13], v[8:9], v[22:25]
	s_nop 6
	ds_read2_b64 v[22:25], v15 offset0:104 offset1:108
	s_waitcnt lgkmcnt(0)
	v_mfma_f32_16x16x16_f16 v[10:13], v[22:23], v[2:3], v[10:13]
	ds_read_b64 v[22:23], v29 offset:2944
	v_add_u32_e32 v15, 0x1000, v29
	v_mfma_f32_16x16x16_f16 v[10:13], v[24:25], v[4:5], v[10:13]
	s_waitcnt lgkmcnt(0)
	v_mfma_f32_16x16x16_f16 v[162:165], v[22:23], v[76:77], v[10:13]
	s_nop 5
	ds_read2_b64 v[10:13], v15 offset0:192 offset1:196
	s_waitcnt lgkmcnt(0)
	v_mfma_f32_16x16x16_f16 v[22:25], v[10:11], v[6:7], 0
	v_mfma_f32_16x16x16_f16 v[10:13], v[12:13], v[8:9], v[22:25]
	s_nop 6
	ds_read2_b64 v[22:25], v15 offset0:200 offset1:204
	s_waitcnt lgkmcnt(0)
	v_mfma_f32_16x16x16_f16 v[10:13], v[22:23], v[2:3], v[10:13]
	ds_read_b64 v[22:23], v29 offset:5760
	v_add_u32_e32 v15, 0x2000, v29
	v_mfma_f32_16x16x16_f16 v[10:13], v[24:25], v[4:5], v[10:13]
	s_waitcnt lgkmcnt(0)
	v_mfma_f32_16x16x16_f16 v[166:169], v[22:23], v[76:77], v[10:13]
	s_nop 5
	ds_read2_b64 v[10:13], v15 offset0:32 offset1:36
	s_waitcnt lgkmcnt(0)
	v_mfma_f32_16x16x16_f16 v[22:25], v[10:11], v[6:7], 0
	v_mfma_f32_16x16x16_f16 v[10:13], v[12:13], v[8:9], v[22:25]
	s_nop 6
	ds_read2_b64 v[22:25], v15 offset0:40 offset1:44
	s_waitcnt lgkmcnt(0)
	v_mfma_f32_16x16x16_f16 v[10:13], v[22:23], v[2:3], v[10:13]
	ds_read_b64 v[22:23], v29 offset:8576
	s_waitcnt lgkmcnt(0)
	s_barrier
	ds_read_b32 v15, v104 offset:11264
	v_mfma_f32_16x16x16_f16 v[10:13], v[24:25], v[4:5], v[10:13]
	v_mfma_f32_16x16x16_f16 v[10:13], v[22:23], v[76:77], v[10:13]
	s_waitcnt lgkmcnt(0)
	v_cvt_f32_f16_e32 v22, v15
	v_cvt_f32_f16_sdwa v23, v15 dst_sel:DWORD dst_unused:UNUSED_PAD src0_sel:WORD_1
	v_add_f32_e32 v15, v158, v22
	ds_read_b32 v22, v105 offset:11264
	v_add_f32_e32 v24, v159, v23
	s_waitcnt lgkmcnt(0)
	v_cvt_f32_f16_e32 v23, v22
	v_cvt_f32_f16_sdwa v22, v22 dst_sel:DWORD dst_unused:UNUSED_PAD src0_sel:WORD_1
	v_add_f32_e32 v25, v160, v23
	v_add_f32_e32 v87, v161, v22
	v_add_u32_e32 v22, 0x2c00, v145
	ds_read2_b32 v[22:23], v22 offset1:1
	s_waitcnt lgkmcnt(0)
	v_cvt_f32_f16_e32 v88, v22
	v_cvt_f32_f16_sdwa v22, v22 dst_sel:DWORD dst_unused:UNUSED_PAD src0_sel:WORD_1
	v_add_f32_e32 v88, v162, v88
	v_add_f32_e32 v89, v163, v22
	v_cvt_f32_f16_e32 v22, v23
	v_cvt_f32_f16_sdwa v23, v23 dst_sel:DWORD dst_unused:UNUSED_PAD src0_sel:WORD_1
	v_add_f32_e32 v159, v164, v22
	v_add_u32_e32 v22, 0x2c00, v146
	v_add_f32_e32 v158, v165, v23
	ds_read2_b32 v[22:23], v22 offset1:1
	s_waitcnt lgkmcnt(0)
	v_cvt_f32_f16_e32 v153, v22
	v_cvt_f32_f16_sdwa v22, v22 dst_sel:DWORD dst_unused:UNUSED_PAD src0_sel:WORD_1
	v_add_f32_e32 v157, v166, v153
	v_add_f32_e32 v154, v167, v22
	v_cvt_f32_f16_e32 v22, v23
	v_cvt_f32_f16_sdwa v153, v23 dst_sel:DWORD dst_unused:UNUSED_PAD src0_sel:WORD_1
	v_add_f32_e32 v23, v168, v22
	v_add_f32_e32 v22, v169, v153
	v_add_u32_e32 v153, 0x2c00, v147
	ds_read2_b32 v[160:161], v153 offset1:1
	s_waitcnt lgkmcnt(0)
	v_cvt_f32_f16_e32 v153, v160
	v_cvt_f32_f16_sdwa v160, v160 dst_sel:DWORD dst_unused:UNUSED_PAD src0_sel:WORD_1
	v_add_f32_e32 v164, v10, v153
	v_add_f32_e32 v10, v11, v160
	v_cvt_f32_f16_e32 v11, v161
	v_cvt_f32_f16_sdwa v153, v161 dst_sel:DWORD dst_unused:UNUSED_PAD src0_sel:WORD_1
	v_add_f32_e32 v160, 0x40051340, v87
	v_add_f32_e32 v12, v12, v11
	;; [unrolled: 1-line block ×5, first 2 shown]
	v_max3_f32 v13, v21, v13, v153
	v_add_f32_e32 v153, 0x40051340, v25
	v_max3_f32 v13, v13, v153, v160
	v_add_f32_e32 v153, 0x40051340, v88
	v_add_f32_e32 v160, 0x40051340, v89
	v_max3_f32 v13, v13, v153, v160
	v_add_f32_e32 v153, 0x40051340, v159
	;; [unrolled: 3-line block ×6, first 2 shown]
	v_add_f32_e32 v160, 0x40051340, v11
	v_max3_f32 v13, v13, v153, v160
	ds_bpermute_b32 v153, v155, v13
	s_waitcnt lgkmcnt(0)
	v_max_f32_e32 v153, v153, v153
	v_max_f32_e32 v13, v13, v153
	ds_bpermute_b32 v153, v156, v13
	s_and_saveexec_b64 s[82:83], s[0:1]
	s_cbranch_execz .LBB9_62
; %bb.61:                               ;   in Loop: Header=BB9_58 Depth=2
	v_lshl_add_u64 v[160:161], v[44:45], 2, s[8:9]
	v_lshlrev_b32_e32 v162, 2, v40
	v_mov_b32_e32 v163, v33
	v_lshl_add_u64 v[160:161], v[160:161], 0, v[162:163]
	global_load_dwordx4 v[160:163], v[160:161], off offset:128
	s_waitcnt vmcnt(0)
	ds_write_b128 v103, v[160:163]
.LBB9_62:                               ;   in Loop: Header=BB9_58 Depth=2
	s_or_b64 exec, exec, s[82:83]
	s_waitcnt lgkmcnt(0)
	v_max_f32_e32 v153, v153, v153
	v_max_f32_e32 v13, v13, v13
	;; [unrolled: 1-line block ×3, first 2 shown]
	v_sub_f32_e32 v13, v15, v153
	v_mul_f32_e32 v15, 0x3fb8aa3b, v13
	v_fma_f32 v160, v13, s41, -v15
	v_rndne_f32_e32 v161, v15
	v_fmac_f32_e32 v160, 0x32a5705f, v13
	v_sub_f32_e32 v15, v15, v161
	v_add_f32_e32 v15, v15, v160
	v_exp_f32_e32 v15, v15
	v_cvt_i32_f32_e32 v160, v161
	v_cmp_ngt_f32_e32 vcc, s63, v13
	v_sub_f32_e32 v25, v25, v153
	v_sub_f32_e32 v87, v87, v153
	v_ldexp_f32 v15, v15, v160
	v_cndmask_b32_e32 v15, 0, v15, vcc
	v_cmp_nlt_f32_e32 vcc, s60, v13
	v_sub_f32_e32 v13, v24, v153
	v_mul_f32_e32 v24, 0x3fb8aa3b, v13
	v_fma_f32 v160, v13, s41, -v24
	v_rndne_f32_e32 v161, v24
	v_fmac_f32_e32 v160, 0x32a5705f, v13
	v_sub_f32_e32 v24, v24, v161
	v_add_f32_e32 v24, v24, v160
	v_exp_f32_e32 v24, v24
	v_cvt_i32_f32_e32 v160, v161
	v_cndmask_b32_e32 v15, v151, v15, vcc
	v_cmp_ngt_f32_e32 vcc, s63, v13
	v_sub_f32_e32 v88, v88, v153
	v_ldexp_f32 v24, v24, v160
	v_mul_f32_e32 v160, 0x3fb8aa3b, v25
	v_fma_f32 v161, v25, s41, -v160
	v_rndne_f32_e32 v162, v160
	v_fmac_f32_e32 v161, 0x32a5705f, v25
	v_sub_f32_e32 v160, v160, v162
	v_add_f32_e32 v160, v160, v161
	v_exp_f32_e32 v160, v160
	v_cvt_i32_f32_e32 v161, v162
	v_cndmask_b32_e32 v24, 0, v24, vcc
	v_cmp_nlt_f32_e32 vcc, s60, v13
	v_sub_f32_e32 v89, v89, v153
	v_ldexp_f32 v160, v160, v161
	v_cndmask_b32_e32 v24, v151, v24, vcc
	v_cmp_ngt_f32_e32 vcc, s63, v25
	v_sub_f32_e32 v159, v159, v153
	v_sub_f32_e32 v158, v158, v153
	v_cndmask_b32_e32 v160, 0, v160, vcc
	v_cmp_nlt_f32_e32 vcc, s60, v25
	v_sub_f32_e32 v157, v157, v153
	v_sub_f32_e32 v154, v154, v153
	v_cndmask_b32_e32 v25, v151, v160, vcc
	v_mul_f32_e32 v160, 0x3fb8aa3b, v87
	v_fma_f32 v161, v87, s41, -v160
	v_rndne_f32_e32 v162, v160
	v_fmac_f32_e32 v161, 0x32a5705f, v87
	v_sub_f32_e32 v160, v160, v162
	v_add_f32_e32 v160, v160, v161
	v_exp_f32_e32 v160, v160
	v_cvt_i32_f32_e32 v161, v162
	v_cmp_ngt_f32_e32 vcc, s63, v87
	v_sub_f32_e32 v23, v23, v153
	v_sub_f32_e32 v22, v22, v153
	v_ldexp_f32 v160, v160, v161
	v_cndmask_b32_e32 v160, 0, v160, vcc
	v_cmp_nlt_f32_e32 vcc, s60, v87
	v_add_f32_e32 v13, v15, v24
	v_sub_f32_e32 v10, v10, v153
	v_cndmask_b32_e32 v87, v151, v160, vcc
	v_mul_f32_e32 v160, 0x3fb8aa3b, v88
	v_fma_f32 v161, v88, s41, -v160
	v_rndne_f32_e32 v162, v160
	v_fmac_f32_e32 v161, 0x32a5705f, v88
	v_sub_f32_e32 v160, v160, v162
	v_add_f32_e32 v160, v160, v161
	v_exp_f32_e32 v160, v160
	v_cvt_i32_f32_e32 v161, v162
	v_cmp_ngt_f32_e32 vcc, s63, v88
	v_add_f32_e32 v13, v25, v13
	v_add_f32_e32 v13, v87, v13
	v_ldexp_f32 v160, v160, v161
	v_cndmask_b32_e32 v160, 0, v160, vcc
	v_cmp_nlt_f32_e32 vcc, s60, v88
	v_sub_f32_e32 v12, v12, v153
	v_sub_f32_e32 v11, v11, v153
	v_cndmask_b32_e32 v88, v151, v160, vcc
	v_mul_f32_e32 v160, 0x3fb8aa3b, v89
	v_fma_f32 v161, v89, s41, -v160
	v_rndne_f32_e32 v162, v160
	v_fmac_f32_e32 v161, 0x32a5705f, v89
	v_sub_f32_e32 v160, v160, v162
	v_add_f32_e32 v160, v160, v161
	v_exp_f32_e32 v160, v160
	v_cvt_i32_f32_e32 v161, v162
	v_cmp_ngt_f32_e32 vcc, s63, v89
	v_add_f32_e32 v13, v88, v13
	s_add_i32 s84, s84, 1
	v_ldexp_f32 v160, v160, v161
	v_cndmask_b32_e32 v160, 0, v160, vcc
	v_cmp_nlt_f32_e32 vcc, s60, v89
	s_add_i32 s6, s6, 64
	s_cmp_lt_i32 s84, s85
	v_cndmask_b32_e32 v89, v151, v160, vcc
	v_mul_f32_e32 v160, 0x3fb8aa3b, v159
	v_fma_f32 v161, v159, s41, -v160
	v_rndne_f32_e32 v162, v160
	v_fmac_f32_e32 v161, 0x32a5705f, v159
	v_sub_f32_e32 v160, v160, v162
	v_add_f32_e32 v160, v160, v161
	v_exp_f32_e32 v160, v160
	v_cvt_i32_f32_e32 v161, v162
	v_cmp_ngt_f32_e32 vcc, s63, v159
	v_add_f32_e32 v13, v89, v13
	v_ldexp_f32 v160, v160, v161
	v_cndmask_b32_e32 v160, 0, v160, vcc
	v_cmp_nlt_f32_e32 vcc, s60, v159
	s_nop 1
	v_cndmask_b32_e32 v159, v151, v160, vcc
	v_mul_f32_e32 v160, 0x3fb8aa3b, v158
	v_fma_f32 v161, v158, s41, -v160
	v_rndne_f32_e32 v162, v160
	v_fmac_f32_e32 v161, 0x32a5705f, v158
	v_sub_f32_e32 v160, v160, v162
	v_add_f32_e32 v160, v160, v161
	v_exp_f32_e32 v160, v160
	v_cvt_i32_f32_e32 v161, v162
	v_cmp_ngt_f32_e32 vcc, s63, v158
	v_add_f32_e32 v13, v159, v13
	v_ldexp_f32 v160, v160, v161
	v_cndmask_b32_e32 v160, 0, v160, vcc
	v_cmp_nlt_f32_e32 vcc, s60, v158
	v_mul_f32_e32 v158, 0x3fb8aa3b, v157
	v_fma_f32 v161, v157, s41, -v158
	v_rndne_f32_e32 v162, v158
	v_fmac_f32_e32 v161, 0x32a5705f, v157
	v_sub_f32_e32 v158, v158, v162
	v_add_f32_e32 v158, v158, v161
	v_exp_f32_e32 v158, v158
	v_cvt_i32_f32_e32 v161, v162
	v_cndmask_b32_e32 v160, v151, v160, vcc
	v_cmp_ngt_f32_e32 vcc, s63, v157
	v_add_f32_e32 v13, v160, v13
	v_ldexp_f32 v158, v158, v161
	v_cndmask_b32_e32 v158, 0, v158, vcc
	v_cmp_nlt_f32_e32 vcc, s60, v157
	v_mul_f32_e32 v157, 0x3fb8aa3b, v154
	v_rndne_f32_e32 v162, v157
	v_cndmask_b32_e32 v161, v151, v158, vcc
	v_fma_f32 v158, v154, s41, -v157
	v_fmac_f32_e32 v158, 0x32a5705f, v154
	v_sub_f32_e32 v157, v157, v162
	v_add_f32_e32 v157, v157, v158
	v_exp_f32_e32 v157, v157
	v_cvt_i32_f32_e32 v158, v162
	v_cmp_ngt_f32_e32 vcc, s63, v154
	v_add_f32_e32 v13, v161, v13
	v_ldexp_f32 v157, v157, v158
	v_cndmask_b32_e32 v157, 0, v157, vcc
	v_cmp_nlt_f32_e32 vcc, s60, v154
	v_mul_f32_e32 v154, 0x3fb8aa3b, v23
	v_rndne_f32_e32 v158, v154
	v_cndmask_b32_e32 v162, v151, v157, vcc
	v_fma_f32 v157, v23, s41, -v154
	v_fmac_f32_e32 v157, 0x32a5705f, v23
	v_sub_f32_e32 v154, v154, v158
	v_add_f32_e32 v154, v154, v157
	v_exp_f32_e32 v154, v154
	v_cvt_i32_f32_e32 v157, v158
	;; [unrolled: 14-line block ×3, first 2 shown]
	v_cmp_ngt_f32_e32 vcc, s63, v22
	v_add_f32_e32 v13, v163, v13
	v_ldexp_f32 v23, v23, v154
	v_cndmask_b32_e32 v23, 0, v23, vcc
	v_cmp_nlt_f32_e32 vcc, s60, v22
	v_sub_f32_e32 v22, v164, v153
	s_nop 0
	v_cndmask_b32_e32 v165, v151, v23, vcc
	v_mul_f32_e32 v23, 0x3fb8aa3b, v22
	v_fma_f32 v154, v22, s41, -v23
	v_rndne_f32_e32 v157, v23
	v_fmac_f32_e32 v154, 0x32a5705f, v22
	v_sub_f32_e32 v23, v23, v157
	v_add_f32_e32 v23, v23, v154
	v_exp_f32_e32 v23, v23
	v_cvt_i32_f32_e32 v154, v157
	v_cmp_ngt_f32_e32 vcc, s63, v22
	v_add_f32_e32 v13, v165, v13
	v_ldexp_f32 v23, v23, v154
	v_cndmask_b32_e32 v23, 0, v23, vcc
	v_cmp_nlt_f32_e32 vcc, s60, v22
	v_mul_f32_e32 v22, 0x3fb8aa3b, v10
	v_rndne_f32_e32 v154, v22
	v_cndmask_b32_e32 v164, v151, v23, vcc
	v_fma_f32 v23, v10, s41, -v22
	v_fmac_f32_e32 v23, 0x32a5705f, v10
	v_sub_f32_e32 v22, v22, v154
	v_add_f32_e32 v22, v22, v23
	v_exp_f32_e32 v22, v22
	v_cvt_i32_f32_e32 v23, v154
	v_cmp_ngt_f32_e32 vcc, s63, v10
	v_add_f32_e32 v13, v164, v13
	v_ldexp_f32 v22, v22, v23
	v_cndmask_b32_e32 v22, 0, v22, vcc
	v_cmp_nlt_f32_e32 vcc, s60, v10
	s_nop 1
	v_cndmask_b32_e32 v166, v151, v22, vcc
	v_add_f32_e32 v10, v166, v13
	v_mul_f32_e32 v13, 0x3fb8aa3b, v12
	v_fma_f32 v22, v12, s41, -v13
	v_rndne_f32_e32 v23, v13
	v_fmac_f32_e32 v22, 0x32a5705f, v12
	v_sub_f32_e32 v13, v13, v23
	v_add_f32_e32 v13, v13, v22
	v_exp_f32_e32 v13, v13
	v_cvt_i32_f32_e32 v22, v23
	v_cmp_ngt_f32_e32 vcc, s63, v12
	v_ldexp_f32 v13, v13, v22
	s_nop 0
	v_cndmask_b32_e32 v13, 0, v13, vcc
	v_cmp_nlt_f32_e32 vcc, s60, v12
	v_mul_f32_e32 v12, 0x3fb8aa3b, v11
	v_rndne_f32_e32 v22, v12
	v_cndmask_b32_e32 v167, v151, v13, vcc
	v_fma_f32 v13, v11, s41, -v12
	v_fmac_f32_e32 v13, 0x32a5705f, v11
	v_sub_f32_e32 v12, v12, v22
	v_add_f32_e32 v12, v12, v13
	v_exp_f32_e32 v12, v12
	v_cvt_i32_f32_e32 v13, v22
	v_cmp_ngt_f32_e32 vcc, s63, v11
	v_add_f32_e32 v10, v167, v10
	v_ldexp_f32 v12, v12, v13
	v_cndmask_b32_e32 v12, 0, v12, vcc
	v_cmp_nlt_f32_e32 vcc, s60, v11
	s_nop 1
	v_cndmask_b32_e32 v168, v151, v12, vcc
	v_add_f32_e32 v154, v168, v10
	v_sub_f32_e32 v10, v21, v153
	v_mul_f32_e32 v11, 0x3fb8aa3b, v10
	v_fma_f32 v12, v10, s41, -v11
	v_rndne_f32_e32 v13, v11
	v_fmac_f32_e32 v12, 0x32a5705f, v10
	v_sub_f32_e32 v11, v11, v13
	v_add_f32_e32 v11, v11, v12
	v_exp_f32_e32 v11, v11
	v_cvt_i32_f32_e32 v12, v13
	v_cmp_ngt_f32_e32 vcc, s63, v10
	v_ldexp_f32 v11, v11, v12
	s_nop 0
	v_cndmask_b32_e32 v11, 0, v11, vcc
	v_cmp_nlt_f32_e32 vcc, s60, v10
	s_nop 1
	v_cndmask_b32_e32 v11, v151, v11, vcc
	v_cmp_le_f32_e32 vcc, s61, v10
	s_nop 1
	v_cndmask_b32_e32 v10, 0, v11, vcc
	v_fmac_f32_e32 v154, v14, v10
	v_cvt_f16_f32_e32 v10, v10
	v_mul_u32_u24_e32 v10, 0x10001, v10
	v_pk_mul_f16 v86, v86, v10
	v_pk_mul_f16 v85, v85, v10
	;; [unrolled: 1-line block ×10, first 2 shown]
	v_lshl_add_u64 v[10:11], v[48:49], 2, s[8:9]
	v_lshl_add_u64 v[10:11], v[10:11], 0, v[32:33]
	global_load_dwordx4 v[10:13], v[10:11], off
	v_cvt_pk_f16_f32 v84, v15, v24
	v_cvt_pk_f16_f32 v83, v167, v168
	;; [unrolled: 1-line block ×3, first 2 shown]
	v_cvt_f32_f16_sdwa v19, v14 dst_sel:DWORD dst_unused:UNUSED_PAD src0_sel:WORD_1
	s_waitcnt vmcnt(0)
	ds_write_b128 v100, v[10:13]
	v_lshl_add_u64 v[10:11], v[46:47], 2, s[8:9]
	v_lshl_add_u64 v[10:11], v[10:11], 0, v[32:33]
	global_load_dwordx4 v[10:13], v[10:11], off
	s_waitcnt vmcnt(0)
	ds_write_b128 v102, v[10:13]
	s_waitcnt lgkmcnt(0)
	s_barrier
	ds_read_u16 v16, v106 offset:176
	ds_read_u16 v17, v107
	ds_read_u16 v32, v107 offset:32
	ds_read_u16 v18, v108
	ds_read_u16 v170, v108 offset:32
	v_cvt_f32_f16_e32 v10, v86
	v_cvt_f32_f16_sdwa v11, v86 dst_sel:DWORD dst_unused:UNUSED_PAD src0_sel:WORD_1
	v_cvt_f32_f16_e32 v12, v85
	s_waitcnt lgkmcnt(1)
	v_perm_b32 v17, v18, v17, s62
	ds_read_u16 v18, v106
	ds_read_u16 v171, v106 offset:32
	v_cvt_f32_f16_sdwa v13, v85 dst_sel:DWORD dst_unused:UNUSED_PAD src0_sel:WORD_1
	v_cvt_pk_f16_f32 v85, v25, v87
	v_cvt_pk_f16_f32 v87, v159, v160
	s_waitcnt lgkmcnt(1)
	v_perm_b32 v16, v16, v18, s62
	v_cvt_pk_f16_f32 v86, v88, v89
	v_cvt_pk_f16_f32 v89, v163, v165
	v_mfma_f32_16x16x16_f16 v[10:13], v[16:17], v[84:85], v[10:13]
	ds_read_u16 v15, v106 offset:2816
	ds_read_u16 v16, v106 offset:2992
	;; [unrolled: 1-line block ×4, first 2 shown]
	v_cvt_pk_f16_f32 v88, v161, v162
	v_cvt_f32_f16_e32 v160, v21
	s_nop 1
	v_cvt_f16_f32_e32 v10, v10
	v_cvt_f16_f32_e32 v11, v11
	;; [unrolled: 1-line block ×4, first 2 shown]
	s_waitcnt lgkmcnt(0)
	v_perm_b32 v17, v18, v17, s62
	v_perm_b32 v16, v16, v15, s62
	v_cvt_f32_f16_e32 v10, v10
	v_cvt_f32_f16_e32 v11, v11
	;; [unrolled: 1-line block ×4, first 2 shown]
	v_cvt_f32_f16_sdwa v161, v21 dst_sel:DWORD dst_unused:UNUSED_PAD src0_sel:WORD_1
	v_cvt_f32_f16_e32 v162, v20
	v_mfma_f32_16x16x16_f16 v[10:13], v[16:17], v[86:87], v[10:13]
	ds_read_u16 v15, v106 offset:5632
	ds_read_u16 v16, v106 offset:5808
	;; [unrolled: 1-line block ×4, first 2 shown]
	v_cvt_f32_f16_sdwa v163, v20 dst_sel:DWORD dst_unused:UNUSED_PAD src0_sel:WORD_1
	s_nop 2
	v_cvt_f16_f32_e32 v10, v10
	v_cvt_f16_f32_e32 v11, v11
	;; [unrolled: 1-line block ×4, first 2 shown]
	s_waitcnt lgkmcnt(0)
	v_perm_b32 v17, v18, v17, s62
	v_perm_b32 v16, v16, v15, s62
	v_cvt_f32_f16_e32 v10, v10
	v_cvt_f32_f16_e32 v11, v11
	;; [unrolled: 1-line block ×4, first 2 shown]
	s_nop 1
	v_mfma_f32_16x16x16_f16 v[10:13], v[16:17], v[88:89], v[10:13]
	ds_read_u16 v15, v106 offset:8448
	ds_read_u16 v16, v106 offset:8624
	ds_read_u16 v17, v107 offset:8448
	ds_read_u16 v18, v108 offset:8448
	ds_read_u16 v24, v106 offset:208
	s_nop 2
	v_cvt_f16_f32_e32 v10, v10
	v_cvt_f16_f32_e32 v11, v11
	v_cvt_f16_f32_e32 v12, v12
	v_cvt_f16_f32_e32 v13, v13
	s_waitcnt lgkmcnt(1)
	v_perm_b32 v17, v18, v17, s62
	v_perm_b32 v16, v16, v15, s62
	v_cvt_f32_f16_e32 v10, v10
	v_cvt_f32_f16_e32 v11, v11
	;; [unrolled: 1-line block ×5, first 2 shown]
	v_perm_b32 v15, v170, v32, s62
	s_waitcnt lgkmcnt(0)
	v_perm_b32 v14, v24, v171, s62
	v_mfma_f32_16x16x16_f16 v[10:13], v[16:17], v[82:83], v[10:13]
	v_cvt_f32_f16_e32 v16, v169
	v_cvt_f32_f16_sdwa v17, v169 dst_sel:DWORD dst_unused:UNUSED_PAD src0_sel:WORD_1
	s_nop 1
	v_mfma_f32_16x16x16_f16 v[14:17], v[14:15], v[84:85], v[16:19]
	s_nop 2
	ds_read_u16 v18, v106 offset:2848
	ds_read_u16 v24, v106 offset:3024
	ds_read_u16 v19, v107 offset:2848
	ds_read_u16 v25, v108 offset:2848
	s_nop 0
	v_cvt_f16_f32_e32 v14, v14
	v_cvt_f16_f32_e32 v15, v15
	v_cvt_f16_f32_e32 v16, v16
	v_cvt_f16_f32_e32 v17, v17
	s_waitcnt lgkmcnt(0)
	v_perm_b32 v19, v25, v19, s62
	v_perm_b32 v18, v24, v18, s62
	v_cvt_f32_f16_e32 v14, v14
	v_cvt_f32_f16_e32 v15, v15
	v_cvt_f32_f16_e32 v16, v16
	v_cvt_f32_f16_e32 v17, v17
	s_nop 1
	v_mfma_f32_16x16x16_f16 v[14:17], v[18:19], v[86:87], v[14:17]
	ds_read_u16 v18, v106 offset:5664
	ds_read_u16 v24, v106 offset:5840
	ds_read_u16 v19, v107 offset:5664
	ds_read_u16 v25, v108 offset:5664
	s_nop 3
	v_cvt_f16_f32_e32 v14, v14
	v_cvt_f16_f32_e32 v15, v15
	v_cvt_f16_f32_e32 v16, v16
	v_cvt_f16_f32_e32 v17, v17
	s_waitcnt lgkmcnt(0)
	v_perm_b32 v19, v25, v19, s62
	v_perm_b32 v18, v24, v18, s62
	v_cvt_f32_f16_e32 v14, v14
	v_cvt_f32_f16_e32 v15, v15
	v_cvt_f32_f16_e32 v16, v16
	v_cvt_f32_f16_e32 v17, v17
	s_nop 1
	v_mfma_f32_16x16x16_f16 v[14:17], v[18:19], v[88:89], v[14:17]
	;; [unrolled: 18-line block ×3, first 2 shown]
	ds_read_u16 v18, v106 offset:64
	ds_read_u16 v24, v106 offset:240
	;; [unrolled: 1-line block ×4, first 2 shown]
	s_waitcnt lgkmcnt(2)
	v_perm_b32 v18, v24, v18, s62
	s_waitcnt lgkmcnt(0)
	v_perm_b32 v19, v25, v19, s62
	ds_read_u16 v24, v106 offset:2880
	ds_read_u16 v32, v106 offset:3056
	;; [unrolled: 1-line block ×4, first 2 shown]
	v_mfma_f32_16x16x16_f16 v[18:21], v[18:19], v[84:85], v[160:163]
	s_waitcnt lgkmcnt(0)
	v_perm_b32 v25, v159, v25, s62
	v_perm_b32 v24, v32, v24, s62
	v_cvt_f32_f16_e32 v160, v23
	s_nop 3
	v_cvt_f16_f32_e32 v18, v18
	v_cvt_f16_f32_e32 v19, v19
	;; [unrolled: 1-line block ×4, first 2 shown]
	v_cvt_f32_f16_e32 v18, v18
	v_cvt_f32_f16_e32 v19, v19
	;; [unrolled: 1-line block ×4, first 2 shown]
	v_cvt_f32_f16_sdwa v161, v23 dst_sel:DWORD dst_unused:UNUSED_PAD src0_sel:WORD_1
	v_cvt_f32_f16_e32 v162, v22
	v_mfma_f32_16x16x16_f16 v[18:21], v[24:25], v[86:87], v[18:21]
	ds_read_u16 v24, v106 offset:5696
	ds_read_u16 v32, v106 offset:5872
	;; [unrolled: 1-line block ×4, first 2 shown]
	v_cvt_f32_f16_sdwa v163, v22 dst_sel:DWORD dst_unused:UNUSED_PAD src0_sel:WORD_1
	s_nop 2
	v_cvt_f16_f32_e32 v18, v18
	v_cvt_f16_f32_e32 v19, v19
	;; [unrolled: 1-line block ×4, first 2 shown]
	s_waitcnt lgkmcnt(0)
	v_perm_b32 v25, v159, v25, s62
	v_perm_b32 v24, v32, v24, s62
	v_cvt_f32_f16_e32 v18, v18
	v_cvt_f32_f16_e32 v19, v19
	;; [unrolled: 1-line block ×4, first 2 shown]
	s_nop 1
	v_mfma_f32_16x16x16_f16 v[18:21], v[24:25], v[88:89], v[18:21]
	ds_read_u16 v24, v106 offset:8512
	ds_read_u16 v32, v106 offset:8688
	;; [unrolled: 1-line block ×4, first 2 shown]
	s_nop 3
	v_cvt_f16_f32_e32 v18, v18
	v_cvt_f16_f32_e32 v19, v19
	;; [unrolled: 1-line block ×4, first 2 shown]
	s_waitcnt lgkmcnt(0)
	v_perm_b32 v25, v159, v25, s62
	v_perm_b32 v24, v32, v24, s62
	v_cvt_f32_f16_e32 v18, v18
	v_cvt_f32_f16_e32 v19, v19
	;; [unrolled: 1-line block ×4, first 2 shown]
	s_nop 1
	v_mfma_f32_16x16x16_f16 v[18:21], v[24:25], v[82:83], v[18:21]
	ds_read_u16 v24, v106 offset:96
	ds_read_u16 v25, v106 offset:272
	;; [unrolled: 1-line block ×4, first 2 shown]
	s_waitcnt lgkmcnt(2)
	v_perm_b32 v22, v25, v24, s62
	s_nop 1
	v_cvt_pk_f16_f32 v20, v20, v21
	s_waitcnt lgkmcnt(0)
	v_perm_b32 v23, v159, v32, s62
	s_nop 1
	v_mfma_f32_16x16x16_f16 v[22:25], v[22:23], v[84:85], v[160:163]
	ds_read_u16 v32, v106 offset:2912
	ds_read_u16 v159, v106 offset:3088
	s_nop 0
	ds_read_u16 v160, v107 offset:2912
	ds_read_u16 v161, v108 offset:2912
	v_cvt_f32_f16_e32 v162, v157
	v_cvt_f32_f16_sdwa v163, v157 dst_sel:DWORD dst_unused:UNUSED_PAD src0_sel:WORD_1
	s_nop 0
	v_cvt_f16_f32_e32 v22, v22
	v_cvt_f16_f32_e32 v23, v23
	;; [unrolled: 1-line block ×4, first 2 shown]
	s_waitcnt lgkmcnt(0)
	v_perm_b32 v161, v161, v160, s62
	v_perm_b32 v160, v159, v32, s62
	v_cvt_f32_f16_e32 v22, v22
	v_cvt_f32_f16_e32 v23, v23
	;; [unrolled: 1-line block ×4, first 2 shown]
	s_nop 1
	v_mfma_f32_16x16x16_f16 v[22:25], v[160:161], v[86:87], v[22:25]
	ds_read_u16 v32, v106 offset:5728
	ds_read_u16 v159, v106 offset:5904
	;; [unrolled: 1-line block ×4, first 2 shown]
	s_nop 3
	v_cvt_f16_f32_e32 v22, v22
	v_cvt_f16_f32_e32 v23, v23
	;; [unrolled: 1-line block ×4, first 2 shown]
	s_waitcnt lgkmcnt(0)
	v_perm_b32 v161, v161, v160, s62
	v_perm_b32 v160, v159, v32, s62
	v_cvt_f32_f16_e32 v22, v22
	v_cvt_f32_f16_e32 v23, v23
	;; [unrolled: 1-line block ×4, first 2 shown]
	s_nop 1
	v_mfma_f32_16x16x16_f16 v[22:25], v[160:161], v[88:89], v[22:25]
	ds_read_u16 v32, v106 offset:8544
	ds_read_u16 v159, v106 offset:8720
	;; [unrolled: 1-line block ×4, first 2 shown]
	s_nop 3
	v_cvt_f16_f32_e32 v22, v22
	v_cvt_f16_f32_e32 v23, v23
	;; [unrolled: 1-line block ×4, first 2 shown]
	s_waitcnt lgkmcnt(0)
	v_perm_b32 v161, v161, v160, s62
	v_perm_b32 v160, v159, v32, s62
	ds_read_u16 v32, v106 offset:128
	ds_read_u16 v164, v106 offset:304
	;; [unrolled: 1-line block ×4, first 2 shown]
	v_cvt_f32_f16_e32 v22, v22
	v_cvt_f32_f16_e32 v23, v23
	;; [unrolled: 1-line block ×4, first 2 shown]
	s_waitcnt lgkmcnt(0)
	v_perm_b32 v159, v165, v159, s62
	v_mfma_f32_16x16x16_f16 v[22:25], v[160:161], v[82:83], v[22:25]
	v_cvt_f32_f16_e32 v160, v158
	v_cvt_f32_f16_sdwa v161, v158 dst_sel:DWORD dst_unused:UNUSED_PAD src0_sel:WORD_1
	v_perm_b32 v158, v164, v32, s62
	s_nop 1
	v_mfma_f32_16x16x16_f16 v[158:161], v[158:159], v[84:85], v[160:163]
	s_nop 2
	ds_read_u16 v162, v106 offset:2944
	ds_read_u16 v163, v106 offset:3120
	;; [unrolled: 1-line block ×4, first 2 shown]
	s_nop 0
	v_cvt_f16_f32_e32 v84, v159
	v_cvt_f16_f32_e32 v85, v160
	v_cvt_f16_f32_e32 v32, v158
	v_cvt_f16_f32_e32 v157, v161
	v_cvt_f32_f16_e32 v159, v84
	v_cvt_f32_f16_e32 v160, v85
	s_waitcnt lgkmcnt(0)
	v_perm_b32 v85, v165, v164, s62
	v_perm_b32 v84, v163, v162, s62
	v_cvt_f32_f16_e32 v158, v32
	v_cvt_f32_f16_e32 v161, v157
	s_nop 1
	v_mfma_f32_16x16x16_f16 v[84:87], v[84:85], v[86:87], v[158:161]
	ds_read_u16 v157, v106 offset:5760
	s_nop 1
	ds_read_u16 v158, v106 offset:5936
	ds_read_u16 v159, v107 offset:5760
	;; [unrolled: 1-line block ×3, first 2 shown]
	s_nop 1
	v_cvt_f16_f32_e32 v32, v84
	v_cvt_f16_f32_e32 v85, v85
	;; [unrolled: 1-line block ×4, first 2 shown]
	s_waitcnt lgkmcnt(0)
	v_perm_b32 v159, v160, v159, s62
	v_perm_b32 v158, v158, v157, s62
	v_cvt_f32_f16_e32 v84, v32
	v_cvt_f32_f16_e32 v85, v85
	;; [unrolled: 1-line block ×4, first 2 shown]
	s_nop 1
	v_mfma_f32_16x16x16_f16 v[86:89], v[158:159], v[88:89], v[84:87]
	s_nop 7
	v_cvt_f16_f32_e32 v85, v86
	v_cvt_f16_f32_e32 v86, v87
	;; [unrolled: 1-line block ×4, first 2 shown]
	ds_read_u16 v32, v106 offset:8576
	ds_read_u16 v84, v106 offset:8752
	;; [unrolled: 1-line block ×4, first 2 shown]
	v_cvt_f32_f16_e32 v158, v85
	v_cvt_f32_f16_e32 v159, v86
	s_waitcnt lgkmcnt(2)
	v_perm_b32 v84, v84, v32, s62
	v_cvt_f32_f16_e32 v160, v87
	s_waitcnt lgkmcnt(0)
	v_perm_b32 v85, v157, v89, s62
	v_cvt_f32_f16_e32 v161, v88
	v_cvt_pk_f16_f32 v86, v10, v11
	s_nop 0
	v_mfma_f32_16x16x16_f16 v[158:161], v[84:85], v[82:83], v[158:161]
	v_cvt_pk_f16_f32 v82, v14, v15
	v_cvt_pk_f16_f32 v83, v16, v17
	;; [unrolled: 1-line block ×6, first 2 shown]
	s_nop 1
	v_cvt_pk_f16_f32 v17, v158, v159
	v_cvt_pk_f16_f32 v16, v160, v161
	s_barrier
	s_cbranch_scc0 .LBB9_66
; %bb.63:                               ;   in Loop: Header=BB9_58 Depth=2
	v_mov_b32_e32 v14, v154
	v_mov_b32_e32 v21, v153
	s_branch .LBB9_58
.LBB9_64:                               ;   in Loop: Header=BB9_13 Depth=1
	s_mov_b64 s[8:9], 0
                                        ; implicit-def: $vgpr2_vgpr3
                                        ; implicit-def: $vgpr67
	s_cbranch_execnz .LBB9_121
	s_branch .LBB9_225
.LBB9_65:                               ;   in Loop: Header=BB9_13 Depth=1
	v_mov_b32_e32 v153, 0xfeffffff
	v_mov_b32_e32 v154, 0
	;; [unrolled: 1-line block ×12, first 2 shown]
.LBB9_66:                               ;   in Loop: Header=BB9_13 Depth=1
	s_lshl_b32 s6, s84, 6
	s_ashr_i32 s7, s6, 31
	s_lshl_b64 s[8:9], s[6:7], 1
	s_add_u32 s8, s76, s8
	s_addc_u32 s9, s77, s9
	v_lshl_add_u64 v[10:11], v[78:79], 1, s[8:9]
	v_lshlrev_b32_e32 v32, 1, v30
	v_lshl_add_u64 v[10:11], v[10:11], 0, v[32:33]
	global_load_dword v10, v[10:11], off
	s_mul_hi_i32 s9, s34, s6
	s_mul_i32 s8, s34, s6
	s_lshl_b64 s[8:9], s[8:9], 2
	s_add_u32 s8, s5, s8
	s_addc_u32 s9, s4, s9
	s_waitcnt vmcnt(0)
	ds_write_b32 v35, v10 offset:11264
	s_and_saveexec_b64 s[82:83], s[0:1]
	s_cbranch_execz .LBB9_68
; %bb.67:                               ;   in Loop: Header=BB9_13 Depth=1
	v_lshl_add_u64 v[10:11], v[42:43], 2, s[8:9]
	v_lshlrev_b32_e32 v32, 2, v40
	v_lshl_add_u64 v[10:11], v[10:11], 0, v[32:33]
	global_load_dwordx4 v[10:13], v[10:11], off offset:128
	s_waitcnt vmcnt(0)
	ds_write_b128 v103, v[10:13]
.LBB9_68:                               ;   in Loop: Header=BB9_13 Depth=1
	s_or_b64 exec, exec, s[82:83]
	v_lshl_add_u64 v[10:11], v[36:37], 2, s[8:9]
	v_lshlrev_b32_e32 v32, 2, v34
	v_lshl_add_u64 v[10:11], v[10:11], 0, v[32:33]
	v_lshl_add_u64 v[12:13], v[38:39], 2, s[8:9]
	;; [unrolled: 1-line block ×3, first 2 shown]
	global_load_dwordx4 v[10:13], v[10:11], off
	s_mul_hi_i32 s7, s6, s30
	s_mul_i32 s6, s6, s30
	s_lshl_b64 s[6:7], s[6:7], 2
	s_add_u32 s6, s38, s6
	s_addc_u32 s7, s49, s7
	s_waitcnt vmcnt(0)
	ds_write_b128 v100, v[10:13]
	global_load_dwordx4 v[10:13], v[14:15], off
	s_waitcnt vmcnt(0)
	ds_write_b128 v102, v[10:13]
	s_waitcnt lgkmcnt(0)
	s_barrier
	ds_read2_b64 v[10:13], v29 offset1:4
	s_waitcnt lgkmcnt(0)
	v_mfma_f32_16x16x16_f16 v[22:25], v[10:11], v[6:7], 0
	ds_read_b64 v[14:15], v29 offset:128
	v_mfma_f32_16x16x16_f16 v[10:13], v[12:13], v[8:9], v[22:25]
	s_nop 5
	ds_read2_b64 v[22:25], v29 offset0:8 offset1:12
	s_waitcnt lgkmcnt(0)
	v_mfma_f32_16x16x16_f16 v[10:13], v[22:23], v[2:3], v[10:13]
	v_mfma_f32_16x16x16_f16 v[10:13], v[24:25], v[4:5], v[10:13]
	;; [unrolled: 1-line block ×3, first 2 shown]
	v_add_u32_e32 v14, 0x800, v29
	ds_read2_b64 v[22:25], v14 offset0:96 offset1:100
	s_waitcnt lgkmcnt(0)
	v_mfma_f32_16x16x16_f16 v[78:81], v[22:23], v[6:7], 0
	v_mfma_f32_16x16x16_f16 v[22:25], v[24:25], v[8:9], v[78:81]
	s_nop 6
	ds_read2_b64 v[78:81], v14 offset0:104 offset1:108
	ds_read_b64 v[14:15], v29 offset:2944
	s_waitcnt lgkmcnt(1)
	v_mfma_f32_16x16x16_f16 v[22:25], v[78:79], v[2:3], v[22:25]
	v_mfma_f32_16x16x16_f16 v[22:25], v[80:81], v[4:5], v[22:25]
	s_waitcnt lgkmcnt(0)
	v_mfma_f32_16x16x16_f16 v[78:81], v[14:15], v[76:77], v[22:25]
	v_add_u32_e32 v14, 0x1000, v29
	s_nop 4
	ds_read2_b64 v[22:25], v14 offset0:192 offset1:196
	s_waitcnt lgkmcnt(0)
	v_mfma_f32_16x16x16_f16 v[156:159], v[22:23], v[6:7], 0
	v_mfma_f32_16x16x16_f16 v[22:25], v[24:25], v[8:9], v[156:159]
	s_nop 6
	ds_read2_b64 v[156:159], v14 offset0:200 offset1:204
	ds_read_b64 v[14:15], v29 offset:5760
	s_waitcnt lgkmcnt(1)
	v_mfma_f32_16x16x16_f16 v[22:25], v[156:157], v[2:3], v[22:25]
	v_mfma_f32_16x16x16_f16 v[22:25], v[158:159], v[4:5], v[22:25]
	s_waitcnt lgkmcnt(0)
	v_mfma_f32_16x16x16_f16 v[156:159], v[14:15], v[76:77], v[22:25]
	v_add_u32_e32 v14, 0x2000, v29
	s_nop 4
	ds_read2_b64 v[22:25], v14 offset0:32 offset1:36
	s_waitcnt lgkmcnt(0)
	v_mfma_f32_16x16x16_f16 v[160:163], v[22:23], v[6:7], 0
	v_mfma_f32_16x16x16_f16 v[6:9], v[24:25], v[8:9], v[160:163]
	ds_read2_b64 v[22:25], v14 offset0:40 offset1:44
	s_waitcnt lgkmcnt(0)
	v_mfma_f32_16x16x16_f16 v[6:9], v[22:23], v[2:3], v[6:9]
	v_mfma_f32_16x16x16_f16 v[2:5], v[24:25], v[4:5], v[6:9]
	s_nop 6
	ds_read_b64 v[6:7], v29 offset:8576
	s_waitcnt lgkmcnt(0)
	v_mfma_f32_16x16x16_f16 v[160:163], v[6:7], v[76:77], v[2:5]
	s_barrier
	s_nop 1
	ds_read_b32 v2, v104 offset:11264
	s_waitcnt lgkmcnt(0)
	v_cvt_f32_f16_e32 v3, v2
	v_cvt_f32_f16_sdwa v2, v2 dst_sel:DWORD dst_unused:UNUSED_PAD src0_sel:WORD_1
	v_add_f32_e32 v6, v10, v3
	v_add_f32_e32 v7, v11, v2
	ds_read_b32 v2, v105 offset:11264
	v_add_f32_e32 v15, 0x40051340, v7
	s_waitcnt lgkmcnt(0)
	v_cvt_f32_f16_e32 v3, v2
	v_cvt_f32_f16_sdwa v2, v2 dst_sel:DWORD dst_unused:UNUSED_PAD src0_sel:WORD_1
	v_add_f32_e32 v12, v12, v3
	v_add_f32_e32 v13, v13, v2
	v_add_u32_e32 v2, 0x2c00, v145
	ds_read2_b32 v[2:3], v2 offset1:1
	v_add_f32_e32 v21, 0x40051340, v13
	s_waitcnt lgkmcnt(0)
	v_cvt_f32_f16_e32 v4, v2
	v_cvt_f32_f16_sdwa v2, v2 dst_sel:DWORD dst_unused:UNUSED_PAD src0_sel:WORD_1
	v_add_f32_e32 v76, v78, v4
	v_add_f32_e32 v24, v79, v2
	v_cvt_f32_f16_e32 v2, v3
	v_cvt_f32_f16_sdwa v3, v3 dst_sel:DWORD dst_unused:UNUSED_PAD src0_sel:WORD_1
	v_add_f32_e32 v25, v80, v2
	v_add_u32_e32 v2, 0x2c00, v146
	v_add_f32_e32 v23, v81, v3
	ds_read2_b32 v[2:3], v2 offset1:1
	s_waitcnt lgkmcnt(0)
	v_cvt_f32_f16_e32 v4, v2
	v_cvt_f32_f16_sdwa v2, v2 dst_sel:DWORD dst_unused:UNUSED_PAD src0_sel:WORD_1
	v_add_f32_e32 v11, v156, v4
	v_add_f32_e32 v10, v157, v2
	v_cvt_f32_f16_e32 v2, v3
	v_cvt_f32_f16_sdwa v3, v3 dst_sel:DWORD dst_unused:UNUSED_PAD src0_sel:WORD_1
	v_add_f32_e32 v9, v158, v2
	v_add_u32_e32 v2, 0x2c00, v147
	v_add_f32_e32 v4, v159, v3
	ds_read2_b32 v[2:3], v2 offset1:1
	s_waitcnt lgkmcnt(0)
	v_cvt_f32_f16_e32 v5, v2
	v_cvt_f32_f16_sdwa v2, v2 dst_sel:DWORD dst_unused:UNUSED_PAD src0_sel:WORD_1
	v_cvt_f32_f16_sdwa v14, v3 dst_sel:DWORD dst_unused:UNUSED_PAD src0_sel:WORD_1
	v_add_f32_e32 v8, v160, v5
	v_add_f32_e32 v5, v161, v2
	v_cvt_f32_f16_e32 v2, v3
	v_add_f32_e32 v3, v162, v2
	v_add_f32_e32 v2, v163, v14
	;; [unrolled: 1-line block ×3, first 2 shown]
	v_max3_f32 v14, v153, v14, v15
	v_add_f32_e32 v15, 0x40051340, v12
	v_max3_f32 v14, v14, v15, v21
	v_add_f32_e32 v15, 0x40051340, v76
	v_add_f32_e32 v21, 0x40051340, v24
	v_max3_f32 v14, v14, v15, v21
	v_add_f32_e32 v15, 0x40051340, v25
	;; [unrolled: 3-line block ×6, first 2 shown]
	v_add_f32_e32 v21, 0x40051340, v2
	v_max3_f32 v14, v14, v15, v21
	v_and_b32_e32 v15, 64, v150
	v_add_u32_e32 v21, 64, v15
	v_xor_b32_e32 v15, 32, v150
	v_cmp_lt_i32_e32 vcc, v15, v21
	s_nop 1
	v_cndmask_b32_e32 v15, v150, v15, vcc
	v_lshlrev_b32_e32 v15, 2, v15
	ds_bpermute_b32 v22, v15, v14
	s_waitcnt lgkmcnt(0)
	v_max_f32_e32 v22, v22, v22
	v_max_f32_e32 v14, v14, v22
	v_xor_b32_e32 v22, 16, v150
	v_cmp_lt_i32_e32 vcc, v22, v21
	s_nop 1
	v_cndmask_b32_e32 v21, v150, v22, vcc
	v_lshlrev_b32_e32 v22, 2, v21
	ds_bpermute_b32 v21, v22, v14
	s_and_saveexec_b64 s[8:9], s[0:1]
	s_cbranch_execz .LBB9_70
; %bb.69:                               ;   in Loop: Header=BB9_13 Depth=1
	v_lshl_add_u64 v[78:79], v[44:45], 2, s[6:7]
	v_lshlrev_b32_e32 v80, 2, v40
	v_mov_b32_e32 v81, v33
	v_lshl_add_u64 v[78:79], v[78:79], 0, v[80:81]
	global_load_dwordx4 v[78:81], v[78:79], off offset:128
	s_waitcnt vmcnt(0)
	ds_write_b128 v103, v[78:81]
.LBB9_70:                               ;   in Loop: Header=BB9_13 Depth=1
	s_or_b64 exec, exec, s[8:9]
	s_waitcnt lgkmcnt(0)
	v_max_f32_e32 v21, v21, v21
	v_max_f32_e32 v14, v14, v14
	v_max_f32_e32 v14, v14, v21
	v_sub_f32_e32 v6, v6, v14
	v_mul_f32_e32 v21, 0x3fb8aa3b, v6
	v_fma_f32 v77, v6, s41, -v21
	v_rndne_f32_e32 v78, v21
	v_fmac_f32_e32 v77, 0x32a5705f, v6
	v_sub_f32_e32 v21, v21, v78
	v_add_f32_e32 v21, v21, v77
	v_exp_f32_e32 v21, v21
	v_cvt_i32_f32_e32 v77, v78
	v_cmp_ngt_f32_e32 vcc, s63, v6
	v_sub_f32_e32 v7, v7, v14
	v_sub_f32_e32 v12, v12, v14
	v_ldexp_f32 v21, v21, v77
	v_cndmask_b32_e32 v21, 0, v21, vcc
	v_cmp_nlt_f32_e32 vcc, s60, v6
	v_sub_f32_e32 v13, v13, v14
	v_sub_f32_e32 v24, v24, v14
	v_cndmask_b32_e32 v6, v151, v21, vcc
	v_mul_f32_e32 v21, 0x3fb8aa3b, v7
	v_fma_f32 v77, v7, s41, -v21
	v_rndne_f32_e32 v78, v21
	v_fmac_f32_e32 v77, 0x32a5705f, v7
	v_sub_f32_e32 v21, v21, v78
	v_add_f32_e32 v21, v21, v77
	v_exp_f32_e32 v21, v21
	v_cvt_i32_f32_e32 v77, v78
	v_cmp_ngt_f32_e32 vcc, s63, v7
	v_sub_f32_e32 v25, v25, v14
	v_sub_f32_e32 v23, v23, v14
	v_ldexp_f32 v21, v21, v77
	v_mul_f32_e32 v77, 0x3fb8aa3b, v12
	v_fma_f32 v78, v12, s41, -v77
	v_rndne_f32_e32 v79, v77
	v_fmac_f32_e32 v78, 0x32a5705f, v12
	v_sub_f32_e32 v77, v77, v79
	v_add_f32_e32 v77, v77, v78
	v_exp_f32_e32 v77, v77
	v_cvt_i32_f32_e32 v78, v79
	v_cndmask_b32_e32 v21, 0, v21, vcc
	v_cmp_nlt_f32_e32 vcc, s60, v7
	v_sub_f32_e32 v11, v11, v14
	v_ldexp_f32 v77, v77, v78
	v_cndmask_b32_e32 v7, v151, v21, vcc
	v_cmp_ngt_f32_e32 vcc, s63, v12
	v_add_f32_e32 v21, v6, v7
	v_sub_f32_e32 v10, v10, v14
	v_cndmask_b32_e32 v77, 0, v77, vcc
	v_cmp_nlt_f32_e32 vcc, s60, v12
	v_sub_f32_e32 v9, v9, v14
	v_sub_f32_e32 v4, v4, v14
	v_cndmask_b32_e32 v12, v151, v77, vcc
	v_add_f32_e32 v77, v12, v21
	v_mul_f32_e32 v21, 0x3fb8aa3b, v13
	v_fma_f32 v78, v13, s41, -v21
	v_rndne_f32_e32 v79, v21
	v_fmac_f32_e32 v78, 0x32a5705f, v13
	v_sub_f32_e32 v21, v21, v79
	v_add_f32_e32 v21, v21, v78
	v_exp_f32_e32 v21, v21
	v_cvt_i32_f32_e32 v78, v79
	v_cmp_ngt_f32_e32 vcc, s63, v13
	v_sub_f32_e32 v8, v8, v14
	v_sub_f32_e32 v5, v5, v14
	v_ldexp_f32 v21, v21, v78
	v_cndmask_b32_e32 v21, 0, v21, vcc
	v_cmp_nlt_f32_e32 vcc, s60, v13
	v_sub_f32_e32 v13, v76, v14
	v_mul_f32_e32 v76, 0x3fb8aa3b, v13
	v_fma_f32 v78, v13, s41, -v76
	v_rndne_f32_e32 v79, v76
	v_fmac_f32_e32 v78, 0x32a5705f, v13
	v_sub_f32_e32 v76, v76, v79
	v_add_f32_e32 v76, v76, v78
	v_exp_f32_e32 v76, v76
	v_cvt_i32_f32_e32 v78, v79
	v_cndmask_b32_e32 v21, v151, v21, vcc
	v_cmp_ngt_f32_e32 vcc, s63, v13
	v_add_f32_e32 v77, v21, v77
	v_ldexp_f32 v76, v76, v78
	v_cndmask_b32_e32 v76, 0, v76, vcc
	v_cmp_nlt_f32_e32 vcc, s60, v13
	v_sub_f32_e32 v3, v3, v14
	v_sub_f32_e32 v2, v2, v14
	v_cndmask_b32_e32 v13, v151, v76, vcc
	v_add_f32_e32 v76, v13, v77
	v_mul_f32_e32 v77, 0x3fb8aa3b, v24
	v_fma_f32 v78, v24, s41, -v77
	v_rndne_f32_e32 v79, v77
	v_fmac_f32_e32 v78, 0x32a5705f, v24
	v_sub_f32_e32 v77, v77, v79
	v_add_f32_e32 v77, v77, v78
	v_exp_f32_e32 v77, v77
	v_cvt_i32_f32_e32 v78, v79
	v_cmp_ngt_f32_e32 vcc, s63, v24
	s_cmp_eq_u64 s[74:75], 0
	v_ldexp_f32 v77, v77, v78
	v_cndmask_b32_e32 v77, 0, v77, vcc
	v_cmp_nlt_f32_e32 vcc, s60, v24
	s_nop 1
	v_cndmask_b32_e32 v24, v151, v77, vcc
	v_mul_f32_e32 v77, 0x3fb8aa3b, v25
	v_fma_f32 v78, v25, s41, -v77
	v_rndne_f32_e32 v79, v77
	v_fmac_f32_e32 v78, 0x32a5705f, v25
	v_sub_f32_e32 v77, v77, v79
	v_add_f32_e32 v77, v77, v78
	v_exp_f32_e32 v77, v77
	v_cvt_i32_f32_e32 v78, v79
	v_cmp_ngt_f32_e32 vcc, s63, v25
	v_add_f32_e32 v76, v24, v76
	v_ldexp_f32 v77, v77, v78
	v_cndmask_b32_e32 v77, 0, v77, vcc
	v_cmp_nlt_f32_e32 vcc, s60, v25
	s_nop 1
	v_cndmask_b32_e32 v25, v151, v77, vcc
	v_mul_f32_e32 v77, 0x3fb8aa3b, v23
	v_fma_f32 v78, v23, s41, -v77
	v_rndne_f32_e32 v79, v77
	v_fmac_f32_e32 v78, 0x32a5705f, v23
	v_sub_f32_e32 v77, v77, v79
	v_add_f32_e32 v77, v77, v78
	v_exp_f32_e32 v77, v77
	v_cvt_i32_f32_e32 v78, v79
	v_cmp_ngt_f32_e32 vcc, s63, v23
	v_add_f32_e32 v76, v25, v76
	v_ldexp_f32 v77, v77, v78
	v_cndmask_b32_e32 v77, 0, v77, vcc
	v_cmp_nlt_f32_e32 vcc, s60, v23
	s_nop 1
	v_cndmask_b32_e32 v78, v151, v77, vcc
	v_add_f32_e32 v23, v78, v76
	v_mul_f32_e32 v76, 0x3fb8aa3b, v11
	v_fma_f32 v77, v11, s41, -v76
	v_rndne_f32_e32 v79, v76
	v_fmac_f32_e32 v77, 0x32a5705f, v11
	v_sub_f32_e32 v76, v76, v79
	v_add_f32_e32 v76, v76, v77
	v_exp_f32_e32 v76, v76
	v_cvt_i32_f32_e32 v77, v79
	v_cmp_ngt_f32_e32 vcc, s63, v11
	v_ldexp_f32 v76, v76, v77
	s_nop 0
	v_cndmask_b32_e32 v76, 0, v76, vcc
	v_cmp_nlt_f32_e32 vcc, s60, v11
	s_nop 1
	v_cndmask_b32_e32 v79, v151, v76, vcc
	v_add_f32_e32 v11, v79, v23
	v_mul_f32_e32 v23, 0x3fb8aa3b, v10
	v_fma_f32 v76, v10, s41, -v23
	v_rndne_f32_e32 v77, v23
	v_fmac_f32_e32 v76, 0x32a5705f, v10
	v_sub_f32_e32 v23, v23, v77
	v_add_f32_e32 v23, v23, v76
	v_exp_f32_e32 v23, v23
	v_cvt_i32_f32_e32 v76, v77
	v_cmp_ngt_f32_e32 vcc, s63, v10
	v_ldexp_f32 v23, v23, v76
	s_nop 0
	;; [unrolled: 16-line block ×5, first 2 shown]
	v_cndmask_b32_e32 v9, 0, v9, vcc
	v_cmp_nlt_f32_e32 vcc, s60, v8
	v_mul_f32_e32 v8, 0x3fb8aa3b, v5
	v_rndne_f32_e32 v10, v8
	v_cndmask_b32_e32 v87, v151, v9, vcc
	v_fma_f32 v9, v5, s41, -v8
	v_fmac_f32_e32 v9, 0x32a5705f, v5
	v_sub_f32_e32 v8, v8, v10
	v_add_f32_e32 v8, v8, v9
	v_exp_f32_e32 v8, v8
	v_cvt_i32_f32_e32 v9, v10
	v_cmp_ngt_f32_e32 vcc, s63, v5
	v_add_f32_e32 v4, v87, v4
	v_ldexp_f32 v8, v8, v9
	v_cndmask_b32_e32 v8, 0, v8, vcc
	v_cmp_nlt_f32_e32 vcc, s60, v5
	v_mul_f32_e32 v5, 0x3fb8aa3b, v3
	v_rndne_f32_e32 v9, v5
	v_cndmask_b32_e32 v89, v151, v8, vcc
	v_fma_f32 v8, v3, s41, -v5
	v_fmac_f32_e32 v8, 0x32a5705f, v3
	v_sub_f32_e32 v5, v5, v9
	v_add_f32_e32 v5, v5, v8
	v_exp_f32_e32 v5, v5
	v_cvt_i32_f32_e32 v8, v9
	v_cmp_ngt_f32_e32 vcc, s63, v3
	v_add_f32_e32 v4, v89, v4
	v_ldexp_f32 v5, v5, v8
	v_cndmask_b32_e32 v5, 0, v5, vcc
	v_cmp_nlt_f32_e32 vcc, s60, v3
	s_nop 1
	v_cndmask_b32_e32 v155, v151, v5, vcc
	v_add_f32_e32 v3, v155, v4
	v_mul_f32_e32 v4, 0x3fb8aa3b, v2
	v_fma_f32 v5, v2, s41, -v4
	v_rndne_f32_e32 v8, v4
	v_fmac_f32_e32 v5, 0x32a5705f, v2
	v_sub_f32_e32 v4, v4, v8
	v_add_f32_e32 v4, v4, v5
	v_exp_f32_e32 v4, v4
	v_cvt_i32_f32_e32 v5, v8
	v_cmp_ngt_f32_e32 vcc, s63, v2
	v_ldexp_f32 v4, v4, v5
	s_nop 0
	v_cndmask_b32_e32 v4, 0, v4, vcc
	v_cmp_nlt_f32_e32 vcc, s60, v2
	v_sub_f32_e32 v2, v153, v14
	s_nop 0
	v_cndmask_b32_e32 v156, v151, v4, vcc
	v_add_f32_e32 v23, v156, v3
	v_mul_f32_e32 v3, 0x3fb8aa3b, v2
	v_fma_f32 v4, v2, s41, -v3
	v_rndne_f32_e32 v5, v3
	v_fmac_f32_e32 v4, 0x32a5705f, v2
	v_sub_f32_e32 v3, v3, v5
	v_add_f32_e32 v3, v3, v4
	v_exp_f32_e32 v3, v3
	v_cvt_i32_f32_e32 v4, v5
	v_cmp_ngt_f32_e32 vcc, s63, v2
	v_ldexp_f32 v3, v3, v4
	s_nop 0
	v_cndmask_b32_e32 v3, 0, v3, vcc
	v_cmp_nlt_f32_e32 vcc, s60, v2
	s_nop 1
	v_cndmask_b32_e32 v3, v151, v3, vcc
	v_cmp_le_f32_e32 vcc, s61, v2
	s_nop 1
	v_cndmask_b32_e32 v2, 0, v3, vcc
	v_fmac_f32_e32 v23, v154, v2
	v_cvt_f16_f32_e32 v2, v2
	v_mul_u32_u24_e32 v2, 0x10001, v2
	v_pk_mul_f16 v153, v86, v2
	v_pk_mul_f16 v86, v85, v2
	;; [unrolled: 1-line block ×10, first 2 shown]
	v_lshl_add_u64 v[2:3], v[48:49], 2, s[6:7]
	v_lshl_add_u64 v[2:3], v[2:3], 0, v[32:33]
	global_load_dwordx4 v[2:5], v[2:3], off
	v_cvt_pk_f16_f32 v20, v79, v80
	v_cvt_f32_f16_e32 v80, v8
	s_waitcnt vmcnt(0)
	ds_write_b128 v100, v[2:5]
	v_lshl_add_u64 v[2:3], v[46:47], 2, s[6:7]
	v_lshl_add_u64 v[2:3], v[2:3], 0, v[32:33]
	global_load_dwordx4 v[2:5], v[2:3], off
	s_waitcnt vmcnt(0)
	ds_write_b128 v102, v[2:5]
	s_waitcnt lgkmcnt(0)
	s_barrier
	ds_read_u16 v16, v106 offset:176
	ds_read_u16 v17, v107
	ds_read_u16 v32, v107 offset:32
	ds_read_u16 v18, v108
	ds_read_u16 v83, v108 offset:32
	v_cvt_f32_f16_e32 v2, v153
	v_cvt_f32_f16_sdwa v3, v153 dst_sel:DWORD dst_unused:UNUSED_PAD src0_sel:WORD_1
	v_cvt_f32_f16_e32 v4, v86
	s_waitcnt lgkmcnt(1)
	v_perm_b32 v19, v18, v17, s62
	ds_read_u16 v17, v106
	ds_read_u16 v84, v106 offset:32
	v_cvt_f32_f16_sdwa v5, v86 dst_sel:DWORD dst_unused:UNUSED_PAD src0_sel:WORD_1
	s_waitcnt lgkmcnt(2)
	v_perm_b32 v79, v83, v32, s62
	s_waitcnt lgkmcnt(1)
	v_perm_b32 v18, v16, v17, s62
	v_cvt_pk_f16_f32 v17, v12, v21
	v_cvt_pk_f16_f32 v16, v6, v7
	;; [unrolled: 1-line block ×3, first 2 shown]
	v_cvt_f32_f16_sdwa v81, v8 dst_sel:DWORD dst_unused:UNUSED_PAD src0_sel:WORD_1
	v_mfma_f32_16x16x16_f16 v[2:5], v[18:19], v[16:17], v[2:5]
	ds_read_u16 v6, v106 offset:2816
	ds_read_u16 v12, v106 offset:2992
	;; [unrolled: 1-line block ×4, first 2 shown]
	v_cvt_pk_f16_f32 v19, v25, v78
	s_nop 2
	v_cvt_f16_f32_e32 v2, v2
	v_cvt_f16_f32_e32 v3, v3
	;; [unrolled: 1-line block ×4, first 2 shown]
	s_waitcnt lgkmcnt(0)
	v_perm_b32 v7, v18, v7, s62
	v_perm_b32 v6, v12, v6, s62
	v_cvt_f32_f16_e32 v2, v2
	v_cvt_f32_f16_e32 v3, v3
	;; [unrolled: 1-line block ×4, first 2 shown]
	v_cvt_pk_f16_f32 v18, v13, v24
	s_nop 1
	v_mfma_f32_16x16x16_f16 v[2:5], v[6:7], v[18:19], v[2:5]
	ds_read_u16 v6, v106 offset:5632
	ds_read_u16 v12, v106 offset:5808
	;; [unrolled: 1-line block ×4, first 2 shown]
	s_waitcnt lgkmcnt(2)
	v_perm_b32 v6, v12, v6, s62
	s_nop 1
	v_cvt_f16_f32_e32 v2, v2
	v_cvt_f16_f32_e32 v3, v3
	;; [unrolled: 1-line block ×4, first 2 shown]
	s_waitcnt lgkmcnt(0)
	v_perm_b32 v7, v13, v7, s62
	v_cvt_f32_f16_e32 v2, v2
	v_cvt_f32_f16_e32 v3, v3
	;; [unrolled: 1-line block ×4, first 2 shown]
	s_nop 1
	v_mfma_f32_16x16x16_f16 v[2:5], v[6:7], v[20:21], v[2:5]
	ds_read_u16 v6, v106 offset:8448
	ds_read_u16 v12, v106 offset:8624
	;; [unrolled: 1-line block ×5, first 2 shown]
	s_nop 2
	v_cvt_f16_f32_e32 v2, v2
	v_cvt_f16_f32_e32 v3, v3
	;; [unrolled: 1-line block ×4, first 2 shown]
	s_waitcnt lgkmcnt(1)
	v_perm_b32 v7, v13, v7, s62
	v_perm_b32 v6, v12, v6, s62
	v_cvt_f32_f16_e32 v2, v2
	v_cvt_f32_f16_e32 v3, v3
	;; [unrolled: 1-line block ×4, first 2 shown]
	v_cvt_pk_f16_f32 v13, v155, v156
	v_cvt_pk_f16_f32 v12, v87, v89
	s_waitcnt lgkmcnt(0)
	v_perm_b32 v78, v25, v84, s62
	v_mfma_f32_16x16x16_f16 v[2:5], v[6:7], v[12:13], v[2:5]
	v_cvt_f32_f16_e32 v6, v82
	v_cvt_f32_f16_sdwa v7, v82 dst_sel:DWORD dst_unused:UNUSED_PAD src0_sel:WORD_1
	s_nop 5
	v_cvt_f16_f32_e32 v4, v4
	v_cvt_f16_f32_e32 v5, v5
	v_perm_b32 v24, v5, v4, s62
	v_cvt_f32_f16_e32 v4, v85
	v_cvt_f32_f16_sdwa v5, v85 dst_sel:DWORD dst_unused:UNUSED_PAD src0_sel:WORD_1
	s_nop 1
	v_mfma_f32_16x16x16_f16 v[4:7], v[78:79], v[16:17], v[4:7]
	ds_read_u16 v25, v106 offset:2848
	ds_read_u16 v32, v106 offset:3024
	ds_read_u16 v78, v107 offset:2848
	ds_read_u16 v79, v108 offset:2848
	s_nop 3
	v_cvt_f16_f32_e32 v4, v4
	v_cvt_f16_f32_e32 v5, v5
	v_cvt_f16_f32_e32 v6, v6
	v_cvt_f16_f32_e32 v7, v7
	s_waitcnt lgkmcnt(0)
	v_perm_b32 v79, v79, v78, s62
	v_perm_b32 v78, v32, v25, s62
	v_cvt_f32_f16_e32 v4, v4
	v_cvt_f32_f16_e32 v5, v5
	v_cvt_f32_f16_e32 v6, v6
	v_cvt_f32_f16_e32 v7, v7
	s_nop 1
	v_mfma_f32_16x16x16_f16 v[4:7], v[78:79], v[18:19], v[4:7]
	ds_read_u16 v25, v106 offset:5664
	ds_read_u16 v32, v106 offset:5840
	ds_read_u16 v78, v107 offset:5664
	ds_read_u16 v79, v108 offset:5664
	s_nop 3
	v_cvt_f16_f32_e32 v4, v4
	v_cvt_f16_f32_e32 v5, v5
	v_cvt_f16_f32_e32 v6, v6
	v_cvt_f16_f32_e32 v7, v7
	s_waitcnt lgkmcnt(0)
	v_perm_b32 v79, v79, v78, s62
	v_perm_b32 v78, v32, v25, s62
	v_cvt_f32_f16_e32 v4, v4
	v_cvt_f32_f16_e32 v5, v5
	v_cvt_f32_f16_e32 v6, v6
	v_cvt_f32_f16_e32 v7, v7
	;; [unrolled: 18-line block ×3, first 2 shown]
	s_nop 1
	v_mfma_f32_16x16x16_f16 v[4:7], v[78:79], v[12:13], v[4:7]
	v_cvt_f32_f16_e32 v78, v9
	v_cvt_f32_f16_sdwa v79, v9 dst_sel:DWORD dst_unused:UNUSED_PAD src0_sel:WORD_1
	s_nop 5
	v_cvt_f16_f32_e32 v6, v6
	v_cvt_f16_f32_e32 v7, v7
	v_perm_b32 v25, v7, v6, s62
	ds_read_u16 v6, v106 offset:64
	ds_read_u16 v32, v106 offset:240
	ds_read_u16 v7, v107 offset:64
	ds_read_u16 v82, v108 offset:64
	s_waitcnt lgkmcnt(2)
	v_perm_b32 v6, v32, v6, s62
	s_waitcnt lgkmcnt(0)
	v_perm_b32 v7, v82, v7, s62
	s_nop 1
	v_mfma_f32_16x16x16_f16 v[6:9], v[6:7], v[16:17], v[78:81]
	ds_read_u16 v32, v106 offset:2880
	s_nop 1
	ds_read_u16 v78, v106 offset:3056
	ds_read_u16 v79, v107 offset:2880
	;; [unrolled: 1-line block ×3, first 2 shown]
	v_cvt_f32_f16_sdwa v81, v10 dst_sel:DWORD dst_unused:UNUSED_PAD src0_sel:WORD_1
	s_nop 0
	v_cvt_f16_f32_e32 v6, v6
	v_cvt_f16_f32_e32 v7, v7
	;; [unrolled: 1-line block ×4, first 2 shown]
	s_waitcnt lgkmcnt(0)
	v_perm_b32 v79, v80, v79, s62
	v_perm_b32 v78, v78, v32, s62
	v_cvt_f32_f16_e32 v6, v6
	v_cvt_f32_f16_e32 v7, v7
	;; [unrolled: 1-line block ×4, first 2 shown]
	s_nop 1
	v_mfma_f32_16x16x16_f16 v[6:9], v[78:79], v[18:19], v[6:9]
	ds_read_u16 v32, v106 offset:5696
	ds_read_u16 v78, v106 offset:5872
	;; [unrolled: 1-line block ×4, first 2 shown]
	s_nop 3
	v_cvt_f16_f32_e32 v6, v6
	v_cvt_f16_f32_e32 v7, v7
	;; [unrolled: 1-line block ×4, first 2 shown]
	s_waitcnt lgkmcnt(0)
	v_perm_b32 v79, v80, v79, s62
	v_perm_b32 v78, v78, v32, s62
	v_cvt_f32_f16_e32 v6, v6
	v_cvt_f32_f16_e32 v7, v7
	;; [unrolled: 1-line block ×4, first 2 shown]
	s_nop 1
	v_mfma_f32_16x16x16_f16 v[6:9], v[78:79], v[20:21], v[6:9]
	ds_read_u16 v32, v106 offset:8512
	ds_read_u16 v78, v106 offset:8688
	;; [unrolled: 1-line block ×4, first 2 shown]
	s_nop 3
	v_cvt_f16_f32_e32 v6, v6
	v_cvt_f16_f32_e32 v7, v7
	;; [unrolled: 1-line block ×4, first 2 shown]
	s_waitcnt lgkmcnt(0)
	v_perm_b32 v79, v80, v79, s62
	v_perm_b32 v78, v78, v32, s62
	v_cvt_f32_f16_e32 v6, v6
	v_cvt_f32_f16_e32 v7, v7
	;; [unrolled: 1-line block ×5, first 2 shown]
	s_nop 0
	v_mfma_f32_16x16x16_f16 v[6:9], v[78:79], v[12:13], v[6:9]
	v_cvt_f32_f16_e32 v78, v11
	v_cvt_f32_f16_sdwa v79, v11 dst_sel:DWORD dst_unused:UNUSED_PAD src0_sel:WORD_1
	s_nop 5
	v_cvt_f16_f32_e32 v8, v8
	v_cvt_f16_f32_e32 v9, v9
	v_perm_b32 v32, v9, v8, s62
	ds_read_u16 v8, v106 offset:96
	ds_read_u16 v82, v106 offset:272
	;; [unrolled: 1-line block ×4, first 2 shown]
	s_waitcnt lgkmcnt(2)
	v_perm_b32 v8, v82, v8, s62
	v_cvt_f32_f16_e32 v82, v76
	s_waitcnt lgkmcnt(0)
	v_perm_b32 v9, v83, v9, s62
	v_cvt_f32_f16_sdwa v83, v76 dst_sel:DWORD dst_unused:UNUSED_PAD src0_sel:WORD_1
	s_nop 0
	v_mfma_f32_16x16x16_f16 v[8:11], v[8:9], v[16:17], v[78:81]
	s_nop 2
	ds_read_u16 v78, v106 offset:2912
	ds_read_u16 v80, v106 offset:3088
	;; [unrolled: 1-line block ×4, first 2 shown]
	s_nop 0
	v_cvt_f16_f32_e32 v8, v8
	v_cvt_f16_f32_e32 v9, v9
	;; [unrolled: 1-line block ×4, first 2 shown]
	s_waitcnt lgkmcnt(0)
	v_perm_b32 v79, v81, v79, s62
	v_perm_b32 v78, v80, v78, s62
	v_cvt_f32_f16_e32 v8, v8
	v_cvt_f32_f16_e32 v9, v9
	v_cvt_f32_f16_e32 v10, v10
	v_cvt_f32_f16_e32 v11, v11
	s_nop 1
	v_mfma_f32_16x16x16_f16 v[8:11], v[78:79], v[18:19], v[8:11]
	ds_read_u16 v78, v106 offset:5728
	ds_read_u16 v80, v106 offset:5904
	;; [unrolled: 1-line block ×4, first 2 shown]
	s_nop 3
	v_cvt_f16_f32_e32 v8, v8
	v_cvt_f16_f32_e32 v9, v9
	;; [unrolled: 1-line block ×4, first 2 shown]
	s_waitcnt lgkmcnt(0)
	v_perm_b32 v79, v81, v79, s62
	v_perm_b32 v78, v80, v78, s62
	v_cvt_f32_f16_e32 v8, v8
	v_cvt_f32_f16_e32 v9, v9
	;; [unrolled: 1-line block ×4, first 2 shown]
	s_nop 1
	v_mfma_f32_16x16x16_f16 v[8:11], v[78:79], v[20:21], v[8:11]
	ds_read_u16 v78, v106 offset:8544
	ds_read_u16 v80, v106 offset:8720
	;; [unrolled: 1-line block ×4, first 2 shown]
	s_nop 3
	v_cvt_f16_f32_e32 v8, v8
	v_cvt_f16_f32_e32 v9, v9
	;; [unrolled: 1-line block ×4, first 2 shown]
	s_waitcnt lgkmcnt(0)
	v_perm_b32 v79, v81, v79, s62
	v_perm_b32 v78, v80, v78, s62
	v_cvt_f32_f16_e32 v8, v8
	v_cvt_f32_f16_e32 v9, v9
	;; [unrolled: 1-line block ×5, first 2 shown]
	v_cvt_f32_f16_sdwa v81, v77 dst_sel:DWORD dst_unused:UNUSED_PAD src0_sel:WORD_1
	v_mfma_f32_16x16x16_f16 v[8:11], v[78:79], v[12:13], v[8:11]
	s_nop 7
	v_cvt_f16_f32_e32 v10, v10
	v_cvt_f16_f32_e32 v11, v11
	v_perm_b32 v78, v11, v10, s62
	ds_read_u16 v10, v106 offset:128
	ds_read_u16 v79, v106 offset:304
	;; [unrolled: 1-line block ×4, first 2 shown]
	s_waitcnt lgkmcnt(2)
	v_perm_b32 v10, v79, v10, s62
	s_waitcnt lgkmcnt(0)
	v_perm_b32 v11, v84, v11, s62
	ds_read_u16 v76, v106 offset:2944
	ds_read_u16 v77, v106 offset:3120
	;; [unrolled: 1-line block ×4, first 2 shown]
	v_mfma_f32_16x16x16_f16 v[80:83], v[10:11], v[16:17], v[80:83]
	s_nop 7
	v_cvt_f16_f32_e32 v10, v80
	v_cvt_f16_f32_e32 v11, v81
	;; [unrolled: 1-line block ×4, first 2 shown]
	v_cvt_f32_f16_e32 v80, v10
	v_cvt_f32_f16_e32 v81, v11
	s_waitcnt lgkmcnt(0)
	v_perm_b32 v11, v84, v79, s62
	v_perm_b32 v10, v77, v76, s62
	v_cvt_f32_f16_e32 v82, v16
	v_cvt_f32_f16_e32 v83, v17
	s_nop 1
	v_mfma_f32_16x16x16_f16 v[16:19], v[10:11], v[18:19], v[80:83]
	ds_read_u16 v76, v106 offset:5760
	ds_read_u16 v77, v106 offset:5936
	;; [unrolled: 1-line block ×4, first 2 shown]
	s_nop 3
	v_cvt_f16_f32_e32 v10, v16
	v_cvt_f16_f32_e32 v11, v17
	;; [unrolled: 1-line block ×4, first 2 shown]
	v_cvt_f32_f16_e32 v16, v10
	v_cvt_f32_f16_e32 v17, v11
	s_waitcnt lgkmcnt(0)
	v_perm_b32 v11, v80, v79, s62
	v_perm_b32 v10, v77, v76, s62
	v_cvt_f32_f16_e32 v18, v18
	v_cvt_f32_f16_e32 v19, v19
	s_nop 1
	v_mfma_f32_16x16x16_f16 v[16:19], v[10:11], v[20:21], v[16:19]
	ds_read_u16 v10, v106 offset:8576
	ds_read_u16 v11, v106 offset:8752
	;; [unrolled: 1-line block ×4, first 2 shown]
	s_waitcnt lgkmcnt(0)
	s_barrier
	s_nop 1
	v_cvt_f16_f32_e32 v16, v16
	v_cvt_f16_f32_e32 v17, v17
	;; [unrolled: 1-line block ×4, first 2 shown]
	v_perm_b32 v21, v21, v20, s62
	v_perm_b32 v20, v11, v10, s62
	v_cvt_f32_f16_e32 v16, v16
	v_cvt_f32_f16_e32 v17, v17
	;; [unrolled: 1-line block ×4, first 2 shown]
	s_nop 1
	v_mfma_f32_16x16x16_f16 v[10:13], v[20:21], v[12:13], v[16:19]
	s_nop 7
	v_cvt_f16_f32_e32 v12, v12
	v_cvt_f16_f32_e32 v13, v13
	v_perm_b32 v12, v13, v12, s62
	ds_bpermute_b32 v13, v15, v23
	s_waitcnt lgkmcnt(0)
	v_add_f32_e32 v13, v23, v13
	ds_bpermute_b32 v15, v22, v13
	s_waitcnt lgkmcnt(0)
	v_add_f32_e32 v15, v13, v15
	s_cbranch_scc1 .LBB9_72
; %bb.71:                               ;   in Loop: Header=BB9_13 Depth=1
	v_cvt_pk_f16_f32 v3, v2, v3
	v_lshlrev_b32_e32 v2, 2, v28
	v_cvt_pk_f16_f32 v4, v4, v5
	global_load_dword v5, v2, s[74:75]
	v_cvt_pk_f16_f32 v6, v6, v7
	v_cvt_pk_f16_f32 v7, v8, v9
	v_max_f32_e32 v9, v14, v14
	v_cvt_pk_f16_f32 v8, v10, v11
	s_waitcnt vmcnt(0)
	v_max_f32_e32 v2, v5, v5
	v_max_f32_e32 v2, v9, v2
	v_sub_f32_e32 v9, v14, v2
	v_mul_f32_e32 v10, 0x3fb8aa3b, v9
	v_fma_f32 v11, v9, s41, -v10
	v_rndne_f32_e32 v13, v10
	v_fmac_f32_e32 v11, 0x32a5705f, v9
	v_sub_f32_e32 v10, v10, v13
	v_add_f32_e32 v10, v10, v11
	v_exp_f32_e32 v10, v10
	v_cvt_i32_f32_e32 v11, v13
	v_cmp_ngt_f32_e32 vcc, s63, v9
	v_ldexp_f32 v10, v10, v11
	s_nop 0
	v_cndmask_b32_e32 v10, 0, v10, vcc
	v_cmp_nlt_f32_e32 vcc, s60, v9
	s_nop 1
	v_cndmask_b32_e32 v10, v151, v10, vcc
	v_cmp_le_f32_e32 vcc, s61, v9
	s_nop 1
	v_cndmask_b32_e32 v9, 0, v10, vcc
	v_sub_f32_e32 v10, v5, v2
	v_cvt_f16_f32_e32 v5, v9
	v_cmp_ngt_f32_e32 vcc, s63, v10
	v_mul_u32_u24_e32 v11, 0x10001, v5
	v_pk_mul_f16 v5, v3, v11
	v_mul_f32_e32 v3, 0x3fb8aa3b, v10
	v_pk_mul_f16 v24, v24, v11
	v_pk_mul_f16 v4, v4, v11
	;; [unrolled: 1-line block ×9, first 2 shown]
	v_fma_f32 v11, v10, s41, -v3
	v_rndne_f32_e32 v13, v3
	v_fmac_f32_e32 v11, 0x32a5705f, v10
	v_sub_f32_e32 v3, v3, v13
	v_add_f32_e32 v3, v3, v11
	v_exp_f32_e32 v3, v3
	v_cvt_i32_f32_e32 v11, v13
	v_ldexp_f32 v3, v3, v11
	v_cndmask_b32_e32 v3, 0, v3, vcc
	v_cmp_nlt_f32_e32 vcc, s60, v10
	s_nop 1
	v_cndmask_b32_e32 v3, v151, v3, vcc
	v_fmac_f32_e32 v3, v15, v9
	v_mov_b64_e32 v[14:15], v[2:3]
	s_branch .LBB9_73
.LBB9_72:                               ;   in Loop: Header=BB9_13 Depth=1
	v_cvt_f16_f32_e32 v2, v2
	v_cvt_f16_f32_e32 v3, v3
	v_cvt_f16_f32_e32 v4, v4
	v_cvt_f16_f32_e32 v5, v5
	v_cvt_f16_f32_e32 v6, v6
	v_cvt_f16_f32_e32 v7, v7
	v_cvt_f16_f32_e32 v8, v8
	v_cvt_f16_f32_e32 v9, v9
	v_cvt_f16_f32_e32 v10, v10
	v_cvt_f16_f32_e32 v11, v11
	v_perm_b32 v4, v5, v4, s62
	v_perm_b32 v5, v3, v2, s62
	;; [unrolled: 1-line block ×5, first 2 shown]
.LBB9_73:                               ;   in Loop: Header=BB9_13 Depth=1
	s_barrier
	s_mov_b64 s[6:7], exec
	v_readlane_b32 s8, v181, 20
	v_readlane_b32 s9, v181, 21
	s_and_b64 s[8:9], s[6:7], s[8:9]
	s_mov_b64 exec, s[8:9]
	s_cbranch_execz .LBB9_75
; %bb.74:                               ;   in Loop: Header=BB9_13 Depth=1
	global_store_dwordx2 v[50:51], v[14:15], off
.LBB9_75:                               ;   in Loop: Header=BB9_13 Depth=1
	s_or_b64 exec, exec, s[6:7]
	v_cmp_gt_i32_e64 s[6:7], s28, v152
	v_cmp_gt_i32_e64 s[8:9], s33, v90
	v_cmp_le_i32_e32 vcc, s33, v90
	s_and_b64 s[8:9], s[6:7], s[8:9]
	v_mov_b32_e32 v2, 50
	ds_write2_b32 v109, v5, v24 offset1:1
	ds_write2_b32 v109, v4, v25 offset0:8 offset1:9
	ds_write2_b32 v109, v6, v32 offset0:16 offset1:17
	;; [unrolled: 1-line block ×4, first 2 shown]
	s_waitcnt lgkmcnt(0)
	s_barrier
	s_and_saveexec_b64 s[6:7], s[8:9]
	s_cbranch_execz .LBB9_77
; %bb.76:                               ;   in Loop: Header=BB9_13 Depth=1
	v_add_u32_e32 v2, v125, v149
	ds_read_b32 v5, v2
	v_mad_u64_u32 v[2:3], s[8:9], v152, s29, v[64:65]
	v_mad_u64_u32 v[2:3], s[8:9], v2, 40, v[26:27]
	s_waitcnt lgkmcnt(0)
	v_cvt_f32_f16_e32 v4, v5
	v_cvt_f32_f16_sdwa v5, v5 dst_sel:DWORD dst_unused:UNUSED_PAD src0_sel:WORD_1
	v_ashrrev_i32_e32 v3, 31, v2
	v_lshl_add_u64 v[2:3], v[2:3], 3, s[72:73]
	v_pk_add_f32 v[4:5], v[4:5], 0 op_sel_hi:[1,0]
	global_store_dwordx2 v[2:3], v[4:5], off
	v_mov_b32_e32 v2, 0
.LBB9_77:                               ;   in Loop: Header=BB9_13 Depth=1
	s_or_b64 exec, exec, s[6:7]
	v_cmp_gt_i32_e64 s[6:7], 50, v2
	s_mov_b64 s[82:83], -1
	s_and_saveexec_b64 s[8:9], s[6:7]
; %bb.78:                               ;   in Loop: Header=BB9_13 Depth=1
	v_cmp_eq_u32_e64 s[6:7], 0, v2
	s_orn2_b64 s[82:83], s[6:7], exec
; %bb.79:                               ;   in Loop: Header=BB9_13 Depth=1
	s_or_b64 exec, exec, s[8:9]
	s_and_saveexec_b64 s[8:9], s[82:83]
	s_cbranch_execz .LBB9_112
; %bb.80:                               ;   in Loop: Header=BB9_13 Depth=1
	v_cmp_gt_i32_e64 s[6:7], s28, v99
	s_xor_b64 s[82:83], vcc, -1
	s_and_b64 s[84:85], s[6:7], s[82:83]
	v_mov_b32_e32 v2, 50
	s_and_saveexec_b64 s[6:7], s[84:85]
	s_cbranch_execz .LBB9_82
; %bb.81:                               ;   in Loop: Header=BB9_13 Depth=1
	v_add_u32_e32 v2, v125, v149
	ds_read_b32 v5, v2 offset:1408
	v_mad_u64_u32 v[2:3], s[84:85], v99, s29, v[64:65]
	v_mad_u64_u32 v[2:3], s[84:85], v2, 40, v[26:27]
	s_waitcnt lgkmcnt(0)
	v_cvt_f32_f16_e32 v4, v5
	v_cvt_f32_f16_sdwa v5, v5 dst_sel:DWORD dst_unused:UNUSED_PAD src0_sel:WORD_1
	v_ashrrev_i32_e32 v3, 31, v2
	v_lshl_add_u64 v[2:3], v[2:3], 3, s[72:73]
	v_pk_add_f32 v[4:5], v[4:5], 0 op_sel_hi:[1,0]
	global_store_dwordx2 v[2:3], v[4:5], off
	v_mov_b32_e32 v2, 0
.LBB9_82:                               ;   in Loop: Header=BB9_13 Depth=1
	s_or_b64 exec, exec, s[6:7]
	v_cmp_gt_i32_e32 vcc, 50, v2
	s_mov_b64 s[6:7], -1
	s_and_saveexec_b64 s[84:85], vcc
; %bb.83:                               ;   in Loop: Header=BB9_13 Depth=1
	v_cmp_eq_u32_e32 vcc, 0, v2
	s_orn2_b64 s[6:7], vcc, exec
; %bb.84:                               ;   in Loop: Header=BB9_13 Depth=1
	s_or_b64 exec, exec, s[84:85]
	s_and_b64 exec, exec, s[6:7]
	s_cbranch_execz .LBB9_112
; %bb.85:                               ;   in Loop: Header=BB9_13 Depth=1
	v_cmp_gt_i32_e32 vcc, s28, v98
	s_and_b64 s[84:85], vcc, s[82:83]
	v_mov_b32_e32 v2, 50
	s_and_saveexec_b64 s[6:7], s[84:85]
	s_cbranch_execz .LBB9_87
; %bb.86:                               ;   in Loop: Header=BB9_13 Depth=1
	ds_read_b32 v5, v139
	v_mad_u64_u32 v[2:3], s[84:85], v98, s29, v[64:65]
	v_mad_u64_u32 v[2:3], s[84:85], v2, 40, v[26:27]
	s_waitcnt lgkmcnt(0)
	v_cvt_f32_f16_e32 v4, v5
	v_cvt_f32_f16_sdwa v5, v5 dst_sel:DWORD dst_unused:UNUSED_PAD src0_sel:WORD_1
	v_ashrrev_i32_e32 v3, 31, v2
	v_lshl_add_u64 v[2:3], v[2:3], 3, s[72:73]
	v_pk_add_f32 v[4:5], v[4:5], 0 op_sel_hi:[1,0]
	global_store_dwordx2 v[2:3], v[4:5], off
	v_mov_b32_e32 v2, 0
.LBB9_87:                               ;   in Loop: Header=BB9_13 Depth=1
	s_or_b64 exec, exec, s[6:7]
	v_cmp_gt_i32_e32 vcc, 50, v2
	s_mov_b64 s[6:7], -1
	s_and_saveexec_b64 s[84:85], vcc
; %bb.88:                               ;   in Loop: Header=BB9_13 Depth=1
	v_cmp_eq_u32_e32 vcc, 0, v2
	s_orn2_b64 s[6:7], vcc, exec
; %bb.89:                               ;   in Loop: Header=BB9_13 Depth=1
	s_or_b64 exec, exec, s[84:85]
	s_and_b64 exec, exec, s[6:7]
	s_cbranch_execz .LBB9_112
; %bb.90:                               ;   in Loop: Header=BB9_13 Depth=1
	v_cmp_gt_i32_e32 vcc, s28, v97
	s_and_b64 s[84:85], vcc, s[82:83]
	v_mov_b32_e32 v2, 50
	s_and_saveexec_b64 s[6:7], s[84:85]
	s_cbranch_execz .LBB9_92
; %bb.91:                               ;   in Loop: Header=BB9_13 Depth=1
	v_add_u32_e32 v2, v125, v149
	ds_read_b32 v5, v2 offset:4224
	v_mad_u64_u32 v[2:3], s[84:85], v97, s29, v[64:65]
	v_mad_u64_u32 v[2:3], s[84:85], v2, 40, v[26:27]
	s_waitcnt lgkmcnt(0)
	v_cvt_f32_f16_e32 v4, v5
	v_cvt_f32_f16_sdwa v5, v5 dst_sel:DWORD dst_unused:UNUSED_PAD src0_sel:WORD_1
	v_ashrrev_i32_e32 v3, 31, v2
	v_lshl_add_u64 v[2:3], v[2:3], 3, s[72:73]
	v_pk_add_f32 v[4:5], v[4:5], 0 op_sel_hi:[1,0]
	global_store_dwordx2 v[2:3], v[4:5], off
	v_mov_b32_e32 v2, 0
.LBB9_92:                               ;   in Loop: Header=BB9_13 Depth=1
	s_or_b64 exec, exec, s[6:7]
	v_cmp_gt_i32_e32 vcc, 50, v2
	s_mov_b64 s[6:7], -1
	s_and_saveexec_b64 s[84:85], vcc
; %bb.93:                               ;   in Loop: Header=BB9_13 Depth=1
	v_cmp_eq_u32_e32 vcc, 0, v2
	s_orn2_b64 s[6:7], vcc, exec
; %bb.94:                               ;   in Loop: Header=BB9_13 Depth=1
	s_or_b64 exec, exec, s[84:85]
	s_and_b64 exec, exec, s[6:7]
	s_cbranch_execz .LBB9_112
; %bb.95:                               ;   in Loop: Header=BB9_13 Depth=1
	v_cmp_gt_i32_e32 vcc, s28, v96
	s_and_b64 s[84:85], vcc, s[82:83]
	v_mov_b32_e32 v2, 50
	s_and_saveexec_b64 s[6:7], s[84:85]
	s_cbranch_execz .LBB9_97
; %bb.96:                               ;   in Loop: Header=BB9_13 Depth=1
	ds_read_b32 v5, v140
	v_mad_u64_u32 v[2:3], s[84:85], v96, s29, v[64:65]
	v_mad_u64_u32 v[2:3], s[84:85], v2, 40, v[26:27]
	s_waitcnt lgkmcnt(0)
	v_cvt_f32_f16_e32 v4, v5
	v_cvt_f32_f16_sdwa v5, v5 dst_sel:DWORD dst_unused:UNUSED_PAD src0_sel:WORD_1
	v_ashrrev_i32_e32 v3, 31, v2
	v_lshl_add_u64 v[2:3], v[2:3], 3, s[72:73]
	v_pk_add_f32 v[4:5], v[4:5], 0 op_sel_hi:[1,0]
	global_store_dwordx2 v[2:3], v[4:5], off
	v_mov_b32_e32 v2, 0
.LBB9_97:                               ;   in Loop: Header=BB9_13 Depth=1
	s_or_b64 exec, exec, s[6:7]
	v_cmp_gt_i32_e32 vcc, 50, v2
	s_mov_b64 s[6:7], -1
	s_and_saveexec_b64 s[84:85], vcc
; %bb.98:                               ;   in Loop: Header=BB9_13 Depth=1
	v_cmp_eq_u32_e32 vcc, 0, v2
	s_orn2_b64 s[6:7], vcc, exec
; %bb.99:                               ;   in Loop: Header=BB9_13 Depth=1
	s_or_b64 exec, exec, s[84:85]
	s_and_b64 exec, exec, s[6:7]
	s_cbranch_execz .LBB9_112
; %bb.100:                              ;   in Loop: Header=BB9_13 Depth=1
	v_cmp_gt_i32_e32 vcc, s28, v95
	s_and_b64 s[84:85], vcc, s[82:83]
	v_mov_b32_e32 v2, 50
	s_and_saveexec_b64 s[6:7], s[84:85]
	s_cbranch_execz .LBB9_102
; %bb.101:                              ;   in Loop: Header=BB9_13 Depth=1
	v_add_u32_e32 v2, v125, v149
	ds_read_b32 v5, v2 offset:7040
	v_mad_u64_u32 v[2:3], s[84:85], v95, s29, v[64:65]
	v_mad_u64_u32 v[2:3], s[84:85], v2, 40, v[26:27]
	s_waitcnt lgkmcnt(0)
	v_cvt_f32_f16_e32 v4, v5
	v_cvt_f32_f16_sdwa v5, v5 dst_sel:DWORD dst_unused:UNUSED_PAD src0_sel:WORD_1
	v_ashrrev_i32_e32 v3, 31, v2
	v_lshl_add_u64 v[2:3], v[2:3], 3, s[72:73]
	v_pk_add_f32 v[4:5], v[4:5], 0 op_sel_hi:[1,0]
	global_store_dwordx2 v[2:3], v[4:5], off
	v_mov_b32_e32 v2, 0
.LBB9_102:                              ;   in Loop: Header=BB9_13 Depth=1
	s_or_b64 exec, exec, s[6:7]
	v_cmp_gt_i32_e32 vcc, 50, v2
	s_mov_b64 s[6:7], -1
	s_and_saveexec_b64 s[84:85], vcc
; %bb.103:                              ;   in Loop: Header=BB9_13 Depth=1
	v_cmp_eq_u32_e32 vcc, 0, v2
	s_orn2_b64 s[6:7], vcc, exec
; %bb.104:                              ;   in Loop: Header=BB9_13 Depth=1
	s_or_b64 exec, exec, s[84:85]
	s_and_b64 exec, exec, s[6:7]
	s_cbranch_execz .LBB9_112
; %bb.105:                              ;   in Loop: Header=BB9_13 Depth=1
	v_cmp_gt_i32_e32 vcc, s28, v94
	s_and_b64 s[84:85], vcc, s[82:83]
	v_mov_b32_e32 v2, 50
	s_and_saveexec_b64 s[6:7], s[84:85]
	s_cbranch_execz .LBB9_107
; %bb.106:                              ;   in Loop: Header=BB9_13 Depth=1
	ds_read_b32 v5, v141
	v_mad_u64_u32 v[2:3], s[84:85], v94, s29, v[64:65]
	v_mad_u64_u32 v[2:3], s[84:85], v2, 40, v[26:27]
	s_waitcnt lgkmcnt(0)
	v_cvt_f32_f16_e32 v4, v5
	v_cvt_f32_f16_sdwa v5, v5 dst_sel:DWORD dst_unused:UNUSED_PAD src0_sel:WORD_1
	v_ashrrev_i32_e32 v3, 31, v2
	v_lshl_add_u64 v[2:3], v[2:3], 3, s[72:73]
	v_pk_add_f32 v[4:5], v[4:5], 0 op_sel_hi:[1,0]
	global_store_dwordx2 v[2:3], v[4:5], off
	v_mov_b32_e32 v2, 0
.LBB9_107:                              ;   in Loop: Header=BB9_13 Depth=1
	s_or_b64 exec, exec, s[6:7]
	v_cmp_gt_i32_e32 vcc, 50, v2
	s_mov_b64 s[6:7], -1
	s_and_saveexec_b64 s[84:85], vcc
; %bb.108:                              ;   in Loop: Header=BB9_13 Depth=1
	v_cmp_eq_u32_e32 vcc, 0, v2
	s_orn2_b64 s[6:7], vcc, exec
; %bb.109:                              ;   in Loop: Header=BB9_13 Depth=1
	s_or_b64 exec, exec, s[84:85]
	s_and_b64 exec, exec, s[6:7]
	s_cbranch_execz .LBB9_112
; %bb.110:                              ;   in Loop: Header=BB9_13 Depth=1
	v_cmp_gt_i32_e32 vcc, s28, v92
	s_and_b64 s[6:7], vcc, s[82:83]
	s_and_b64 exec, exec, s[6:7]
	s_cbranch_execz .LBB9_112
; %bb.111:                              ;   in Loop: Header=BB9_13 Depth=1
	v_add_u32_e32 v2, v125, v149
	ds_read_b32 v5, v2 offset:9856
	v_mad_u64_u32 v[2:3], s[6:7], v92, s29, v[64:65]
	v_mad_u64_u32 v[2:3], s[6:7], v2, 40, v[26:27]
	s_waitcnt lgkmcnt(0)
	v_cvt_f32_f16_e32 v4, v5
	v_cvt_f32_f16_sdwa v5, v5 dst_sel:DWORD dst_unused:UNUSED_PAD src0_sel:WORD_1
	v_ashrrev_i32_e32 v3, 31, v2
	v_lshl_add_u64 v[2:3], v[2:3], 3, s[72:73]
	v_pk_add_f32 v[4:5], v[4:5], 0 op_sel_hi:[1,0]
	global_store_dwordx2 v[2:3], v[4:5], off
.LBB9_112:                              ;   in Loop: Header=BB9_13 Depth=1
	s_or_b64 exec, exec, s[8:9]
	v_cmp_gt_i32_e64 s[6:7], s33, v93
	v_cmp_gt_i32_e64 s[8:9], s28, v91
	v_cmp_le_i32_e32 vcc, s33, v93
	s_and_b64 s[8:9], s[8:9], s[6:7]
	v_mov_b32_e32 v2, 50
	s_and_saveexec_b64 s[6:7], s[8:9]
	s_cbranch_execz .LBB9_114
; %bb.113:                              ;   in Loop: Header=BB9_13 Depth=1
	v_add_u32_e32 v2, v119, v31
	ds_read_b32 v4, v2 offset:128
	v_mad_u64_u32 v[2:3], s[8:9], v91, s29, v[60:61]
	v_mul_lo_u32 v6, v2, 40
	v_ashrrev_i32_e32 v5, 31, v6
	s_waitcnt lgkmcnt(0)
	v_cvt_f32_f16_e32 v2, v4
	v_cvt_f32_f16_sdwa v3, v4 dst_sel:DWORD dst_unused:UNUSED_PAD src0_sel:WORD_1
	v_or_b32_e32 v4, v6, v28
	v_lshl_add_u64 v[4:5], v[4:5], 3, s[72:73]
	v_pk_add_f32 v[2:3], v[2:3], 0 op_sel_hi:[1,0]
	global_store_dwordx2 v[4:5], v[2:3], off offset:256
	v_mov_b32_e32 v2, 0
.LBB9_114:                              ;   in Loop: Header=BB9_13 Depth=1
	s_or_b64 exec, exec, s[6:7]
	v_cmp_gt_i32_e64 s[6:7], 50, v2
	s_mov_b64 s[86:87], -1
	s_and_saveexec_b64 s[8:9], s[6:7]
; %bb.115:                              ;   in Loop: Header=BB9_13 Depth=1
	v_cmp_eq_u32_e64 s[6:7], 0, v2
	s_orn2_b64 s[86:87], s[6:7], exec
; %bb.116:                              ;   in Loop: Header=BB9_13 Depth=1
	s_or_b64 exec, exec, s[8:9]
	s_mov_b64 s[82:83], 0
	s_mov_b64 s[8:9], 0
                                        ; implicit-def: $vgpr2_vgpr3
	s_and_saveexec_b64 s[84:85], s[86:87]
	s_cbranch_execz .LBB9_120
; %bb.117:                              ;   in Loop: Header=BB9_13 Depth=1
	v_cmp_gt_i32_e64 s[6:7], s28, v67
	s_xor_b64 s[8:9], vcc, -1
	s_and_b64 s[8:9], s[6:7], s[8:9]
	s_mov_b64 s[6:7], 0
                                        ; implicit-def: $vgpr2_vgpr3
	s_and_saveexec_b64 s[86:87], s[8:9]
	s_xor_b64 s[8:9], exec, s[86:87]
	s_cbranch_execz .LBB9_119
; %bb.118:                              ;   in Loop: Header=BB9_13 Depth=1
	v_add_u32_e32 v2, v119, v31
	ds_read_b32 v3, v2 offset:5760
	s_mov_b64 s[6:7], exec
	s_waitcnt lgkmcnt(0)
	v_cvt_f32_f16_e32 v2, v3
	v_cvt_f32_f16_sdwa v3, v3 dst_sel:DWORD dst_unused:UNUSED_PAD src0_sel:WORD_1
	v_pk_add_f32 v[2:3], v[2:3], 0 op_sel_hi:[1,0]
.LBB9_119:                              ;   in Loop: Header=BB9_13 Depth=1
	s_or_b64 exec, exec, s[8:9]
	s_and_b64 s[8:9], s[6:7], exec
.LBB9_120:                              ;   in Loop: Header=BB9_13 Depth=1
	s_or_b64 exec, exec, s[84:85]
	s_and_b64 vcc, exec, s[82:83]
	s_cbranch_vccz .LBB9_225
.LBB9_121:                              ;   in Loop: Header=BB9_13 Depth=1
	s_lshl_b32 s86, s90, 3
	v_add_u32_e32 v160, s86, v148
	v_cmp_gt_i32_e64 s[6:7], s28, v160
	v_cmp_gt_i32_e32 vcc, s33, v90
	s_and_b64 s[98:99], s[6:7], vcc
	s_xor_b64 s[6:7], s[98:99], -1
	s_and_saveexec_b64 s[82:83], s[6:7]
	s_xor_b64 s[6:7], exec, s[82:83]
; %bb.122:                              ;   in Loop: Header=BB9_13 Depth=1
	v_add_u32_e32 v2, v125, v149
	ds_write_b32 v2, v33
; %bb.123:                              ;   in Loop: Header=BB9_13 Depth=1
	s_andn2_saveexec_b64 s[6:7], s[6:7]
	s_cbranch_execz .LBB9_125
; %bb.124:                              ;   in Loop: Header=BB9_13 Depth=1
	v_mad_u64_u32 v[2:3], s[82:83], v160, s53, v[66:67]
	v_ashrrev_i32_e32 v3, 31, v2
	v_lshl_add_u64 v[2:3], v[2:3], 3, s[78:79]
	global_load_dwordx2 v[2:3], v[2:3], off
	s_waitcnt vmcnt(0)
	v_cvt_pk_f16_f32 v2, v2, v3
	v_pk_mul_f16 v2, v2, v143
	v_add_u32_e32 v3, v125, v149
	ds_write_b32 v3, v2
.LBB9_125:                              ;   in Loop: Header=BB9_13 Depth=1
	s_or_b64 exec, exec, s[6:7]
	v_add_u32_e32 v159, s86, v110
	v_cmp_gt_i32_e64 s[6:7], s28, v159
	s_and_b64 s[96:97], s[6:7], vcc
	s_xor_b64 s[6:7], s[96:97], -1
	s_and_saveexec_b64 s[82:83], s[6:7]
	s_xor_b64 s[6:7], exec, s[82:83]
; %bb.126:                              ;   in Loop: Header=BB9_13 Depth=1
	v_add_u32_e32 v2, v125, v149
	ds_write_b32 v2, v33 offset:1408
; %bb.127:                              ;   in Loop: Header=BB9_13 Depth=1
	s_andn2_saveexec_b64 s[6:7], s[6:7]
	s_cbranch_execz .LBB9_129
; %bb.128:                              ;   in Loop: Header=BB9_13 Depth=1
	v_mad_u64_u32 v[2:3], s[82:83], v159, s53, v[66:67]
	v_ashrrev_i32_e32 v3, 31, v2
	v_lshl_add_u64 v[2:3], v[2:3], 3, s[78:79]
	global_load_dwordx2 v[2:3], v[2:3], off
	s_waitcnt vmcnt(0)
	v_cvt_pk_f16_f32 v2, v2, v3
	v_pk_mul_f16 v2, v2, v143
	v_add_u32_e32 v3, v125, v149
	ds_write_b32 v3, v2 offset:1408
.LBB9_129:                              ;   in Loop: Header=BB9_13 Depth=1
	s_or_b64 exec, exec, s[6:7]
	v_add_u32_e32 v158, s86, v111
	v_cmp_gt_i32_e64 s[6:7], s28, v158
	s_and_b64 s[94:95], s[6:7], vcc
	s_xor_b64 s[6:7], s[94:95], -1
	s_and_saveexec_b64 s[82:83], s[6:7]
	s_xor_b64 s[6:7], exec, s[82:83]
; %bb.130:                              ;   in Loop: Header=BB9_13 Depth=1
	v_add_u32_e32 v2, v125, v149
	ds_write_b32 v2, v33 offset:2816
; %bb.131:                              ;   in Loop: Header=BB9_13 Depth=1
	s_andn2_saveexec_b64 s[6:7], s[6:7]
	s_cbranch_execz .LBB9_133
; %bb.132:                              ;   in Loop: Header=BB9_13 Depth=1
	v_mad_u64_u32 v[2:3], s[82:83], v158, s53, v[66:67]
	v_ashrrev_i32_e32 v3, 31, v2
	v_lshl_add_u64 v[2:3], v[2:3], 3, s[78:79]
	global_load_dwordx2 v[2:3], v[2:3], off
	s_waitcnt vmcnt(0)
	v_cvt_pk_f16_f32 v2, v2, v3
	v_pk_mul_f16 v2, v2, v143
	v_add_u32_e32 v3, v125, v149
	ds_write_b32 v3, v2 offset:2816
.LBB9_133:                              ;   in Loop: Header=BB9_13 Depth=1
	;; [unrolled: 24-line block ×3, first 2 shown]
	s_or_b64 exec, exec, s[6:7]
	v_add_u32_e32 v156, s86, v113
	v_cmp_gt_i32_e64 s[6:7], s28, v156
	s_and_b64 s[6:7], s[6:7], vcc
	s_nop 0
	v_writelane_b32 v181, s6, 34
	s_nop 1
	v_writelane_b32 v181, s7, 35
	s_xor_b64 s[6:7], s[6:7], -1
	s_and_saveexec_b64 s[82:83], s[6:7]
	s_xor_b64 s[6:7], exec, s[82:83]
; %bb.138:                              ;   in Loop: Header=BB9_13 Depth=1
	v_add_u32_e32 v2, v125, v149
	ds_write_b32 v2, v33 offset:5632
; %bb.139:                              ;   in Loop: Header=BB9_13 Depth=1
	s_andn2_saveexec_b64 s[6:7], s[6:7]
	s_cbranch_execz .LBB9_141
; %bb.140:                              ;   in Loop: Header=BB9_13 Depth=1
	v_mad_u64_u32 v[2:3], s[82:83], v156, s53, v[66:67]
	v_ashrrev_i32_e32 v3, 31, v2
	v_lshl_add_u64 v[2:3], v[2:3], 3, s[78:79]
	global_load_dwordx2 v[2:3], v[2:3], off
	s_waitcnt vmcnt(0)
	v_cvt_pk_f16_f32 v2, v2, v3
	v_pk_mul_f16 v2, v2, v143
	v_add_u32_e32 v3, v125, v149
	ds_write_b32 v3, v2 offset:5632
.LBB9_141:                              ;   in Loop: Header=BB9_13 Depth=1
	s_or_b64 exec, exec, s[6:7]
	v_add_u32_e32 v155, s86, v114
	v_cmp_gt_i32_e64 s[6:7], s28, v155
	s_and_b64 s[6:7], s[6:7], vcc
	s_nop 0
	v_writelane_b32 v181, s6, 36
	s_nop 1
	v_writelane_b32 v181, s7, 37
	s_xor_b64 s[6:7], s[6:7], -1
	s_and_saveexec_b64 s[82:83], s[6:7]
	s_xor_b64 s[6:7], exec, s[82:83]
; %bb.142:                              ;   in Loop: Header=BB9_13 Depth=1
	v_add_u32_e32 v2, v125, v149
	ds_write_b32 v2, v33 offset:7040
; %bb.143:                              ;   in Loop: Header=BB9_13 Depth=1
	s_andn2_saveexec_b64 s[6:7], s[6:7]
	s_cbranch_execz .LBB9_145
; %bb.144:                              ;   in Loop: Header=BB9_13 Depth=1
	v_mad_u64_u32 v[2:3], s[82:83], v155, s53, v[66:67]
	v_ashrrev_i32_e32 v3, 31, v2
	v_lshl_add_u64 v[2:3], v[2:3], 3, s[78:79]
	global_load_dwordx2 v[2:3], v[2:3], off
	s_waitcnt vmcnt(0)
	v_cvt_pk_f16_f32 v2, v2, v3
	v_pk_mul_f16 v2, v2, v143
	v_add_u32_e32 v3, v125, v149
	ds_write_b32 v3, v2 offset:7040
.LBB9_145:                              ;   in Loop: Header=BB9_13 Depth=1
	;; [unrolled: 28-line block ×4, first 2 shown]
	s_or_b64 exec, exec, s[6:7]
	v_or_b32_e32 v2, s89, v60
	v_add_u32_e32 v152, s86, v117
	v_cmp_gt_i32_e32 vcc, s33, v2
	v_cmp_gt_i32_e64 s[6:7], s28, v152
	s_and_b64 s[82:83], s[6:7], vcc
	s_xor_b64 s[6:7], s[82:83], -1
	s_and_saveexec_b64 s[84:85], s[6:7]
	s_xor_b64 s[6:7], exec, s[84:85]
; %bb.154:                              ;   in Loop: Header=BB9_13 Depth=1
	ds_write_b32 v120, v33 offset:128
; %bb.155:                              ;   in Loop: Header=BB9_13 Depth=1
	s_andn2_saveexec_b64 s[6:7], s[6:7]
	s_cbranch_execz .LBB9_157
; %bb.156:                              ;   in Loop: Header=BB9_13 Depth=1
	v_mad_u64_u32 v[2:3], s[84:85], v152, s53, v[62:63]
	v_ashrrev_i32_e32 v3, 31, v2
	v_lshl_add_u64 v[2:3], v[2:3], 3, s[78:79]
	global_load_dwordx2 v[2:3], v[2:3], off
	s_waitcnt vmcnt(0)
	v_cvt_pk_f16_f32 v2, v2, v3
	v_pk_mul_f16 v2, v2, v143
	v_add_u32_e32 v3, v119, v31
	ds_write_b32 v3, v2 offset:128
.LBB9_157:                              ;   in Loop: Header=BB9_13 Depth=1
	s_or_b64 exec, exec, s[6:7]
	v_add_u32_e32 v67, s86, v118
	v_cmp_gt_i32_e64 s[6:7], s28, v67
	s_and_b64 s[6:7], s[6:7], vcc
	s_xor_b64 s[84:85], s[6:7], -1
	s_and_saveexec_b64 s[90:91], s[84:85]
	s_xor_b64 vcc, exec, s[90:91]
; %bb.158:                              ;   in Loop: Header=BB9_13 Depth=1
	ds_write_b32 v121, v33 offset:128
; %bb.159:                              ;   in Loop: Header=BB9_13 Depth=1
	s_andn2_saveexec_b64 vcc, vcc
	s_cbranch_execz .LBB9_161
; %bb.160:                              ;   in Loop: Header=BB9_13 Depth=1
	v_mad_u64_u32 v[2:3], s[84:85], v67, s53, v[62:63]
	v_ashrrev_i32_e32 v3, 31, v2
	v_lshl_add_u64 v[2:3], v[2:3], 3, s[78:79]
	global_load_dwordx2 v[2:3], v[2:3], off
	s_waitcnt vmcnt(0)
	v_cvt_pk_f16_f32 v2, v2, v3
	v_pk_mul_f16 v2, v2, v143
	v_add_u32_e32 v3, v119, v31
	ds_write_b32 v3, v2 offset:5760
.LBB9_161:                              ;   in Loop: Header=BB9_13 Depth=1
	s_or_b64 exec, exec, vcc
	s_waitcnt lgkmcnt(0)
	s_barrier
	ds_read2_b64 v[6:9], v144 offset1:4
	ds_read2_b64 v[2:5], v144 offset0:8 offset1:12
	ds_read_b64 v[76:77], v144 offset:128
	v_add_u32_e32 v10, s86, v27
	v_mul_hi_u32 v11, s42, v10
	v_add_u32_e32 v11, v10, v11
	v_lshrrev_b32_e32 v11, s43, v11
	v_mul_lo_u32 v11, v11, s28
	s_cmp_lt_i32 s10, 2
	v_sub_u32_e32 v32, v10, v11
	s_waitcnt lgkmcnt(0)
	s_barrier
	s_cbranch_scc1 .LBB9_168
; %bb.162:                              ;   in Loop: Header=BB9_13 Depth=1
	v_and_b32_e32 v10, 64, v150
	v_add_u32_e32 v10, 64, v10
	v_xor_b32_e32 v11, 32, v150
	v_cmp_lt_i32_e32 vcc, v11, v10
	v_readlane_b32 s78, v181, 31
	v_readlane_b32 s79, v181, 32
	v_cndmask_b32_e32 v11, v150, v11, vcc
	v_lshlrev_b32_e32 v163, 2, v11
	v_xor_b32_e32 v11, 16, v150
	v_cmp_lt_i32_e32 vcc, v11, v10
	s_add_i32 s10, s10, -1
	v_mov_b32_e32 v92, 0
	v_cndmask_b32_e32 v10, v150, v11, vcc
	v_lshlrev_b32_e32 v164, 2, v10
	v_mov_b64_e32 v[10:11], s[80:81]
	v_mad_i64_i32 v[10:11], s[78:79], s78, v32, v[10:11]
	s_add_u32 s78, s58, s48
	s_addc_u32 s79, s51, s88
	v_lshl_add_u64 v[80:81], v[54:55], 0, s[78:79]
	v_lshl_add_u64 v[82:83], v[68:69], 0, s[78:79]
	;; [unrolled: 1-line block ×3, first 2 shown]
	s_add_u32 s78, s55, s40
	s_addc_u32 s79, s11, s50
	v_lshl_add_u64 v[78:79], v[52:53], 0, v[10:11]
	v_lshl_add_u64 v[86:87], v[72:73], 0, s[78:79]
	;; [unrolled: 1-line block ×4, first 2 shown]
	v_mov_b32_e32 v21, 0xfeffffff
	v_mov_b32_e32 v15, 0
	s_mov_b32 s11, s10
	v_mov_b32_e32 v93, 0
	v_mov_b32_e32 v96, 0
	;; [unrolled: 1-line block ×9, first 2 shown]
	global_load_dword v10, v[78:79], off
	s_waitcnt vmcnt(0)
	ds_write_b32 v35, v10 offset:11264
	s_and_saveexec_b64 s[78:79], s[0:1]
	s_cbranch_execz .LBB9_164
.LBB9_163:                              ;   in Loop: Header=BB9_13 Depth=1
	global_load_dwordx4 v[10:13], v[90:91], off
	s_waitcnt vmcnt(0)
	ds_write_b128 v103, v[10:13]
.LBB9_164:                              ;   Parent Loop BB9_13 Depth=1
                                        ; =>  This Inner Loop Header: Depth=2
	s_or_b64 exec, exec, s[78:79]
	v_lshl_add_u64 v[10:11], v[86:87], 0, v[56:57]
	global_load_dwordx4 v[10:13], v[10:11], off
	v_lshl_add_u64 v[22:23], v[88:89], 0, v[56:57]
	v_add_u32_e32 v14, 0x800, v29
	s_waitcnt vmcnt(0)
	ds_write_b128 v100, v[10:13]
	global_load_dwordx4 v[10:13], v[22:23], off
	s_waitcnt vmcnt(0)
	ds_write_b128 v102, v[10:13]
	s_waitcnt lgkmcnt(0)
	s_barrier
	ds_read2_b64 v[10:13], v29 offset1:4
	s_waitcnt lgkmcnt(0)
	v_mfma_f32_16x16x16_f16 v[22:25], v[10:11], v[6:7], 0
	v_mfma_f32_16x16x16_f16 v[10:13], v[12:13], v[8:9], v[22:25]
	s_nop 6
	ds_read2_b64 v[22:25], v29 offset0:8 offset1:12
	s_waitcnt lgkmcnt(0)
	v_mfma_f32_16x16x16_f16 v[10:13], v[22:23], v[2:3], v[10:13]
	ds_read_b64 v[22:23], v29 offset:128
	v_mfma_f32_16x16x16_f16 v[10:13], v[24:25], v[4:5], v[10:13]
	s_waitcnt lgkmcnt(0)
	v_mfma_f32_16x16x16_f16 v[166:169], v[22:23], v[76:77], v[10:13]
	s_nop 5
	ds_read2_b64 v[10:13], v14 offset0:96 offset1:100
	s_waitcnt lgkmcnt(0)
	v_mfma_f32_16x16x16_f16 v[22:25], v[10:11], v[6:7], 0
	v_mfma_f32_16x16x16_f16 v[10:13], v[12:13], v[8:9], v[22:25]
	s_nop 6
	ds_read2_b64 v[22:25], v14 offset0:104 offset1:108
	s_waitcnt lgkmcnt(0)
	v_mfma_f32_16x16x16_f16 v[10:13], v[22:23], v[2:3], v[10:13]
	ds_read_b64 v[22:23], v29 offset:2944
	v_add_u32_e32 v14, 0x1000, v29
	v_mfma_f32_16x16x16_f16 v[10:13], v[24:25], v[4:5], v[10:13]
	s_waitcnt lgkmcnt(0)
	v_mfma_f32_16x16x16_f16 v[170:173], v[22:23], v[76:77], v[10:13]
	s_nop 5
	ds_read2_b64 v[10:13], v14 offset0:192 offset1:196
	s_waitcnt lgkmcnt(0)
	v_mfma_f32_16x16x16_f16 v[22:25], v[10:11], v[6:7], 0
	v_mfma_f32_16x16x16_f16 v[10:13], v[12:13], v[8:9], v[22:25]
	s_nop 6
	ds_read2_b64 v[22:25], v14 offset0:200 offset1:204
	s_waitcnt lgkmcnt(0)
	v_mfma_f32_16x16x16_f16 v[10:13], v[22:23], v[2:3], v[10:13]
	ds_read_b64 v[22:23], v29 offset:5760
	v_add_u32_e32 v14, 0x2000, v29
	v_mfma_f32_16x16x16_f16 v[10:13], v[24:25], v[4:5], v[10:13]
	s_waitcnt lgkmcnt(0)
	v_mfma_f32_16x16x16_f16 v[174:177], v[22:23], v[76:77], v[10:13]
	s_nop 5
	ds_read2_b64 v[10:13], v14 offset0:32 offset1:36
	s_waitcnt lgkmcnt(0)
	v_mfma_f32_16x16x16_f16 v[22:25], v[10:11], v[6:7], 0
	v_mfma_f32_16x16x16_f16 v[10:13], v[12:13], v[8:9], v[22:25]
	s_nop 6
	ds_read2_b64 v[22:25], v14 offset0:40 offset1:44
	s_waitcnt lgkmcnt(0)
	v_mfma_f32_16x16x16_f16 v[10:13], v[22:23], v[2:3], v[10:13]
	ds_read_b64 v[22:23], v29 offset:8576
	s_waitcnt lgkmcnt(0)
	s_barrier
	ds_read_b32 v14, v104 offset:11264
	v_mfma_f32_16x16x16_f16 v[10:13], v[24:25], v[4:5], v[10:13]
	v_mfma_f32_16x16x16_f16 v[10:13], v[22:23], v[76:77], v[10:13]
	s_waitcnt lgkmcnt(0)
	v_cvt_f32_f16_e32 v22, v14
	v_cvt_f32_f16_sdwa v23, v14 dst_sel:DWORD dst_unused:UNUSED_PAD src0_sel:WORD_1
	v_add_f32_e32 v14, v166, v22
	ds_read_b32 v22, v105 offset:11264
	v_add_f32_e32 v24, v167, v23
	s_waitcnt lgkmcnt(0)
	v_cvt_f32_f16_e32 v23, v22
	v_cvt_f32_f16_sdwa v22, v22 dst_sel:DWORD dst_unused:UNUSED_PAD src0_sel:WORD_1
	v_add_f32_e32 v25, v168, v23
	v_add_f32_e32 v97, v169, v22
	v_add_u32_e32 v22, 0x2c00, v145
	ds_read2_b32 v[22:23], v22 offset1:1
	s_waitcnt lgkmcnt(0)
	v_cvt_f32_f16_e32 v98, v22
	v_cvt_f32_f16_sdwa v22, v22 dst_sel:DWORD dst_unused:UNUSED_PAD src0_sel:WORD_1
	v_add_f32_e32 v98, v170, v98
	v_add_f32_e32 v99, v171, v22
	v_cvt_f32_f16_e32 v22, v23
	v_cvt_f32_f16_sdwa v23, v23 dst_sel:DWORD dst_unused:UNUSED_PAD src0_sel:WORD_1
	v_add_f32_e32 v167, v172, v22
	v_add_u32_e32 v22, 0x2c00, v146
	v_add_f32_e32 v166, v173, v23
	ds_read2_b32 v[22:23], v22 offset1:1
	s_waitcnt lgkmcnt(0)
	v_cvt_f32_f16_e32 v161, v22
	v_cvt_f32_f16_sdwa v22, v22 dst_sel:DWORD dst_unused:UNUSED_PAD src0_sel:WORD_1
	v_add_f32_e32 v165, v174, v161
	v_add_f32_e32 v162, v175, v22
	v_cvt_f32_f16_e32 v22, v23
	v_cvt_f32_f16_sdwa v161, v23 dst_sel:DWORD dst_unused:UNUSED_PAD src0_sel:WORD_1
	v_add_f32_e32 v23, v176, v22
	v_add_f32_e32 v22, v177, v161
	v_add_u32_e32 v161, 0x2c00, v147
	ds_read2_b32 v[168:169], v161 offset1:1
	s_waitcnt lgkmcnt(0)
	v_cvt_f32_f16_e32 v161, v168
	v_cvt_f32_f16_sdwa v168, v168 dst_sel:DWORD dst_unused:UNUSED_PAD src0_sel:WORD_1
	v_add_f32_e32 v172, v10, v161
	v_add_f32_e32 v10, v11, v168
	v_cvt_f32_f16_e32 v11, v169
	v_cvt_f32_f16_sdwa v161, v169 dst_sel:DWORD dst_unused:UNUSED_PAD src0_sel:WORD_1
	v_add_f32_e32 v168, 0x40051340, v97
	v_add_f32_e32 v12, v12, v11
	;; [unrolled: 1-line block ×5, first 2 shown]
	v_max3_f32 v13, v21, v13, v161
	v_add_f32_e32 v161, 0x40051340, v25
	v_max3_f32 v13, v13, v161, v168
	v_add_f32_e32 v161, 0x40051340, v98
	v_add_f32_e32 v168, 0x40051340, v99
	v_max3_f32 v13, v13, v161, v168
	v_add_f32_e32 v161, 0x40051340, v167
	;; [unrolled: 3-line block ×6, first 2 shown]
	v_add_f32_e32 v168, 0x40051340, v11
	v_max3_f32 v13, v13, v161, v168
	ds_bpermute_b32 v161, v163, v13
	s_waitcnt lgkmcnt(0)
	v_max_f32_e32 v161, v161, v161
	v_max_f32_e32 v13, v13, v161
	ds_bpermute_b32 v161, v164, v13
	s_and_saveexec_b64 s[78:79], s[0:1]
	s_cbranch_execz .LBB9_166
; %bb.165:                              ;   in Loop: Header=BB9_164 Depth=2
	global_load_dwordx4 v[168:171], v[80:81], off
	s_waitcnt vmcnt(0)
	ds_write_b128 v103, v[168:171]
.LBB9_166:                              ;   in Loop: Header=BB9_164 Depth=2
	s_or_b64 exec, exec, s[78:79]
	s_waitcnt lgkmcnt(0)
	v_max_f32_e32 v161, v161, v161
	v_max_f32_e32 v13, v13, v13
	v_max_f32_e32 v161, v13, v161
	v_sub_f32_e32 v13, v14, v161
	v_mul_f32_e32 v14, 0x3fb8aa3b, v13
	v_fma_f32 v168, v13, s41, -v14
	v_rndne_f32_e32 v169, v14
	v_fmac_f32_e32 v168, 0x32a5705f, v13
	v_sub_f32_e32 v14, v14, v169
	v_add_f32_e32 v14, v14, v168
	v_exp_f32_e32 v14, v14
	v_cvt_i32_f32_e32 v168, v169
	v_cmp_ngt_f32_e32 vcc, s63, v13
	v_sub_f32_e32 v25, v25, v161
	v_sub_f32_e32 v97, v97, v161
	v_ldexp_f32 v14, v14, v168
	v_cndmask_b32_e32 v14, 0, v14, vcc
	v_cmp_nlt_f32_e32 vcc, s60, v13
	v_sub_f32_e32 v13, v24, v161
	v_mul_f32_e32 v24, 0x3fb8aa3b, v13
	v_fma_f32 v168, v13, s41, -v24
	v_rndne_f32_e32 v169, v24
	v_fmac_f32_e32 v168, 0x32a5705f, v13
	v_sub_f32_e32 v24, v24, v169
	v_add_f32_e32 v24, v24, v168
	v_exp_f32_e32 v24, v24
	v_cvt_i32_f32_e32 v168, v169
	v_cndmask_b32_e32 v14, v151, v14, vcc
	v_cmp_ngt_f32_e32 vcc, s63, v13
	v_sub_f32_e32 v98, v98, v161
	v_ldexp_f32 v24, v24, v168
	v_mul_f32_e32 v168, 0x3fb8aa3b, v25
	v_fma_f32 v169, v25, s41, -v168
	v_rndne_f32_e32 v170, v168
	v_fmac_f32_e32 v169, 0x32a5705f, v25
	v_sub_f32_e32 v168, v168, v170
	v_add_f32_e32 v168, v168, v169
	v_exp_f32_e32 v168, v168
	v_cvt_i32_f32_e32 v169, v170
	v_cndmask_b32_e32 v24, 0, v24, vcc
	v_cmp_nlt_f32_e32 vcc, s60, v13
	v_sub_f32_e32 v99, v99, v161
	v_ldexp_f32 v168, v168, v169
	v_cndmask_b32_e32 v24, v151, v24, vcc
	v_cmp_ngt_f32_e32 vcc, s63, v25
	v_sub_f32_e32 v167, v167, v161
	v_sub_f32_e32 v166, v166, v161
	v_cndmask_b32_e32 v168, 0, v168, vcc
	v_cmp_nlt_f32_e32 vcc, s60, v25
	v_sub_f32_e32 v165, v165, v161
	v_sub_f32_e32 v162, v162, v161
	v_cndmask_b32_e32 v25, v151, v168, vcc
	v_mul_f32_e32 v168, 0x3fb8aa3b, v97
	v_fma_f32 v169, v97, s41, -v168
	v_rndne_f32_e32 v170, v168
	v_fmac_f32_e32 v169, 0x32a5705f, v97
	v_sub_f32_e32 v168, v168, v170
	v_add_f32_e32 v168, v168, v169
	v_exp_f32_e32 v168, v168
	v_cvt_i32_f32_e32 v169, v170
	v_cmp_ngt_f32_e32 vcc, s63, v97
	v_sub_f32_e32 v23, v23, v161
	v_sub_f32_e32 v22, v22, v161
	v_ldexp_f32 v168, v168, v169
	v_cndmask_b32_e32 v168, 0, v168, vcc
	v_cmp_nlt_f32_e32 vcc, s60, v97
	v_add_f32_e32 v13, v14, v24
	v_sub_f32_e32 v10, v10, v161
	v_cndmask_b32_e32 v97, v151, v168, vcc
	v_mul_f32_e32 v168, 0x3fb8aa3b, v98
	v_fma_f32 v169, v98, s41, -v168
	v_rndne_f32_e32 v170, v168
	v_fmac_f32_e32 v169, 0x32a5705f, v98
	v_sub_f32_e32 v168, v168, v170
	v_add_f32_e32 v168, v168, v169
	v_exp_f32_e32 v168, v168
	v_cvt_i32_f32_e32 v169, v170
	v_cmp_ngt_f32_e32 vcc, s63, v98
	v_add_f32_e32 v13, v25, v13
	v_add_f32_e32 v13, v97, v13
	v_ldexp_f32 v168, v168, v169
	v_cndmask_b32_e32 v168, 0, v168, vcc
	v_cmp_nlt_f32_e32 vcc, s60, v98
	v_sub_f32_e32 v12, v12, v161
	v_sub_f32_e32 v11, v11, v161
	v_cndmask_b32_e32 v98, v151, v168, vcc
	v_mul_f32_e32 v168, 0x3fb8aa3b, v99
	v_fma_f32 v169, v99, s41, -v168
	v_rndne_f32_e32 v170, v168
	v_fmac_f32_e32 v169, 0x32a5705f, v99
	v_sub_f32_e32 v168, v168, v170
	v_add_f32_e32 v168, v168, v169
	v_exp_f32_e32 v168, v168
	v_cvt_i32_f32_e32 v169, v170
	v_cmp_ngt_f32_e32 vcc, s63, v99
	v_add_f32_e32 v13, v98, v13
	s_add_i32 s11, s11, -1
	v_ldexp_f32 v168, v168, v169
	v_cndmask_b32_e32 v168, 0, v168, vcc
	v_cmp_nlt_f32_e32 vcc, s60, v99
	v_lshl_add_u64 v[78:79], v[78:79], 0, s[66:67]
	v_lshl_add_u64 v[80:81], v[80:81], 0, s[68:69]
	v_cndmask_b32_e32 v99, v151, v168, vcc
	v_mul_f32_e32 v168, 0x3fb8aa3b, v167
	v_fma_f32 v169, v167, s41, -v168
	v_rndne_f32_e32 v170, v168
	v_fmac_f32_e32 v169, 0x32a5705f, v167
	v_sub_f32_e32 v168, v168, v170
	v_add_f32_e32 v168, v168, v169
	v_exp_f32_e32 v168, v168
	v_cvt_i32_f32_e32 v169, v170
	v_cmp_ngt_f32_e32 vcc, s63, v167
	v_add_f32_e32 v13, v99, v13
	v_lshl_add_u64 v[86:87], v[86:87], 0, s[70:71]
	v_ldexp_f32 v168, v168, v169
	v_cndmask_b32_e32 v168, 0, v168, vcc
	v_cmp_nlt_f32_e32 vcc, s60, v167
	v_lshl_add_u64 v[88:89], v[88:89], 0, s[70:71]
	v_lshl_add_u64 v[90:91], v[90:91], 0, s[70:71]
	v_cndmask_b32_e32 v167, v151, v168, vcc
	v_mul_f32_e32 v168, 0x3fb8aa3b, v166
	v_fma_f32 v169, v166, s41, -v168
	v_rndne_f32_e32 v170, v168
	v_fmac_f32_e32 v169, 0x32a5705f, v166
	v_sub_f32_e32 v168, v168, v170
	v_add_f32_e32 v168, v168, v169
	v_exp_f32_e32 v168, v168
	v_cvt_i32_f32_e32 v169, v170
	v_cmp_ngt_f32_e32 vcc, s63, v166
	v_add_f32_e32 v13, v167, v13
	s_cmp_lg_u32 s11, 0
	v_ldexp_f32 v168, v168, v169
	v_cndmask_b32_e32 v168, 0, v168, vcc
	v_cmp_nlt_f32_e32 vcc, s60, v166
	v_mul_f32_e32 v166, 0x3fb8aa3b, v165
	v_fma_f32 v169, v165, s41, -v166
	v_rndne_f32_e32 v170, v166
	v_fmac_f32_e32 v169, 0x32a5705f, v165
	v_sub_f32_e32 v166, v166, v170
	v_add_f32_e32 v166, v166, v169
	v_exp_f32_e32 v166, v166
	v_cvt_i32_f32_e32 v169, v170
	v_cndmask_b32_e32 v168, v151, v168, vcc
	v_cmp_ngt_f32_e32 vcc, s63, v165
	v_add_f32_e32 v13, v168, v13
	v_ldexp_f32 v166, v166, v169
	v_cndmask_b32_e32 v166, 0, v166, vcc
	v_cmp_nlt_f32_e32 vcc, s60, v165
	v_mul_f32_e32 v165, 0x3fb8aa3b, v162
	v_rndne_f32_e32 v170, v165
	v_cndmask_b32_e32 v169, v151, v166, vcc
	v_fma_f32 v166, v162, s41, -v165
	v_fmac_f32_e32 v166, 0x32a5705f, v162
	v_sub_f32_e32 v165, v165, v170
	v_add_f32_e32 v165, v165, v166
	v_exp_f32_e32 v165, v165
	v_cvt_i32_f32_e32 v166, v170
	v_cmp_ngt_f32_e32 vcc, s63, v162
	v_add_f32_e32 v13, v169, v13
	v_ldexp_f32 v165, v165, v166
	v_cndmask_b32_e32 v165, 0, v165, vcc
	v_cmp_nlt_f32_e32 vcc, s60, v162
	v_mul_f32_e32 v162, 0x3fb8aa3b, v23
	v_rndne_f32_e32 v166, v162
	v_cndmask_b32_e32 v170, v151, v165, vcc
	v_fma_f32 v165, v23, s41, -v162
	v_fmac_f32_e32 v165, 0x32a5705f, v23
	v_sub_f32_e32 v162, v162, v166
	v_add_f32_e32 v162, v162, v165
	v_exp_f32_e32 v162, v162
	v_cvt_i32_f32_e32 v165, v166
	;; [unrolled: 14-line block ×3, first 2 shown]
	v_cmp_ngt_f32_e32 vcc, s63, v22
	v_add_f32_e32 v13, v171, v13
	v_ldexp_f32 v23, v23, v162
	v_cndmask_b32_e32 v23, 0, v23, vcc
	v_cmp_nlt_f32_e32 vcc, s60, v22
	v_sub_f32_e32 v22, v172, v161
	s_nop 0
	v_cndmask_b32_e32 v173, v151, v23, vcc
	v_mul_f32_e32 v23, 0x3fb8aa3b, v22
	v_fma_f32 v162, v22, s41, -v23
	v_rndne_f32_e32 v165, v23
	v_fmac_f32_e32 v162, 0x32a5705f, v22
	v_sub_f32_e32 v23, v23, v165
	v_add_f32_e32 v23, v23, v162
	v_exp_f32_e32 v23, v23
	v_cvt_i32_f32_e32 v162, v165
	v_cmp_ngt_f32_e32 vcc, s63, v22
	v_add_f32_e32 v13, v173, v13
	v_ldexp_f32 v23, v23, v162
	v_cndmask_b32_e32 v23, 0, v23, vcc
	v_cmp_nlt_f32_e32 vcc, s60, v22
	v_mul_f32_e32 v22, 0x3fb8aa3b, v10
	v_rndne_f32_e32 v162, v22
	v_cndmask_b32_e32 v172, v151, v23, vcc
	v_fma_f32 v23, v10, s41, -v22
	v_fmac_f32_e32 v23, 0x32a5705f, v10
	v_sub_f32_e32 v22, v22, v162
	v_add_f32_e32 v22, v22, v23
	v_exp_f32_e32 v22, v22
	v_cvt_i32_f32_e32 v23, v162
	v_cmp_ngt_f32_e32 vcc, s63, v10
	v_add_f32_e32 v13, v172, v13
	v_ldexp_f32 v22, v22, v23
	v_cndmask_b32_e32 v22, 0, v22, vcc
	v_cmp_nlt_f32_e32 vcc, s60, v10
	s_nop 1
	v_cndmask_b32_e32 v174, v151, v22, vcc
	v_add_f32_e32 v10, v174, v13
	v_mul_f32_e32 v13, 0x3fb8aa3b, v12
	v_fma_f32 v22, v12, s41, -v13
	v_rndne_f32_e32 v23, v13
	v_fmac_f32_e32 v22, 0x32a5705f, v12
	v_sub_f32_e32 v13, v13, v23
	v_add_f32_e32 v13, v13, v22
	v_exp_f32_e32 v13, v13
	v_cvt_i32_f32_e32 v22, v23
	v_cmp_ngt_f32_e32 vcc, s63, v12
	v_ldexp_f32 v13, v13, v22
	s_nop 0
	v_cndmask_b32_e32 v13, 0, v13, vcc
	v_cmp_nlt_f32_e32 vcc, s60, v12
	v_mul_f32_e32 v12, 0x3fb8aa3b, v11
	v_rndne_f32_e32 v22, v12
	v_cndmask_b32_e32 v175, v151, v13, vcc
	v_fma_f32 v13, v11, s41, -v12
	v_fmac_f32_e32 v13, 0x32a5705f, v11
	v_sub_f32_e32 v12, v12, v22
	v_add_f32_e32 v12, v12, v13
	v_exp_f32_e32 v12, v12
	v_cvt_i32_f32_e32 v13, v22
	v_cmp_ngt_f32_e32 vcc, s63, v11
	v_add_f32_e32 v10, v175, v10
	v_ldexp_f32 v12, v12, v13
	v_cndmask_b32_e32 v12, 0, v12, vcc
	v_cmp_nlt_f32_e32 vcc, s60, v11
	s_nop 1
	v_cndmask_b32_e32 v176, v151, v12, vcc
	v_add_f32_e32 v162, v176, v10
	v_sub_f32_e32 v10, v21, v161
	v_mul_f32_e32 v11, 0x3fb8aa3b, v10
	v_fma_f32 v12, v10, s41, -v11
	v_rndne_f32_e32 v13, v11
	v_fmac_f32_e32 v12, 0x32a5705f, v10
	v_sub_f32_e32 v11, v11, v13
	v_add_f32_e32 v11, v11, v12
	v_exp_f32_e32 v11, v11
	v_cvt_i32_f32_e32 v12, v13
	v_cmp_ngt_f32_e32 vcc, s63, v10
	v_ldexp_f32 v11, v11, v12
	s_nop 0
	v_cndmask_b32_e32 v11, 0, v11, vcc
	v_cmp_nlt_f32_e32 vcc, s60, v10
	s_nop 1
	v_cndmask_b32_e32 v11, v151, v11, vcc
	v_cmp_le_f32_e32 vcc, s61, v10
	s_nop 1
	v_cndmask_b32_e32 v10, 0, v11, vcc
	v_fmac_f32_e32 v162, v15, v10
	v_cvt_f16_f32_e32 v10, v10
	v_mul_u32_u24_e32 v10, 0x10001, v10
	v_pk_mul_f16 v96, v96, v10
	v_pk_mul_f16 v95, v95, v10
	;; [unrolled: 1-line block ×10, first 2 shown]
	v_lshl_add_u64 v[10:11], v[82:83], 0, v[56:57]
	global_load_dwordx4 v[10:13], v[10:11], off
	v_cvt_pk_f16_f32 v94, v14, v24
	v_cvt_pk_f16_f32 v93, v175, v176
	;; [unrolled: 1-line block ×3, first 2 shown]
	v_cvt_f32_f16_sdwa v19, v15 dst_sel:DWORD dst_unused:UNUSED_PAD src0_sel:WORD_1
	v_lshl_add_u64 v[82:83], v[82:83], 0, s[68:69]
	s_waitcnt vmcnt(0)
	ds_write_b128 v100, v[10:13]
	v_lshl_add_u64 v[10:11], v[84:85], 0, v[56:57]
	global_load_dwordx4 v[10:13], v[10:11], off
	v_lshl_add_u64 v[84:85], v[84:85], 0, s[68:69]
	s_waitcnt vmcnt(0)
	ds_write_b128 v102, v[10:13]
	s_waitcnt lgkmcnt(0)
	s_barrier
	ds_read_u16 v16, v106 offset:176
	ds_read_u16 v17, v107
	ds_read_u16 v178, v107 offset:32
	ds_read_u16 v18, v108
	ds_read_u16 v179, v108 offset:32
	v_cvt_f32_f16_e32 v10, v96
	v_cvt_f32_f16_sdwa v11, v96 dst_sel:DWORD dst_unused:UNUSED_PAD src0_sel:WORD_1
	v_cvt_f32_f16_e32 v12, v95
	s_waitcnt lgkmcnt(1)
	v_perm_b32 v17, v18, v17, s62
	ds_read_u16 v18, v106
	ds_read_u16 v180, v106 offset:32
	v_cvt_f32_f16_sdwa v13, v95 dst_sel:DWORD dst_unused:UNUSED_PAD src0_sel:WORD_1
	v_cvt_pk_f16_f32 v95, v25, v97
	v_cvt_pk_f16_f32 v97, v167, v168
	s_waitcnt lgkmcnt(1)
	v_perm_b32 v16, v16, v18, s62
	v_cvt_pk_f16_f32 v96, v98, v99
	v_cvt_pk_f16_f32 v99, v171, v173
	v_mfma_f32_16x16x16_f16 v[10:13], v[16:17], v[94:95], v[10:13]
	ds_read_u16 v14, v106 offset:2816
	ds_read_u16 v16, v106 offset:2992
	;; [unrolled: 1-line block ×4, first 2 shown]
	v_cvt_pk_f16_f32 v98, v169, v170
	v_cvt_f32_f16_e32 v168, v21
	s_nop 1
	v_cvt_f16_f32_e32 v10, v10
	v_cvt_f16_f32_e32 v11, v11
	;; [unrolled: 1-line block ×4, first 2 shown]
	s_waitcnt lgkmcnt(0)
	v_perm_b32 v17, v18, v17, s62
	v_perm_b32 v16, v16, v14, s62
	v_cvt_f32_f16_e32 v10, v10
	v_cvt_f32_f16_e32 v11, v11
	;; [unrolled: 1-line block ×4, first 2 shown]
	v_cvt_f32_f16_sdwa v169, v21 dst_sel:DWORD dst_unused:UNUSED_PAD src0_sel:WORD_1
	v_cvt_f32_f16_e32 v170, v20
	v_mfma_f32_16x16x16_f16 v[10:13], v[16:17], v[96:97], v[10:13]
	ds_read_u16 v14, v106 offset:5632
	ds_read_u16 v16, v106 offset:5808
	;; [unrolled: 1-line block ×4, first 2 shown]
	v_cvt_f32_f16_sdwa v171, v20 dst_sel:DWORD dst_unused:UNUSED_PAD src0_sel:WORD_1
	s_nop 2
	v_cvt_f16_f32_e32 v10, v10
	v_cvt_f16_f32_e32 v11, v11
	;; [unrolled: 1-line block ×4, first 2 shown]
	s_waitcnt lgkmcnt(0)
	v_perm_b32 v17, v18, v17, s62
	v_perm_b32 v16, v16, v14, s62
	v_cvt_f32_f16_e32 v10, v10
	v_cvt_f32_f16_e32 v11, v11
	;; [unrolled: 1-line block ×4, first 2 shown]
	s_nop 1
	v_mfma_f32_16x16x16_f16 v[10:13], v[16:17], v[98:99], v[10:13]
	ds_read_u16 v14, v106 offset:8448
	ds_read_u16 v16, v106 offset:8624
	;; [unrolled: 1-line block ×4, first 2 shown]
	s_nop 3
	v_cvt_f16_f32_e32 v10, v10
	v_cvt_f16_f32_e32 v11, v11
	;; [unrolled: 1-line block ×4, first 2 shown]
	s_waitcnt lgkmcnt(2)
	v_perm_b32 v16, v16, v14, s62
	ds_read_u16 v14, v106 offset:208
	s_waitcnt lgkmcnt(1)
	v_perm_b32 v17, v18, v17, s62
	v_cvt_f32_f16_e32 v10, v10
	v_cvt_f32_f16_e32 v11, v11
	;; [unrolled: 1-line block ×5, first 2 shown]
	v_perm_b32 v15, v179, v178, s62
	s_waitcnt lgkmcnt(0)
	v_perm_b32 v14, v14, v180, s62
	v_mfma_f32_16x16x16_f16 v[10:13], v[16:17], v[92:93], v[10:13]
	v_cvt_f32_f16_e32 v16, v177
	v_cvt_f32_f16_sdwa v17, v177 dst_sel:DWORD dst_unused:UNUSED_PAD src0_sel:WORD_1
	s_nop 1
	v_mfma_f32_16x16x16_f16 v[14:17], v[14:15], v[94:95], v[16:19]
	s_nop 2
	ds_read_u16 v18, v106 offset:2848
	ds_read_u16 v24, v106 offset:3024
	ds_read_u16 v19, v107 offset:2848
	ds_read_u16 v25, v108 offset:2848
	s_nop 0
	v_cvt_f16_f32_e32 v14, v14
	v_cvt_f16_f32_e32 v15, v15
	v_cvt_f16_f32_e32 v16, v16
	v_cvt_f16_f32_e32 v17, v17
	s_waitcnt lgkmcnt(0)
	v_perm_b32 v19, v25, v19, s62
	v_perm_b32 v18, v24, v18, s62
	v_cvt_f32_f16_e32 v14, v14
	v_cvt_f32_f16_e32 v15, v15
	v_cvt_f32_f16_e32 v16, v16
	v_cvt_f32_f16_e32 v17, v17
	s_nop 1
	v_mfma_f32_16x16x16_f16 v[14:17], v[18:19], v[96:97], v[14:17]
	ds_read_u16 v18, v106 offset:5664
	ds_read_u16 v24, v106 offset:5840
	ds_read_u16 v19, v107 offset:5664
	ds_read_u16 v25, v108 offset:5664
	s_nop 3
	v_cvt_f16_f32_e32 v14, v14
	v_cvt_f16_f32_e32 v15, v15
	v_cvt_f16_f32_e32 v16, v16
	v_cvt_f16_f32_e32 v17, v17
	s_waitcnt lgkmcnt(0)
	v_perm_b32 v19, v25, v19, s62
	v_perm_b32 v18, v24, v18, s62
	v_cvt_f32_f16_e32 v14, v14
	v_cvt_f32_f16_e32 v15, v15
	v_cvt_f32_f16_e32 v16, v16
	v_cvt_f32_f16_e32 v17, v17
	s_nop 1
	v_mfma_f32_16x16x16_f16 v[14:17], v[18:19], v[98:99], v[14:17]
	;; [unrolled: 18-line block ×3, first 2 shown]
	ds_read_u16 v18, v106 offset:64
	ds_read_u16 v24, v106 offset:240
	;; [unrolled: 1-line block ×4, first 2 shown]
	s_waitcnt lgkmcnt(2)
	v_perm_b32 v18, v24, v18, s62
	s_waitcnt lgkmcnt(0)
	v_perm_b32 v19, v25, v19, s62
	s_nop 1
	v_mfma_f32_16x16x16_f16 v[18:21], v[18:19], v[94:95], v[168:171]
	ds_read_u16 v24, v106 offset:2880
	ds_read_u16 v167, v106 offset:3056
	;; [unrolled: 1-line block ×4, first 2 shown]
	v_cvt_f32_f16_sdwa v169, v23 dst_sel:DWORD dst_unused:UNUSED_PAD src0_sel:WORD_1
	v_cvt_f32_f16_e32 v170, v22
	s_nop 1
	v_cvt_f16_f32_e32 v18, v18
	v_cvt_f16_f32_e32 v19, v19
	;; [unrolled: 1-line block ×4, first 2 shown]
	s_waitcnt lgkmcnt(0)
	v_perm_b32 v25, v168, v25, s62
	v_perm_b32 v24, v167, v24, s62
	v_cvt_f32_f16_e32 v18, v18
	v_cvt_f32_f16_e32 v19, v19
	;; [unrolled: 1-line block ×4, first 2 shown]
	v_cvt_f32_f16_sdwa v171, v22 dst_sel:DWORD dst_unused:UNUSED_PAD src0_sel:WORD_1
	s_nop 0
	v_mfma_f32_16x16x16_f16 v[18:21], v[24:25], v[96:97], v[18:21]
	ds_read_u16 v24, v106 offset:5696
	ds_read_u16 v167, v106 offset:5872
	;; [unrolled: 1-line block ×4, first 2 shown]
	s_nop 3
	v_cvt_f16_f32_e32 v18, v18
	v_cvt_f16_f32_e32 v19, v19
	;; [unrolled: 1-line block ×4, first 2 shown]
	s_waitcnt lgkmcnt(0)
	v_perm_b32 v25, v168, v25, s62
	v_perm_b32 v24, v167, v24, s62
	v_cvt_f32_f16_e32 v18, v18
	v_cvt_f32_f16_e32 v19, v19
	;; [unrolled: 1-line block ×4, first 2 shown]
	s_nop 1
	v_mfma_f32_16x16x16_f16 v[18:21], v[24:25], v[98:99], v[18:21]
	ds_read_u16 v24, v106 offset:8512
	ds_read_u16 v167, v106 offset:8688
	;; [unrolled: 1-line block ×4, first 2 shown]
	s_nop 3
	v_cvt_f16_f32_e32 v18, v18
	v_cvt_f16_f32_e32 v19, v19
	;; [unrolled: 1-line block ×4, first 2 shown]
	s_waitcnt lgkmcnt(0)
	v_perm_b32 v25, v168, v25, s62
	v_perm_b32 v24, v167, v24, s62
	v_cvt_f32_f16_e32 v18, v18
	v_cvt_f32_f16_e32 v19, v19
	;; [unrolled: 1-line block ×5, first 2 shown]
	s_nop 0
	v_mfma_f32_16x16x16_f16 v[18:21], v[24:25], v[92:93], v[18:21]
	ds_read_u16 v24, v106 offset:96
	ds_read_u16 v25, v106 offset:272
	;; [unrolled: 1-line block ×4, first 2 shown]
	s_waitcnt lgkmcnt(2)
	v_perm_b32 v22, v25, v24, s62
	s_nop 1
	v_cvt_pk_f16_f32 v20, v20, v21
	s_waitcnt lgkmcnt(0)
	v_perm_b32 v23, v172, v167, s62
	s_nop 1
	v_mfma_f32_16x16x16_f16 v[22:25], v[22:23], v[94:95], v[168:171]
	ds_read_u16 v167, v106 offset:2912
	s_nop 1
	ds_read_u16 v168, v106 offset:3088
	ds_read_u16 v169, v107 offset:2912
	;; [unrolled: 1-line block ×3, first 2 shown]
	v_cvt_f32_f16_sdwa v171, v165 dst_sel:DWORD dst_unused:UNUSED_PAD src0_sel:WORD_1
	s_nop 0
	v_cvt_f16_f32_e32 v22, v22
	v_cvt_f16_f32_e32 v23, v23
	;; [unrolled: 1-line block ×4, first 2 shown]
	s_waitcnt lgkmcnt(0)
	v_perm_b32 v169, v170, v169, s62
	v_perm_b32 v168, v168, v167, s62
	v_cvt_f32_f16_e32 v22, v22
	v_cvt_f32_f16_e32 v23, v23
	;; [unrolled: 1-line block ×4, first 2 shown]
	s_nop 1
	v_mfma_f32_16x16x16_f16 v[22:25], v[168:169], v[96:97], v[22:25]
	ds_read_u16 v167, v106 offset:5728
	ds_read_u16 v168, v106 offset:5904
	;; [unrolled: 1-line block ×4, first 2 shown]
	s_nop 3
	v_cvt_f16_f32_e32 v22, v22
	v_cvt_f16_f32_e32 v23, v23
	;; [unrolled: 1-line block ×4, first 2 shown]
	s_waitcnt lgkmcnt(0)
	v_perm_b32 v169, v170, v169, s62
	v_perm_b32 v168, v168, v167, s62
	v_cvt_f32_f16_e32 v22, v22
	v_cvt_f32_f16_e32 v23, v23
	;; [unrolled: 1-line block ×4, first 2 shown]
	s_nop 1
	v_mfma_f32_16x16x16_f16 v[22:25], v[168:169], v[98:99], v[22:25]
	ds_read_u16 v167, v106 offset:8544
	ds_read_u16 v168, v106 offset:8720
	;; [unrolled: 1-line block ×4, first 2 shown]
	s_nop 3
	v_cvt_f16_f32_e32 v22, v22
	v_cvt_f16_f32_e32 v23, v23
	;; [unrolled: 1-line block ×4, first 2 shown]
	s_waitcnt lgkmcnt(0)
	v_perm_b32 v169, v170, v169, s62
	v_perm_b32 v168, v168, v167, s62
	ds_read_u16 v172, v106 offset:128
	ds_read_u16 v173, v106 offset:304
	;; [unrolled: 1-line block ×4, first 2 shown]
	v_cvt_f32_f16_e32 v22, v22
	v_cvt_f32_f16_e32 v23, v23
	;; [unrolled: 1-line block ×4, first 2 shown]
	s_waitcnt lgkmcnt(0)
	v_perm_b32 v167, v174, v167, s62
	v_cvt_f32_f16_e32 v170, v165
	v_mfma_f32_16x16x16_f16 v[22:25], v[168:169], v[92:93], v[22:25]
	v_cvt_f32_f16_e32 v168, v166
	v_cvt_f32_f16_sdwa v169, v166 dst_sel:DWORD dst_unused:UNUSED_PAD src0_sel:WORD_1
	v_perm_b32 v166, v173, v172, s62
	s_nop 1
	v_mfma_f32_16x16x16_f16 v[166:169], v[166:167], v[94:95], v[168:171]
	s_nop 2
	ds_read_u16 v170, v106 offset:2944
	ds_read_u16 v171, v106 offset:3120
	ds_read_u16 v172, v107 offset:2944
	ds_read_u16 v173, v108 offset:2944
	s_nop 0
	v_cvt_f16_f32_e32 v94, v166
	v_cvt_f16_f32_e32 v95, v167
	;; [unrolled: 1-line block ×4, first 2 shown]
	v_cvt_f32_f16_e32 v166, v94
	v_cvt_f32_f16_e32 v167, v95
	s_waitcnt lgkmcnt(0)
	v_perm_b32 v95, v173, v172, s62
	v_perm_b32 v94, v171, v170, s62
	v_cvt_f32_f16_e32 v168, v165
	v_cvt_f32_f16_e32 v169, v169
	s_nop 1
	v_mfma_f32_16x16x16_f16 v[94:97], v[94:95], v[96:97], v[166:169]
	ds_read_u16 v165, v106 offset:5760
	s_nop 1
	ds_read_u16 v166, v106 offset:5936
	ds_read_u16 v167, v107 offset:5760
	;; [unrolled: 1-line block ×3, first 2 shown]
	s_nop 1
	v_cvt_f16_f32_e32 v94, v94
	v_cvt_f16_f32_e32 v95, v95
	;; [unrolled: 1-line block ×4, first 2 shown]
	s_waitcnt lgkmcnt(0)
	v_perm_b32 v167, v168, v167, s62
	v_perm_b32 v166, v166, v165, s62
	v_cvt_f32_f16_e32 v94, v94
	v_cvt_f32_f16_e32 v95, v95
	;; [unrolled: 1-line block ×4, first 2 shown]
	s_nop 1
	v_mfma_f32_16x16x16_f16 v[96:99], v[166:167], v[98:99], v[94:97]
	s_nop 2
	ds_read_u16 v94, v106 offset:8576
	ds_read_u16 v95, v106 offset:8752
	;; [unrolled: 1-line block ×4, first 2 shown]
	s_waitcnt lgkmcnt(0)
	s_barrier
	v_cvt_f16_f32_e32 v96, v96
	v_cvt_f16_f32_e32 v97, v97
	;; [unrolled: 1-line block ×4, first 2 shown]
	v_perm_b32 v167, v166, v165, s62
	v_perm_b32 v166, v95, v94, s62
	v_cvt_f32_f16_e32 v96, v96
	v_cvt_f32_f16_e32 v97, v97
	;; [unrolled: 1-line block ×4, first 2 shown]
	v_cvt_pk_f16_f32 v95, v12, v13
	v_cvt_pk_f16_f32 v94, v18, v19
	v_mfma_f32_16x16x16_f16 v[166:169], v[166:167], v[92:93], v[96:99]
	v_cvt_pk_f16_f32 v92, v14, v15
	v_cvt_pk_f16_f32 v93, v16, v17
	s_nop 0
	v_cvt_pk_f16_f32 v96, v10, v11
	v_cvt_pk_f16_f32 v19, v22, v23
	;; [unrolled: 1-line block ×3, first 2 shown]
	s_nop 1
	v_cvt_pk_f16_f32 v17, v166, v167
	v_cvt_pk_f16_f32 v16, v168, v169
	s_cbranch_scc0 .LBB9_169
; %bb.167:                              ;   in Loop: Header=BB9_164 Depth=2
	v_mov_b32_e32 v15, v162
	v_mov_b32_e32 v21, v161
	global_load_dword v10, v[78:79], off
	s_waitcnt vmcnt(0)
	ds_write_b32 v35, v10 offset:11264
	s_and_saveexec_b64 s[78:79], s[0:1]
	s_cbranch_execnz .LBB9_163
	s_branch .LBB9_164
.LBB9_168:                              ;   in Loop: Header=BB9_13 Depth=1
	v_mov_b32_e32 v161, 0xfeffffff
	v_mov_b32_e32 v162, 0
	s_mov_b64 s[78:79], 0
	v_mov_b32_e32 v16, 0
	v_mov_b32_e32 v17, 0
	;; [unrolled: 1-line block ×10, first 2 shown]
	s_branch .LBB9_170
.LBB9_169:                              ;   in Loop: Header=BB9_13 Depth=1
	s_lshl_b32 s58, s10, 6
	s_mov_b64 s[78:79], s[58:59]
.LBB9_170:                              ;   in Loop: Header=BB9_13 Depth=1
	v_readlane_b32 s10, v181, 12
	v_readlane_b32 s11, v181, 13
	s_mul_hi_u32 s40, s78, s34
	v_mad_i64_i32 v[10:11], s[10:11], v32, s10, 0
	s_lshl_b64 s[10:11], s[78:79], 1
	s_add_u32 s10, s76, s10
	s_addc_u32 s11, s77, s11
	v_lshl_add_u64 v[10:11], v[10:11], 1, s[10:11]
	v_lshlrev_b32_e32 v32, 1, v30
	v_lshl_add_u64 v[10:11], v[10:11], 0, v[32:33]
	global_load_dword v10, v[10:11], off
	s_mul_i32 s11, s78, s35
	s_mul_i32 s10, s78, s34
	s_add_i32 s11, s40, s11
	s_lshl_b64 s[10:11], s[10:11], 2
	s_add_u32 s76, s5, s10
	s_addc_u32 s77, s4, s11
	s_waitcnt vmcnt(0)
	ds_write_b32 v35, v10 offset:11264
	s_and_saveexec_b64 s[80:81], s[0:1]
	s_cbranch_execz .LBB9_172
; %bb.171:                              ;   in Loop: Header=BB9_13 Depth=1
	v_lshl_add_u64 v[10:11], v[42:43], 2, s[76:77]
	v_lshlrev_b32_e32 v32, 2, v40
	v_lshl_add_u64 v[10:11], v[10:11], 0, v[32:33]
	global_load_dwordx4 v[10:13], v[10:11], off offset:128
	s_waitcnt vmcnt(0)
	ds_write_b128 v103, v[10:13]
.LBB9_172:                              ;   in Loop: Header=BB9_13 Depth=1
	s_or_b64 exec, exec, s[80:81]
	v_lshl_add_u64 v[10:11], v[36:37], 2, s[76:77]
	v_lshlrev_b32_e32 v32, 2, v34
	v_lshl_add_u64 v[10:11], v[10:11], 0, v[32:33]
	v_lshl_add_u64 v[12:13], v[38:39], 2, s[76:77]
	;; [unrolled: 1-line block ×3, first 2 shown]
	global_load_dwordx4 v[10:13], v[10:11], off
	s_mul_i32 s4, s78, s31
	s_mul_hi_u32 s5, s78, s30
	s_add_i32 s5, s5, s4
	s_mul_i32 s4, s78, s30
	s_lshl_b64 s[4:5], s[4:5], 2
	s_add_u32 s76, s38, s4
	s_addc_u32 s77, s49, s5
	s_waitcnt vmcnt(0)
	ds_write_b128 v100, v[10:13]
	global_load_dwordx4 v[10:13], v[14:15], off
	s_waitcnt vmcnt(0)
	ds_write_b128 v102, v[10:13]
	s_waitcnt lgkmcnt(0)
	s_barrier
	ds_read2_b64 v[10:13], v29 offset1:4
	s_waitcnt lgkmcnt(0)
	v_mfma_f32_16x16x16_f16 v[22:25], v[10:11], v[6:7], 0
	ds_read_b64 v[14:15], v29 offset:128
	v_mfma_f32_16x16x16_f16 v[10:13], v[12:13], v[8:9], v[22:25]
	s_nop 5
	ds_read2_b64 v[22:25], v29 offset0:8 offset1:12
	s_waitcnt lgkmcnt(0)
	v_mfma_f32_16x16x16_f16 v[10:13], v[22:23], v[2:3], v[10:13]
	v_mfma_f32_16x16x16_f16 v[10:13], v[24:25], v[4:5], v[10:13]
	;; [unrolled: 1-line block ×3, first 2 shown]
	v_add_u32_e32 v14, 0x800, v29
	ds_read2_b64 v[22:25], v14 offset0:96 offset1:100
	s_waitcnt lgkmcnt(0)
	v_mfma_f32_16x16x16_f16 v[78:81], v[22:23], v[6:7], 0
	v_mfma_f32_16x16x16_f16 v[22:25], v[24:25], v[8:9], v[78:81]
	s_nop 6
	ds_read2_b64 v[78:81], v14 offset0:104 offset1:108
	ds_read_b64 v[14:15], v29 offset:2944
	s_waitcnt lgkmcnt(1)
	v_mfma_f32_16x16x16_f16 v[22:25], v[78:79], v[2:3], v[22:25]
	v_mfma_f32_16x16x16_f16 v[22:25], v[80:81], v[4:5], v[22:25]
	s_waitcnt lgkmcnt(0)
	v_mfma_f32_16x16x16_f16 v[78:81], v[14:15], v[76:77], v[22:25]
	v_add_u32_e32 v14, 0x1000, v29
	s_nop 4
	ds_read2_b64 v[22:25], v14 offset0:192 offset1:196
	s_waitcnt lgkmcnt(0)
	v_mfma_f32_16x16x16_f16 v[82:85], v[22:23], v[6:7], 0
	v_mfma_f32_16x16x16_f16 v[22:25], v[24:25], v[8:9], v[82:85]
	s_nop 6
	ds_read2_b64 v[82:85], v14 offset0:200 offset1:204
	ds_read_b64 v[14:15], v29 offset:5760
	s_waitcnt lgkmcnt(1)
	v_mfma_f32_16x16x16_f16 v[22:25], v[82:83], v[2:3], v[22:25]
	v_mfma_f32_16x16x16_f16 v[22:25], v[84:85], v[4:5], v[22:25]
	s_waitcnt lgkmcnt(0)
	v_mfma_f32_16x16x16_f16 v[82:85], v[14:15], v[76:77], v[22:25]
	v_add_u32_e32 v14, 0x2000, v29
	s_nop 4
	ds_read2_b64 v[22:25], v14 offset0:32 offset1:36
	s_waitcnt lgkmcnt(0)
	v_mfma_f32_16x16x16_f16 v[86:89], v[22:23], v[6:7], 0
	v_mfma_f32_16x16x16_f16 v[6:9], v[24:25], v[8:9], v[86:89]
	ds_read2_b64 v[22:25], v14 offset0:40 offset1:44
	s_waitcnt lgkmcnt(0)
	v_mfma_f32_16x16x16_f16 v[6:9], v[22:23], v[2:3], v[6:9]
	v_mfma_f32_16x16x16_f16 v[2:5], v[24:25], v[4:5], v[6:9]
	s_nop 6
	ds_read_b64 v[6:7], v29 offset:8576
	s_waitcnt lgkmcnt(0)
	v_mfma_f32_16x16x16_f16 v[86:89], v[6:7], v[76:77], v[2:5]
	s_barrier
	s_nop 1
	ds_read_b32 v2, v104 offset:11264
	s_waitcnt lgkmcnt(0)
	v_cvt_f32_f16_e32 v3, v2
	v_cvt_f32_f16_sdwa v2, v2 dst_sel:DWORD dst_unused:UNUSED_PAD src0_sel:WORD_1
	v_add_f32_e32 v6, v10, v3
	v_add_f32_e32 v7, v11, v2
	ds_read_b32 v2, v105 offset:11264
	s_waitcnt lgkmcnt(0)
	v_cvt_f32_f16_e32 v3, v2
	v_cvt_f32_f16_sdwa v2, v2 dst_sel:DWORD dst_unused:UNUSED_PAD src0_sel:WORD_1
	v_add_f32_e32 v12, v12, v3
	v_add_f32_e32 v13, v13, v2
	v_add_u32_e32 v2, 0x2c00, v145
	ds_read2_b32 v[2:3], v2 offset1:1
	v_add_f32_e32 v21, 0x40051340, v13
	s_waitcnt lgkmcnt(0)
	v_cvt_f32_f16_e32 v4, v2
	v_cvt_f32_f16_sdwa v2, v2 dst_sel:DWORD dst_unused:UNUSED_PAD src0_sel:WORD_1
	v_add_f32_e32 v76, v78, v4
	v_add_f32_e32 v24, v79, v2
	v_cvt_f32_f16_e32 v2, v3
	v_cvt_f32_f16_sdwa v3, v3 dst_sel:DWORD dst_unused:UNUSED_PAD src0_sel:WORD_1
	v_add_f32_e32 v25, v80, v2
	v_add_u32_e32 v2, 0x2c00, v146
	v_add_f32_e32 v23, v81, v3
	ds_read2_b32 v[2:3], v2 offset1:1
	s_waitcnt lgkmcnt(0)
	v_cvt_f32_f16_e32 v4, v2
	v_cvt_f32_f16_sdwa v2, v2 dst_sel:DWORD dst_unused:UNUSED_PAD src0_sel:WORD_1
	v_add_f32_e32 v11, v82, v4
	v_add_f32_e32 v10, v83, v2
	v_cvt_f32_f16_e32 v2, v3
	v_cvt_f32_f16_sdwa v3, v3 dst_sel:DWORD dst_unused:UNUSED_PAD src0_sel:WORD_1
	v_add_f32_e32 v9, v84, v2
	v_add_u32_e32 v2, 0x2c00, v147
	ds_read2_b32 v[14:15], v2 offset1:1
	v_add_f32_e32 v3, v85, v3
	s_waitcnt lgkmcnt(0)
	v_cvt_f32_f16_e32 v2, v14
	v_cvt_f32_f16_sdwa v4, v14 dst_sel:DWORD dst_unused:UNUSED_PAD src0_sel:WORD_1
	v_cvt_f32_f16_sdwa v14, v15 dst_sel:DWORD dst_unused:UNUSED_PAD src0_sel:WORD_1
	v_add_f32_e32 v8, v86, v2
	v_cvt_f32_f16_e32 v2, v15
	v_add_f32_e32 v5, v87, v4
	v_add_f32_e32 v15, 0x40051340, v7
	;; [unrolled: 1-line block ×5, first 2 shown]
	v_max3_f32 v14, v161, v14, v15
	v_add_f32_e32 v15, 0x40051340, v12
	v_max3_f32 v14, v14, v15, v21
	v_add_f32_e32 v15, 0x40051340, v76
	v_add_f32_e32 v21, 0x40051340, v24
	v_max3_f32 v14, v14, v15, v21
	v_add_f32_e32 v15, 0x40051340, v25
	;; [unrolled: 3-line block ×6, first 2 shown]
	v_add_f32_e32 v21, 0x40051340, v2
	v_max3_f32 v14, v14, v15, v21
	v_and_b32_e32 v15, 64, v150
	v_add_u32_e32 v21, 64, v15
	v_xor_b32_e32 v15, 32, v150
	v_cmp_lt_i32_e32 vcc, v15, v21
	s_nop 1
	v_cndmask_b32_e32 v15, v150, v15, vcc
	v_lshlrev_b32_e32 v15, 2, v15
	ds_bpermute_b32 v22, v15, v14
	s_waitcnt lgkmcnt(0)
	v_max_f32_e32 v22, v22, v22
	v_max_f32_e32 v14, v14, v22
	v_xor_b32_e32 v22, 16, v150
	v_cmp_lt_i32_e32 vcc, v22, v21
	s_nop 1
	v_cndmask_b32_e32 v21, v150, v22, vcc
	v_lshlrev_b32_e32 v22, 2, v21
	ds_bpermute_b32 v21, v22, v14
	s_and_saveexec_b64 s[78:79], s[0:1]
	s_cbranch_execz .LBB9_174
; %bb.173:                              ;   in Loop: Header=BB9_13 Depth=1
	v_lshl_add_u64 v[78:79], v[44:45], 2, s[76:77]
	v_lshlrev_b32_e32 v80, 2, v40
	v_mov_b32_e32 v81, v33
	v_lshl_add_u64 v[78:79], v[78:79], 0, v[80:81]
	global_load_dwordx4 v[78:81], v[78:79], off offset:128
	s_waitcnt vmcnt(0)
	ds_write_b128 v103, v[78:81]
.LBB9_174:                              ;   in Loop: Header=BB9_13 Depth=1
	s_or_b64 exec, exec, s[78:79]
	s_waitcnt lgkmcnt(0)
	v_max_f32_e32 v21, v21, v21
	v_max_f32_e32 v14, v14, v14
	;; [unrolled: 1-line block ×3, first 2 shown]
	v_sub_f32_e32 v6, v6, v14
	v_mul_f32_e32 v21, 0x3fb8aa3b, v6
	v_fma_f32 v77, v6, s41, -v21
	v_rndne_f32_e32 v78, v21
	v_fmac_f32_e32 v77, 0x32a5705f, v6
	v_sub_f32_e32 v21, v21, v78
	v_add_f32_e32 v21, v21, v77
	v_exp_f32_e32 v21, v21
	v_cvt_i32_f32_e32 v77, v78
	v_cmp_ngt_f32_e32 vcc, s63, v6
	v_sub_f32_e32 v7, v7, v14
	v_sub_f32_e32 v12, v12, v14
	v_ldexp_f32 v21, v21, v77
	v_cndmask_b32_e32 v21, 0, v21, vcc
	v_cmp_nlt_f32_e32 vcc, s60, v6
	v_sub_f32_e32 v13, v13, v14
	v_sub_f32_e32 v24, v24, v14
	v_cndmask_b32_e32 v6, v151, v21, vcc
	v_mul_f32_e32 v21, 0x3fb8aa3b, v7
	v_fma_f32 v77, v7, s41, -v21
	v_rndne_f32_e32 v78, v21
	v_fmac_f32_e32 v77, 0x32a5705f, v7
	v_sub_f32_e32 v21, v21, v78
	v_add_f32_e32 v21, v21, v77
	v_exp_f32_e32 v21, v21
	v_cvt_i32_f32_e32 v77, v78
	v_cmp_ngt_f32_e32 vcc, s63, v7
	v_sub_f32_e32 v25, v25, v14
	v_sub_f32_e32 v23, v23, v14
	v_ldexp_f32 v21, v21, v77
	v_mul_f32_e32 v77, 0x3fb8aa3b, v12
	v_fma_f32 v78, v12, s41, -v77
	v_rndne_f32_e32 v79, v77
	v_fmac_f32_e32 v78, 0x32a5705f, v12
	v_sub_f32_e32 v77, v77, v79
	v_add_f32_e32 v77, v77, v78
	v_exp_f32_e32 v77, v77
	v_cvt_i32_f32_e32 v78, v79
	v_cndmask_b32_e32 v21, 0, v21, vcc
	v_cmp_nlt_f32_e32 vcc, s60, v7
	v_sub_f32_e32 v11, v11, v14
	v_ldexp_f32 v77, v77, v78
	v_cndmask_b32_e32 v7, v151, v21, vcc
	v_cmp_ngt_f32_e32 vcc, s63, v12
	v_add_f32_e32 v21, v6, v7
	v_sub_f32_e32 v10, v10, v14
	v_cndmask_b32_e32 v77, 0, v77, vcc
	v_cmp_nlt_f32_e32 vcc, s60, v12
	v_sub_f32_e32 v9, v9, v14
	v_sub_f32_e32 v3, v3, v14
	v_cndmask_b32_e32 v12, v151, v77, vcc
	v_add_f32_e32 v77, v12, v21
	v_mul_f32_e32 v21, 0x3fb8aa3b, v13
	v_fma_f32 v78, v13, s41, -v21
	v_rndne_f32_e32 v79, v21
	v_fmac_f32_e32 v78, 0x32a5705f, v13
	v_sub_f32_e32 v21, v21, v79
	v_add_f32_e32 v21, v21, v78
	v_exp_f32_e32 v21, v21
	v_cvt_i32_f32_e32 v78, v79
	v_cmp_ngt_f32_e32 vcc, s63, v13
	v_sub_f32_e32 v8, v8, v14
	v_sub_f32_e32 v5, v5, v14
	v_ldexp_f32 v21, v21, v78
	v_cndmask_b32_e32 v21, 0, v21, vcc
	v_cmp_nlt_f32_e32 vcc, s60, v13
	v_sub_f32_e32 v13, v76, v14
	v_mul_f32_e32 v76, 0x3fb8aa3b, v13
	v_fma_f32 v78, v13, s41, -v76
	v_rndne_f32_e32 v79, v76
	v_fmac_f32_e32 v78, 0x32a5705f, v13
	v_sub_f32_e32 v76, v76, v79
	v_add_f32_e32 v76, v76, v78
	v_exp_f32_e32 v76, v76
	v_cvt_i32_f32_e32 v78, v79
	v_cndmask_b32_e32 v21, v151, v21, vcc
	v_cmp_ngt_f32_e32 vcc, s63, v13
	v_add_f32_e32 v77, v21, v77
	v_ldexp_f32 v76, v76, v78
	v_cndmask_b32_e32 v76, 0, v76, vcc
	v_cmp_nlt_f32_e32 vcc, s60, v13
	v_sub_f32_e32 v4, v4, v14
	v_sub_f32_e32 v2, v2, v14
	v_cndmask_b32_e32 v13, v151, v76, vcc
	v_add_f32_e32 v76, v13, v77
	v_mul_f32_e32 v77, 0x3fb8aa3b, v24
	v_fma_f32 v78, v24, s41, -v77
	v_rndne_f32_e32 v79, v77
	v_fmac_f32_e32 v78, 0x32a5705f, v24
	v_sub_f32_e32 v77, v77, v79
	v_add_f32_e32 v77, v77, v78
	v_exp_f32_e32 v77, v77
	v_cvt_i32_f32_e32 v78, v79
	v_cmp_ngt_f32_e32 vcc, s63, v24
	s_cmp_eq_u64 s[74:75], 0
	v_ldexp_f32 v77, v77, v78
	v_cndmask_b32_e32 v77, 0, v77, vcc
	v_cmp_nlt_f32_e32 vcc, s60, v24
	s_nop 1
	v_cndmask_b32_e32 v24, v151, v77, vcc
	v_mul_f32_e32 v77, 0x3fb8aa3b, v25
	v_fma_f32 v78, v25, s41, -v77
	v_rndne_f32_e32 v79, v77
	v_fmac_f32_e32 v78, 0x32a5705f, v25
	v_sub_f32_e32 v77, v77, v79
	v_add_f32_e32 v77, v77, v78
	v_exp_f32_e32 v77, v77
	v_cvt_i32_f32_e32 v78, v79
	v_cmp_ngt_f32_e32 vcc, s63, v25
	v_add_f32_e32 v76, v24, v76
	v_ldexp_f32 v77, v77, v78
	v_cndmask_b32_e32 v77, 0, v77, vcc
	v_cmp_nlt_f32_e32 vcc, s60, v25
	s_nop 1
	v_cndmask_b32_e32 v25, v151, v77, vcc
	v_mul_f32_e32 v77, 0x3fb8aa3b, v23
	v_fma_f32 v78, v23, s41, -v77
	v_rndne_f32_e32 v79, v77
	v_fmac_f32_e32 v78, 0x32a5705f, v23
	v_sub_f32_e32 v77, v77, v79
	v_add_f32_e32 v77, v77, v78
	v_exp_f32_e32 v77, v77
	v_cvt_i32_f32_e32 v78, v79
	v_cmp_ngt_f32_e32 vcc, s63, v23
	v_add_f32_e32 v76, v25, v76
	v_ldexp_f32 v77, v77, v78
	v_cndmask_b32_e32 v77, 0, v77, vcc
	v_cmp_nlt_f32_e32 vcc, s60, v23
	s_nop 1
	v_cndmask_b32_e32 v78, v151, v77, vcc
	v_add_f32_e32 v23, v78, v76
	v_mul_f32_e32 v76, 0x3fb8aa3b, v11
	v_fma_f32 v77, v11, s41, -v76
	v_rndne_f32_e32 v79, v76
	v_fmac_f32_e32 v77, 0x32a5705f, v11
	v_sub_f32_e32 v76, v76, v79
	v_add_f32_e32 v76, v76, v77
	v_exp_f32_e32 v76, v76
	v_cvt_i32_f32_e32 v77, v79
	v_cmp_ngt_f32_e32 vcc, s63, v11
	v_ldexp_f32 v76, v76, v77
	s_nop 0
	v_cndmask_b32_e32 v76, 0, v76, vcc
	v_cmp_nlt_f32_e32 vcc, s60, v11
	s_nop 1
	v_cndmask_b32_e32 v79, v151, v76, vcc
	v_add_f32_e32 v11, v79, v23
	v_mul_f32_e32 v23, 0x3fb8aa3b, v10
	v_fma_f32 v76, v10, s41, -v23
	v_rndne_f32_e32 v77, v23
	v_fmac_f32_e32 v76, 0x32a5705f, v10
	v_sub_f32_e32 v23, v23, v77
	v_add_f32_e32 v23, v23, v76
	v_exp_f32_e32 v23, v23
	v_cvt_i32_f32_e32 v76, v77
	v_cmp_ngt_f32_e32 vcc, s63, v10
	v_ldexp_f32 v23, v23, v76
	s_nop 0
	;; [unrolled: 16-line block ×5, first 2 shown]
	v_cndmask_b32_e32 v9, 0, v9, vcc
	v_cmp_nlt_f32_e32 vcc, s60, v8
	v_mul_f32_e32 v8, 0x3fb8aa3b, v5
	v_rndne_f32_e32 v10, v8
	v_cndmask_b32_e32 v82, v151, v9, vcc
	v_fma_f32 v9, v5, s41, -v8
	v_fmac_f32_e32 v9, 0x32a5705f, v5
	v_sub_f32_e32 v8, v8, v10
	v_add_f32_e32 v8, v8, v9
	v_exp_f32_e32 v8, v8
	v_cvt_i32_f32_e32 v9, v10
	v_cmp_ngt_f32_e32 vcc, s63, v5
	v_add_f32_e32 v3, v82, v3
	v_ldexp_f32 v8, v8, v9
	v_cndmask_b32_e32 v8, 0, v8, vcc
	v_cmp_nlt_f32_e32 vcc, s60, v5
	v_mul_f32_e32 v5, 0x3fb8aa3b, v4
	v_rndne_f32_e32 v9, v5
	v_cndmask_b32_e32 v84, v151, v8, vcc
	v_fma_f32 v8, v4, s41, -v5
	v_fmac_f32_e32 v8, 0x32a5705f, v4
	v_sub_f32_e32 v5, v5, v9
	v_add_f32_e32 v5, v5, v8
	v_exp_f32_e32 v5, v5
	v_cvt_i32_f32_e32 v8, v9
	v_cmp_ngt_f32_e32 vcc, s63, v4
	v_add_f32_e32 v3, v84, v3
	v_ldexp_f32 v5, v5, v8
	;; [unrolled: 14-line block ×3, first 2 shown]
	v_cndmask_b32_e32 v4, 0, v4, vcc
	v_cmp_nlt_f32_e32 vcc, s60, v2
	v_sub_f32_e32 v2, v161, v14
	s_nop 0
	v_cndmask_b32_e32 v86, v151, v4, vcc
	v_add_f32_e32 v23, v86, v3
	v_mul_f32_e32 v3, 0x3fb8aa3b, v2
	v_fma_f32 v4, v2, s41, -v3
	v_rndne_f32_e32 v5, v3
	v_fmac_f32_e32 v4, 0x32a5705f, v2
	v_sub_f32_e32 v3, v3, v5
	v_add_f32_e32 v3, v3, v4
	v_exp_f32_e32 v3, v3
	v_cvt_i32_f32_e32 v4, v5
	v_cmp_ngt_f32_e32 vcc, s63, v2
	v_ldexp_f32 v3, v3, v4
	s_nop 0
	v_cndmask_b32_e32 v3, 0, v3, vcc
	v_cmp_nlt_f32_e32 vcc, s60, v2
	s_nop 1
	v_cndmask_b32_e32 v3, v151, v3, vcc
	v_cmp_le_f32_e32 vcc, s61, v2
	s_nop 1
	v_cndmask_b32_e32 v2, 0, v3, vcc
	v_fmac_f32_e32 v23, v162, v2
	v_cvt_f16_f32_e32 v2, v2
	v_mul_u32_u24_e32 v2, 0x10001, v2
	v_pk_mul_f16 v90, v96, v2
	v_pk_mul_f16 v89, v95, v2
	;; [unrolled: 1-line block ×10, first 2 shown]
	v_lshl_add_u64 v[2:3], v[48:49], 2, s[76:77]
	v_lshl_add_u64 v[2:3], v[2:3], 0, v[32:33]
	global_load_dwordx4 v[2:5], v[2:3], off
	v_cvt_pk_f16_f32 v20, v79, v80
	v_cvt_f32_f16_e32 v80, v8
	s_waitcnt vmcnt(0)
	ds_write_b128 v100, v[2:5]
	v_lshl_add_u64 v[2:3], v[46:47], 2, s[76:77]
	v_lshl_add_u64 v[2:3], v[2:3], 0, v[32:33]
	global_load_dwordx4 v[2:5], v[2:3], off
	s_waitcnt vmcnt(0)
	ds_write_b128 v102, v[2:5]
	s_waitcnt lgkmcnt(0)
	s_barrier
	ds_read_u16 v16, v106 offset:176
	v_cvt_f32_f16_e32 v4, v89
	v_cvt_f32_f16_sdwa v5, v89 dst_sel:DWORD dst_unused:UNUSED_PAD src0_sel:WORD_1
	ds_read_u16 v17, v107
	ds_read_u16 v32, v107 offset:32
	ds_read_u16 v18, v108
	ds_read_u16 v89, v108 offset:32
	v_cvt_f32_f16_e32 v2, v90
	v_cvt_f32_f16_sdwa v3, v90 dst_sel:DWORD dst_unused:UNUSED_PAD src0_sel:WORD_1
	s_waitcnt lgkmcnt(1)
	v_perm_b32 v19, v18, v17, s62
	ds_read_u16 v17, v106
	ds_read_u16 v90, v106 offset:32
	s_waitcnt lgkmcnt(2)
	v_perm_b32 v79, v89, v32, s62
	s_waitcnt lgkmcnt(1)
	v_perm_b32 v18, v16, v17, s62
	v_cvt_pk_f16_f32 v17, v12, v21
	v_cvt_pk_f16_f32 v16, v6, v7
	;; [unrolled: 1-line block ×3, first 2 shown]
	v_cvt_f32_f16_sdwa v81, v8 dst_sel:DWORD dst_unused:UNUSED_PAD src0_sel:WORD_1
	v_mfma_f32_16x16x16_f16 v[2:5], v[18:19], v[16:17], v[2:5]
	ds_read_u16 v6, v106 offset:2816
	ds_read_u16 v12, v106 offset:2992
	;; [unrolled: 1-line block ×4, first 2 shown]
	v_cvt_pk_f16_f32 v19, v25, v78
	s_nop 2
	v_cvt_f16_f32_e32 v2, v2
	v_cvt_f16_f32_e32 v3, v3
	;; [unrolled: 1-line block ×4, first 2 shown]
	s_waitcnt lgkmcnt(0)
	v_perm_b32 v7, v18, v7, s62
	v_perm_b32 v6, v12, v6, s62
	v_cvt_f32_f16_e32 v2, v2
	v_cvt_f32_f16_e32 v3, v3
	;; [unrolled: 1-line block ×4, first 2 shown]
	v_cvt_pk_f16_f32 v18, v13, v24
	s_nop 1
	v_mfma_f32_16x16x16_f16 v[2:5], v[6:7], v[18:19], v[2:5]
	ds_read_u16 v6, v106 offset:5632
	ds_read_u16 v12, v106 offset:5808
	;; [unrolled: 1-line block ×4, first 2 shown]
	s_waitcnt lgkmcnt(2)
	v_perm_b32 v6, v12, v6, s62
	s_nop 1
	v_cvt_f16_f32_e32 v2, v2
	v_cvt_f16_f32_e32 v3, v3
	v_cvt_f16_f32_e32 v4, v4
	v_cvt_f16_f32_e32 v5, v5
	s_waitcnt lgkmcnt(0)
	v_perm_b32 v7, v13, v7, s62
	v_cvt_f32_f16_e32 v2, v2
	v_cvt_f32_f16_e32 v3, v3
	;; [unrolled: 1-line block ×4, first 2 shown]
	s_nop 1
	v_mfma_f32_16x16x16_f16 v[2:5], v[6:7], v[20:21], v[2:5]
	ds_read_u16 v6, v106 offset:8448
	ds_read_u16 v12, v106 offset:8624
	;; [unrolled: 1-line block ×5, first 2 shown]
	s_nop 2
	v_cvt_f16_f32_e32 v2, v2
	v_cvt_f16_f32_e32 v3, v3
	;; [unrolled: 1-line block ×4, first 2 shown]
	s_waitcnt lgkmcnt(1)
	v_perm_b32 v7, v13, v7, s62
	v_perm_b32 v6, v12, v6, s62
	v_cvt_f32_f16_e32 v2, v2
	v_cvt_f32_f16_e32 v3, v3
	;; [unrolled: 1-line block ×4, first 2 shown]
	v_cvt_pk_f16_f32 v13, v85, v86
	v_cvt_pk_f16_f32 v12, v82, v84
	s_waitcnt lgkmcnt(0)
	v_perm_b32 v78, v25, v90, s62
	v_mfma_f32_16x16x16_f16 v[2:5], v[6:7], v[12:13], v[2:5]
	v_cvt_f32_f16_e32 v6, v87
	v_cvt_f32_f16_sdwa v7, v87 dst_sel:DWORD dst_unused:UNUSED_PAD src0_sel:WORD_1
	s_nop 5
	v_cvt_f16_f32_e32 v4, v4
	v_cvt_f16_f32_e32 v5, v5
	v_perm_b32 v24, v5, v4, s62
	v_cvt_f32_f16_e32 v4, v88
	v_cvt_f32_f16_sdwa v5, v88 dst_sel:DWORD dst_unused:UNUSED_PAD src0_sel:WORD_1
	s_nop 1
	v_mfma_f32_16x16x16_f16 v[4:7], v[78:79], v[16:17], v[4:7]
	ds_read_u16 v25, v106 offset:2848
	ds_read_u16 v32, v106 offset:3024
	ds_read_u16 v78, v107 offset:2848
	ds_read_u16 v79, v108 offset:2848
	s_nop 3
	v_cvt_f16_f32_e32 v4, v4
	v_cvt_f16_f32_e32 v5, v5
	v_cvt_f16_f32_e32 v6, v6
	v_cvt_f16_f32_e32 v7, v7
	s_waitcnt lgkmcnt(0)
	v_perm_b32 v79, v79, v78, s62
	v_perm_b32 v78, v32, v25, s62
	v_cvt_f32_f16_e32 v4, v4
	v_cvt_f32_f16_e32 v5, v5
	v_cvt_f32_f16_e32 v6, v6
	v_cvt_f32_f16_e32 v7, v7
	s_nop 1
	v_mfma_f32_16x16x16_f16 v[4:7], v[78:79], v[18:19], v[4:7]
	ds_read_u16 v25, v106 offset:5664
	ds_read_u16 v32, v106 offset:5840
	ds_read_u16 v78, v107 offset:5664
	ds_read_u16 v79, v108 offset:5664
	s_nop 3
	v_cvt_f16_f32_e32 v4, v4
	v_cvt_f16_f32_e32 v5, v5
	v_cvt_f16_f32_e32 v6, v6
	v_cvt_f16_f32_e32 v7, v7
	s_waitcnt lgkmcnt(0)
	v_perm_b32 v79, v79, v78, s62
	v_perm_b32 v78, v32, v25, s62
	v_cvt_f32_f16_e32 v4, v4
	v_cvt_f32_f16_e32 v5, v5
	v_cvt_f32_f16_e32 v6, v6
	v_cvt_f32_f16_e32 v7, v7
	;; [unrolled: 18-line block ×3, first 2 shown]
	s_nop 1
	v_mfma_f32_16x16x16_f16 v[4:7], v[78:79], v[12:13], v[4:7]
	v_cvt_f32_f16_e32 v78, v9
	v_cvt_f32_f16_sdwa v79, v9 dst_sel:DWORD dst_unused:UNUSED_PAD src0_sel:WORD_1
	s_nop 5
	v_cvt_f16_f32_e32 v6, v6
	v_cvt_f16_f32_e32 v7, v7
	v_perm_b32 v25, v7, v6, s62
	ds_read_u16 v6, v106 offset:64
	ds_read_u16 v32, v106 offset:240
	;; [unrolled: 1-line block ×4, first 2 shown]
	s_waitcnt lgkmcnt(2)
	v_perm_b32 v6, v32, v6, s62
	s_waitcnt lgkmcnt(0)
	v_perm_b32 v7, v82, v7, s62
	s_nop 1
	v_mfma_f32_16x16x16_f16 v[6:9], v[6:7], v[16:17], v[78:81]
	ds_read_u16 v32, v106 offset:2880
	s_nop 1
	ds_read_u16 v78, v106 offset:3056
	ds_read_u16 v79, v107 offset:2880
	;; [unrolled: 1-line block ×3, first 2 shown]
	v_cvt_f32_f16_sdwa v81, v10 dst_sel:DWORD dst_unused:UNUSED_PAD src0_sel:WORD_1
	s_nop 0
	v_cvt_f16_f32_e32 v6, v6
	v_cvt_f16_f32_e32 v7, v7
	;; [unrolled: 1-line block ×4, first 2 shown]
	s_waitcnt lgkmcnt(0)
	v_perm_b32 v79, v80, v79, s62
	v_perm_b32 v78, v78, v32, s62
	v_cvt_f32_f16_e32 v6, v6
	v_cvt_f32_f16_e32 v7, v7
	;; [unrolled: 1-line block ×4, first 2 shown]
	s_nop 1
	v_mfma_f32_16x16x16_f16 v[6:9], v[78:79], v[18:19], v[6:9]
	ds_read_u16 v32, v106 offset:5696
	ds_read_u16 v78, v106 offset:5872
	;; [unrolled: 1-line block ×4, first 2 shown]
	s_nop 3
	v_cvt_f16_f32_e32 v6, v6
	v_cvt_f16_f32_e32 v7, v7
	;; [unrolled: 1-line block ×4, first 2 shown]
	s_waitcnt lgkmcnt(0)
	v_perm_b32 v79, v80, v79, s62
	v_perm_b32 v78, v78, v32, s62
	v_cvt_f32_f16_e32 v6, v6
	v_cvt_f32_f16_e32 v7, v7
	;; [unrolled: 1-line block ×4, first 2 shown]
	s_nop 1
	v_mfma_f32_16x16x16_f16 v[6:9], v[78:79], v[20:21], v[6:9]
	ds_read_u16 v32, v106 offset:8512
	ds_read_u16 v78, v106 offset:8688
	;; [unrolled: 1-line block ×4, first 2 shown]
	s_nop 3
	v_cvt_f16_f32_e32 v6, v6
	v_cvt_f16_f32_e32 v7, v7
	;; [unrolled: 1-line block ×4, first 2 shown]
	s_waitcnt lgkmcnt(0)
	v_perm_b32 v79, v80, v79, s62
	v_perm_b32 v78, v78, v32, s62
	v_cvt_f32_f16_e32 v6, v6
	v_cvt_f32_f16_e32 v7, v7
	;; [unrolled: 1-line block ×5, first 2 shown]
	s_nop 0
	v_mfma_f32_16x16x16_f16 v[6:9], v[78:79], v[12:13], v[6:9]
	v_cvt_f32_f16_e32 v78, v11
	v_cvt_f32_f16_sdwa v79, v11 dst_sel:DWORD dst_unused:UNUSED_PAD src0_sel:WORD_1
	s_nop 5
	v_cvt_f16_f32_e32 v8, v8
	v_cvt_f16_f32_e32 v9, v9
	v_perm_b32 v32, v9, v8, s62
	ds_read_u16 v8, v106 offset:96
	ds_read_u16 v82, v106 offset:272
	;; [unrolled: 1-line block ×4, first 2 shown]
	s_waitcnt lgkmcnt(2)
	v_perm_b32 v8, v82, v8, s62
	v_cvt_f32_f16_e32 v82, v76
	s_waitcnt lgkmcnt(0)
	v_perm_b32 v9, v83, v9, s62
	v_cvt_f32_f16_sdwa v83, v76 dst_sel:DWORD dst_unused:UNUSED_PAD src0_sel:WORD_1
	s_nop 0
	v_mfma_f32_16x16x16_f16 v[8:11], v[8:9], v[16:17], v[78:81]
	s_nop 2
	ds_read_u16 v78, v106 offset:2912
	ds_read_u16 v80, v106 offset:3088
	;; [unrolled: 1-line block ×4, first 2 shown]
	s_nop 0
	v_cvt_f16_f32_e32 v8, v8
	v_cvt_f16_f32_e32 v9, v9
	;; [unrolled: 1-line block ×4, first 2 shown]
	s_waitcnt lgkmcnt(0)
	v_perm_b32 v79, v81, v79, s62
	v_perm_b32 v78, v80, v78, s62
	v_cvt_f32_f16_e32 v8, v8
	v_cvt_f32_f16_e32 v9, v9
	;; [unrolled: 1-line block ×4, first 2 shown]
	s_nop 1
	v_mfma_f32_16x16x16_f16 v[8:11], v[78:79], v[18:19], v[8:11]
	ds_read_u16 v78, v106 offset:5728
	ds_read_u16 v80, v106 offset:5904
	;; [unrolled: 1-line block ×4, first 2 shown]
	s_nop 3
	v_cvt_f16_f32_e32 v8, v8
	v_cvt_f16_f32_e32 v9, v9
	;; [unrolled: 1-line block ×4, first 2 shown]
	s_waitcnt lgkmcnt(0)
	v_perm_b32 v79, v81, v79, s62
	v_perm_b32 v78, v80, v78, s62
	v_cvt_f32_f16_e32 v8, v8
	v_cvt_f32_f16_e32 v9, v9
	;; [unrolled: 1-line block ×4, first 2 shown]
	s_nop 1
	v_mfma_f32_16x16x16_f16 v[8:11], v[78:79], v[20:21], v[8:11]
	ds_read_u16 v78, v106 offset:8544
	ds_read_u16 v80, v106 offset:8720
	;; [unrolled: 1-line block ×4, first 2 shown]
	s_nop 3
	v_cvt_f16_f32_e32 v8, v8
	v_cvt_f16_f32_e32 v9, v9
	;; [unrolled: 1-line block ×4, first 2 shown]
	s_waitcnt lgkmcnt(0)
	v_perm_b32 v79, v81, v79, s62
	v_perm_b32 v78, v80, v78, s62
	v_cvt_f32_f16_e32 v8, v8
	v_cvt_f32_f16_e32 v9, v9
	;; [unrolled: 1-line block ×5, first 2 shown]
	v_cvt_f32_f16_sdwa v81, v77 dst_sel:DWORD dst_unused:UNUSED_PAD src0_sel:WORD_1
	v_mfma_f32_16x16x16_f16 v[8:11], v[78:79], v[12:13], v[8:11]
	s_nop 7
	v_cvt_f16_f32_e32 v10, v10
	v_cvt_f16_f32_e32 v11, v11
	v_perm_b32 v78, v11, v10, s62
	ds_read_u16 v10, v106 offset:128
	ds_read_u16 v79, v106 offset:304
	;; [unrolled: 1-line block ×4, first 2 shown]
	s_waitcnt lgkmcnt(2)
	v_perm_b32 v10, v79, v10, s62
	s_waitcnt lgkmcnt(0)
	v_perm_b32 v11, v84, v11, s62
	ds_read_u16 v76, v106 offset:2944
	ds_read_u16 v77, v106 offset:3120
	;; [unrolled: 1-line block ×4, first 2 shown]
	v_mfma_f32_16x16x16_f16 v[80:83], v[10:11], v[16:17], v[80:83]
	s_nop 7
	v_cvt_f16_f32_e32 v10, v80
	v_cvt_f16_f32_e32 v11, v81
	;; [unrolled: 1-line block ×4, first 2 shown]
	v_cvt_f32_f16_e32 v80, v10
	v_cvt_f32_f16_e32 v81, v11
	s_waitcnt lgkmcnt(0)
	v_perm_b32 v11, v84, v79, s62
	v_perm_b32 v10, v77, v76, s62
	v_cvt_f32_f16_e32 v82, v16
	v_cvt_f32_f16_e32 v83, v17
	s_nop 1
	v_mfma_f32_16x16x16_f16 v[16:19], v[10:11], v[18:19], v[80:83]
	ds_read_u16 v76, v106 offset:5760
	ds_read_u16 v77, v106 offset:5936
	;; [unrolled: 1-line block ×4, first 2 shown]
	s_nop 3
	v_cvt_f16_f32_e32 v10, v16
	v_cvt_f16_f32_e32 v11, v17
	;; [unrolled: 1-line block ×4, first 2 shown]
	v_cvt_f32_f16_e32 v16, v10
	v_cvt_f32_f16_e32 v17, v11
	s_waitcnt lgkmcnt(0)
	v_perm_b32 v11, v80, v79, s62
	v_perm_b32 v10, v77, v76, s62
	v_cvt_f32_f16_e32 v18, v18
	v_cvt_f32_f16_e32 v19, v19
	s_nop 1
	v_mfma_f32_16x16x16_f16 v[16:19], v[10:11], v[20:21], v[16:19]
	ds_read_u16 v10, v106 offset:8576
	ds_read_u16 v11, v106 offset:8752
	;; [unrolled: 1-line block ×4, first 2 shown]
	s_waitcnt lgkmcnt(0)
	s_barrier
	s_nop 1
	v_cvt_f16_f32_e32 v16, v16
	v_cvt_f16_f32_e32 v17, v17
	;; [unrolled: 1-line block ×4, first 2 shown]
	v_perm_b32 v21, v21, v20, s62
	v_perm_b32 v20, v11, v10, s62
	v_cvt_f32_f16_e32 v16, v16
	v_cvt_f32_f16_e32 v17, v17
	;; [unrolled: 1-line block ×4, first 2 shown]
	s_nop 1
	v_mfma_f32_16x16x16_f16 v[10:13], v[20:21], v[12:13], v[16:19]
	s_nop 7
	v_cvt_f16_f32_e32 v12, v12
	v_cvt_f16_f32_e32 v13, v13
	v_perm_b32 v12, v13, v12, s62
	ds_bpermute_b32 v13, v15, v23
	s_waitcnt lgkmcnt(0)
	v_add_f32_e32 v13, v23, v13
	ds_bpermute_b32 v15, v22, v13
	s_waitcnt lgkmcnt(0)
	v_add_f32_e32 v15, v13, v15
	s_cbranch_scc1 .LBB9_176
; %bb.175:                              ;   in Loop: Header=BB9_13 Depth=1
	v_cvt_pk_f16_f32 v3, v2, v3
	v_lshlrev_b32_e32 v2, 2, v28
	v_cvt_pk_f16_f32 v4, v4, v5
	global_load_dword v5, v2, s[74:75]
	v_cvt_pk_f16_f32 v6, v6, v7
	v_cvt_pk_f16_f32 v7, v8, v9
	v_max_f32_e32 v9, v14, v14
	v_cvt_pk_f16_f32 v8, v10, v11
	s_waitcnt vmcnt(0)
	v_max_f32_e32 v2, v5, v5
	v_max_f32_e32 v2, v9, v2
	v_sub_f32_e32 v9, v14, v2
	v_mul_f32_e32 v10, 0x3fb8aa3b, v9
	v_fma_f32 v11, v9, s41, -v10
	v_rndne_f32_e32 v13, v10
	v_fmac_f32_e32 v11, 0x32a5705f, v9
	v_sub_f32_e32 v10, v10, v13
	v_add_f32_e32 v10, v10, v11
	v_exp_f32_e32 v10, v10
	v_cvt_i32_f32_e32 v11, v13
	v_cmp_ngt_f32_e32 vcc, s63, v9
	v_ldexp_f32 v10, v10, v11
	s_nop 0
	v_cndmask_b32_e32 v10, 0, v10, vcc
	v_cmp_nlt_f32_e32 vcc, s60, v9
	s_nop 1
	v_cndmask_b32_e32 v10, v151, v10, vcc
	v_cmp_le_f32_e32 vcc, s61, v9
	s_nop 1
	v_cndmask_b32_e32 v9, 0, v10, vcc
	v_sub_f32_e32 v10, v5, v2
	v_cvt_f16_f32_e32 v5, v9
	v_cmp_ngt_f32_e32 vcc, s63, v10
	v_mul_u32_u24_e32 v11, 0x10001, v5
	v_pk_mul_f16 v5, v3, v11
	v_mul_f32_e32 v3, 0x3fb8aa3b, v10
	v_pk_mul_f16 v24, v24, v11
	v_pk_mul_f16 v4, v4, v11
	;; [unrolled: 1-line block ×9, first 2 shown]
	v_fma_f32 v11, v10, s41, -v3
	v_rndne_f32_e32 v13, v3
	v_fmac_f32_e32 v11, 0x32a5705f, v10
	v_sub_f32_e32 v3, v3, v13
	v_add_f32_e32 v3, v3, v11
	v_exp_f32_e32 v3, v3
	v_cvt_i32_f32_e32 v11, v13
	v_ldexp_f32 v3, v3, v11
	v_cndmask_b32_e32 v3, 0, v3, vcc
	v_cmp_nlt_f32_e32 vcc, s60, v10
	s_nop 1
	v_cndmask_b32_e32 v3, v151, v3, vcc
	v_fmac_f32_e32 v3, v15, v9
	v_mov_b64_e32 v[14:15], v[2:3]
	s_branch .LBB9_177
.LBB9_176:                              ;   in Loop: Header=BB9_13 Depth=1
	v_cvt_f16_f32_e32 v2, v2
	v_cvt_f16_f32_e32 v3, v3
	;; [unrolled: 1-line block ×10, first 2 shown]
	v_perm_b32 v4, v5, v4, s62
	v_perm_b32 v5, v3, v2, s62
	;; [unrolled: 1-line block ×5, first 2 shown]
.LBB9_177:                              ;   in Loop: Header=BB9_13 Depth=1
	s_mov_b64 s[74:75], exec
	v_readlane_b32 s4, v181, 20
	v_readlane_b32 s5, v181, 21
	s_and_b64 s[4:5], s[74:75], s[4:5]
	s_mov_b64 exec, s[4:5]
; %bb.178:                              ;   in Loop: Header=BB9_13 Depth=1
	ds_write2_b32 v142, v14, v15 offset0:40 offset1:41
; %bb.179:                              ;   in Loop: Header=BB9_13 Depth=1
	s_or_b64 exec, exec, s[74:75]
	v_mov_b32_e32 v2, 50
	s_waitcnt lgkmcnt(0)
	s_barrier
	ds_write2_b32 v109, v5, v24 offset1:1
	ds_write2_b32 v109, v4, v25 offset0:8 offset1:9
	ds_write2_b32 v109, v6, v32 offset0:16 offset1:17
	;; [unrolled: 1-line block ×4, first 2 shown]
	s_waitcnt lgkmcnt(0)
	s_barrier
	s_and_saveexec_b64 s[74:75], s[98:99]
	s_cbranch_execz .LBB9_181
; %bb.180:                              ;   in Loop: Header=BB9_13 Depth=1
	ds_read_b32 v6, v126 offset:164
	ds_read_b32 v4, v127
	v_mad_u64_u32 v[2:3], s[4:5], v160, s29, v[64:65]
	v_mad_u64_u32 v[2:3], s[4:5], v2, 40, v[26:27]
	s_waitcnt lgkmcnt(0)
	v_cvt_f32_f16_sdwa v5, v4 dst_sel:DWORD dst_unused:UNUSED_PAD src0_sel:WORD_1
	v_cvt_f32_f16_e32 v4, v4
	v_ashrrev_i32_e32 v3, 31, v2
	v_lshl_add_u64 v[2:3], v[2:3], 3, s[72:73]
	v_pk_add_f32 v[4:5], v[4:5], 0 op_sel_hi:[1,0]
	s_nop 0
	v_div_scale_f32 v7, s[4:5], v6, v6, v5
	v_rcp_f32_e32 v8, v7
	s_nop 0
	v_fma_f32 v9, -v7, v8, 1.0
	v_fmac_f32_e32 v8, v9, v8
	v_div_scale_f32 v9, vcc, v5, v6, v5
	v_mul_f32_e32 v10, v9, v8
	v_fma_f32 v11, -v7, v10, v9
	v_fmac_f32_e32 v10, v11, v8
	v_fma_f32 v7, -v7, v10, v9
	v_div_fmas_f32 v7, v7, v8, v10
	v_div_fixup_f32 v5, v7, v6, v5
	v_div_scale_f32 v7, s[4:5], v6, v6, v4
	v_rcp_f32_e32 v8, v7
	s_nop 0
	v_fma_f32 v9, -v7, v8, 1.0
	v_fmac_f32_e32 v8, v9, v8
	v_div_scale_f32 v9, vcc, v4, v6, v4
	v_mul_f32_e32 v10, v9, v8
	v_fma_f32 v11, -v7, v10, v9
	v_fmac_f32_e32 v10, v11, v8
	v_fma_f32 v7, -v7, v10, v9
	v_div_fmas_f32 v7, v7, v8, v10
	v_div_fixup_f32 v4, v7, v6, v4
	global_store_dwordx2 v[2:3], v[4:5], off
	v_mov_b32_e32 v2, 0
.LBB9_181:                              ;   in Loop: Header=BB9_13 Depth=1
	s_or_b64 exec, exec, s[74:75]
	v_cmp_gt_i32_e32 vcc, 50, v2
	s_mov_b64 s[76:77], -1
	s_and_saveexec_b64 s[74:75], vcc
; %bb.182:                              ;   in Loop: Header=BB9_13 Depth=1
	v_cmp_eq_u32_e32 vcc, 0, v2
	s_orn2_b64 s[76:77], vcc, exec
; %bb.183:                              ;   in Loop: Header=BB9_13 Depth=1
	s_or_b64 exec, exec, s[74:75]
	s_and_saveexec_b64 s[74:75], s[76:77]
	s_cbranch_execz .LBB9_216
; %bb.184:                              ;   in Loop: Header=BB9_13 Depth=1
	v_mov_b32_e32 v2, 50
	s_and_saveexec_b64 s[76:77], s[96:97]
	s_cbranch_execz .LBB9_186
; %bb.185:                              ;   in Loop: Header=BB9_13 Depth=1
	ds_read_b32 v6, v128 offset:164
	ds_read_b32 v4, v129
	v_mad_u64_u32 v[2:3], s[4:5], v159, s29, v[64:65]
	v_mad_u64_u32 v[2:3], s[4:5], v2, 40, v[26:27]
	s_waitcnt lgkmcnt(0)
	v_cvt_f32_f16_sdwa v5, v4 dst_sel:DWORD dst_unused:UNUSED_PAD src0_sel:WORD_1
	v_cvt_f32_f16_e32 v4, v4
	v_ashrrev_i32_e32 v3, 31, v2
	v_lshl_add_u64 v[2:3], v[2:3], 3, s[72:73]
	v_pk_add_f32 v[4:5], v[4:5], 0 op_sel_hi:[1,0]
	s_nop 0
	v_div_scale_f32 v7, s[4:5], v6, v6, v5
	v_rcp_f32_e32 v8, v7
	s_nop 0
	v_fma_f32 v9, -v7, v8, 1.0
	v_fmac_f32_e32 v8, v9, v8
	v_div_scale_f32 v9, vcc, v5, v6, v5
	v_mul_f32_e32 v10, v9, v8
	v_fma_f32 v11, -v7, v10, v9
	v_fmac_f32_e32 v10, v11, v8
	v_fma_f32 v7, -v7, v10, v9
	v_div_fmas_f32 v7, v7, v8, v10
	v_div_fixup_f32 v5, v7, v6, v5
	v_div_scale_f32 v7, s[4:5], v6, v6, v4
	v_rcp_f32_e32 v8, v7
	s_nop 0
	v_fma_f32 v9, -v7, v8, 1.0
	v_fmac_f32_e32 v8, v9, v8
	v_div_scale_f32 v9, vcc, v4, v6, v4
	v_mul_f32_e32 v10, v9, v8
	v_fma_f32 v11, -v7, v10, v9
	v_fmac_f32_e32 v10, v11, v8
	v_fma_f32 v7, -v7, v10, v9
	v_div_fmas_f32 v7, v7, v8, v10
	v_div_fixup_f32 v4, v7, v6, v4
	global_store_dwordx2 v[2:3], v[4:5], off
	v_mov_b32_e32 v2, 0
.LBB9_186:                              ;   in Loop: Header=BB9_13 Depth=1
	s_or_b64 exec, exec, s[76:77]
	v_cmp_gt_i32_e32 vcc, 50, v2
	s_mov_b64 s[76:77], -1
	s_and_saveexec_b64 s[78:79], vcc
; %bb.187:                              ;   in Loop: Header=BB9_13 Depth=1
	v_cmp_eq_u32_e32 vcc, 0, v2
	s_orn2_b64 s[76:77], vcc, exec
; %bb.188:                              ;   in Loop: Header=BB9_13 Depth=1
	s_or_b64 exec, exec, s[78:79]
	s_and_b64 exec, exec, s[76:77]
	s_cbranch_execz .LBB9_216
; %bb.189:                              ;   in Loop: Header=BB9_13 Depth=1
	v_mov_b32_e32 v2, 50
	s_and_saveexec_b64 s[76:77], s[94:95]
	s_cbranch_execz .LBB9_191
; %bb.190:                              ;   in Loop: Header=BB9_13 Depth=1
	ds_read_b32 v6, v122 offset:164
	ds_read_b32 v4, v130
	v_mad_u64_u32 v[2:3], s[4:5], v158, s29, v[64:65]
	v_mad_u64_u32 v[2:3], s[4:5], v2, 40, v[26:27]
	s_waitcnt lgkmcnt(0)
	v_cvt_f32_f16_sdwa v5, v4 dst_sel:DWORD dst_unused:UNUSED_PAD src0_sel:WORD_1
	v_cvt_f32_f16_e32 v4, v4
	v_ashrrev_i32_e32 v3, 31, v2
	v_lshl_add_u64 v[2:3], v[2:3], 3, s[72:73]
	v_pk_add_f32 v[4:5], v[4:5], 0 op_sel_hi:[1,0]
	s_nop 0
	v_div_scale_f32 v7, s[4:5], v6, v6, v5
	v_rcp_f32_e32 v8, v7
	s_nop 0
	v_fma_f32 v9, -v7, v8, 1.0
	v_fmac_f32_e32 v8, v9, v8
	v_div_scale_f32 v9, vcc, v5, v6, v5
	v_mul_f32_e32 v10, v9, v8
	v_fma_f32 v11, -v7, v10, v9
	v_fmac_f32_e32 v10, v11, v8
	v_fma_f32 v7, -v7, v10, v9
	v_div_fmas_f32 v7, v7, v8, v10
	v_div_fixup_f32 v5, v7, v6, v5
	v_div_scale_f32 v7, s[4:5], v6, v6, v4
	v_rcp_f32_e32 v8, v7
	s_nop 0
	v_fma_f32 v9, -v7, v8, 1.0
	v_fmac_f32_e32 v8, v9, v8
	v_div_scale_f32 v9, vcc, v4, v6, v4
	v_mul_f32_e32 v10, v9, v8
	v_fma_f32 v11, -v7, v10, v9
	v_fmac_f32_e32 v10, v11, v8
	v_fma_f32 v7, -v7, v10, v9
	v_div_fmas_f32 v7, v7, v8, v10
	v_div_fixup_f32 v4, v7, v6, v4
	global_store_dwordx2 v[2:3], v[4:5], off
	v_mov_b32_e32 v2, 0
.LBB9_191:                              ;   in Loop: Header=BB9_13 Depth=1
	s_or_b64 exec, exec, s[76:77]
	v_cmp_gt_i32_e32 vcc, 50, v2
	s_mov_b64 s[76:77], -1
	s_and_saveexec_b64 s[78:79], vcc
; %bb.192:                              ;   in Loop: Header=BB9_13 Depth=1
	v_cmp_eq_u32_e32 vcc, 0, v2
	s_orn2_b64 s[76:77], vcc, exec
; %bb.193:                              ;   in Loop: Header=BB9_13 Depth=1
	s_or_b64 exec, exec, s[78:79]
	s_and_b64 exec, exec, s[76:77]
	;; [unrolled: 54-line block ×3, first 2 shown]
	s_cbranch_execz .LBB9_216
; %bb.199:                              ;   in Loop: Header=BB9_13 Depth=1
	v_mov_b32_e32 v2, 50
	s_mov_b64 s[76:77], exec
	v_readlane_b32 s4, v181, 34
	v_readlane_b32 s5, v181, 35
	s_and_b64 s[4:5], s[76:77], s[4:5]
	s_mov_b64 exec, s[4:5]
	s_cbranch_execz .LBB9_201
; %bb.200:                              ;   in Loop: Header=BB9_13 Depth=1
	ds_read_b32 v6, v123 offset:164
	ds_read_b32 v4, v133
	v_mad_u64_u32 v[2:3], s[4:5], v156, s29, v[64:65]
	v_mad_u64_u32 v[2:3], s[4:5], v2, 40, v[26:27]
	s_waitcnt lgkmcnt(0)
	v_cvt_f32_f16_sdwa v5, v4 dst_sel:DWORD dst_unused:UNUSED_PAD src0_sel:WORD_1
	v_cvt_f32_f16_e32 v4, v4
	v_ashrrev_i32_e32 v3, 31, v2
	v_lshl_add_u64 v[2:3], v[2:3], 3, s[72:73]
	v_pk_add_f32 v[4:5], v[4:5], 0 op_sel_hi:[1,0]
	s_nop 0
	v_div_scale_f32 v7, s[4:5], v6, v6, v5
	v_rcp_f32_e32 v8, v7
	s_nop 0
	v_fma_f32 v9, -v7, v8, 1.0
	v_fmac_f32_e32 v8, v9, v8
	v_div_scale_f32 v9, vcc, v5, v6, v5
	v_mul_f32_e32 v10, v9, v8
	v_fma_f32 v11, -v7, v10, v9
	v_fmac_f32_e32 v10, v11, v8
	v_fma_f32 v7, -v7, v10, v9
	v_div_fmas_f32 v7, v7, v8, v10
	v_div_fixup_f32 v5, v7, v6, v5
	v_div_scale_f32 v7, s[4:5], v6, v6, v4
	v_rcp_f32_e32 v8, v7
	s_nop 0
	v_fma_f32 v9, -v7, v8, 1.0
	v_fmac_f32_e32 v8, v9, v8
	v_div_scale_f32 v9, vcc, v4, v6, v4
	v_mul_f32_e32 v10, v9, v8
	v_fma_f32 v11, -v7, v10, v9
	v_fmac_f32_e32 v10, v11, v8
	v_fma_f32 v7, -v7, v10, v9
	v_div_fmas_f32 v7, v7, v8, v10
	v_div_fixup_f32 v4, v7, v6, v4
	global_store_dwordx2 v[2:3], v[4:5], off
	v_mov_b32_e32 v2, 0
.LBB9_201:                              ;   in Loop: Header=BB9_13 Depth=1
	s_or_b64 exec, exec, s[76:77]
	v_cmp_gt_i32_e32 vcc, 50, v2
	s_mov_b64 s[76:77], -1
	s_and_saveexec_b64 s[78:79], vcc
; %bb.202:                              ;   in Loop: Header=BB9_13 Depth=1
	v_cmp_eq_u32_e32 vcc, 0, v2
	s_orn2_b64 s[76:77], vcc, exec
; %bb.203:                              ;   in Loop: Header=BB9_13 Depth=1
	s_or_b64 exec, exec, s[78:79]
	s_and_b64 exec, exec, s[76:77]
	s_cbranch_execz .LBB9_216
; %bb.204:                              ;   in Loop: Header=BB9_13 Depth=1
	v_mov_b32_e32 v2, 50
	s_mov_b64 s[76:77], exec
	v_readlane_b32 s4, v181, 36
	v_readlane_b32 s5, v181, 37
	s_and_b64 s[4:5], s[76:77], s[4:5]
	s_mov_b64 exec, s[4:5]
	s_cbranch_execz .LBB9_206
; %bb.205:                              ;   in Loop: Header=BB9_13 Depth=1
	ds_read_b32 v6, v134 offset:164
	ds_read_b32 v4, v135
	v_mad_u64_u32 v[2:3], s[4:5], v155, s29, v[64:65]
	v_mad_u64_u32 v[2:3], s[4:5], v2, 40, v[26:27]
	s_waitcnt lgkmcnt(0)
	v_cvt_f32_f16_sdwa v5, v4 dst_sel:DWORD dst_unused:UNUSED_PAD src0_sel:WORD_1
	v_cvt_f32_f16_e32 v4, v4
	v_ashrrev_i32_e32 v3, 31, v2
	v_lshl_add_u64 v[2:3], v[2:3], 3, s[72:73]
	v_pk_add_f32 v[4:5], v[4:5], 0 op_sel_hi:[1,0]
	s_nop 0
	v_div_scale_f32 v7, s[4:5], v6, v6, v5
	v_rcp_f32_e32 v8, v7
	s_nop 0
	v_fma_f32 v9, -v7, v8, 1.0
	v_fmac_f32_e32 v8, v9, v8
	v_div_scale_f32 v9, vcc, v5, v6, v5
	v_mul_f32_e32 v10, v9, v8
	v_fma_f32 v11, -v7, v10, v9
	v_fmac_f32_e32 v10, v11, v8
	v_fma_f32 v7, -v7, v10, v9
	v_div_fmas_f32 v7, v7, v8, v10
	v_div_fixup_f32 v5, v7, v6, v5
	v_div_scale_f32 v7, s[4:5], v6, v6, v4
	v_rcp_f32_e32 v8, v7
	s_nop 0
	v_fma_f32 v9, -v7, v8, 1.0
	v_fmac_f32_e32 v8, v9, v8
	v_div_scale_f32 v9, vcc, v4, v6, v4
	v_mul_f32_e32 v10, v9, v8
	v_fma_f32 v11, -v7, v10, v9
	v_fmac_f32_e32 v10, v11, v8
	v_fma_f32 v7, -v7, v10, v9
	v_div_fmas_f32 v7, v7, v8, v10
	v_div_fixup_f32 v4, v7, v6, v4
	global_store_dwordx2 v[2:3], v[4:5], off
	v_mov_b32_e32 v2, 0
.LBB9_206:                              ;   in Loop: Header=BB9_13 Depth=1
	s_or_b64 exec, exec, s[76:77]
	v_cmp_gt_i32_e32 vcc, 50, v2
	s_mov_b64 s[76:77], -1
	s_and_saveexec_b64 s[78:79], vcc
; %bb.207:                              ;   in Loop: Header=BB9_13 Depth=1
	v_cmp_eq_u32_e32 vcc, 0, v2
	s_orn2_b64 s[76:77], vcc, exec
; %bb.208:                              ;   in Loop: Header=BB9_13 Depth=1
	s_or_b64 exec, exec, s[78:79]
	s_and_b64 exec, exec, s[76:77]
	;; [unrolled: 58-line block ×3, first 2 shown]
	s_cbranch_execz .LBB9_216
; %bb.214:                              ;   in Loop: Header=BB9_13 Depth=1
	v_readlane_b32 s4, v181, 40
	v_readlane_b32 s5, v181, 41
	s_and_b64 exec, exec, s[4:5]
	s_cbranch_execz .LBB9_216
; %bb.215:                              ;   in Loop: Header=BB9_13 Depth=1
	ds_read_b32 v2, v138
	ds_read_b32 v6, v137 offset:164
	v_mad_u64_u32 v[4:5], s[4:5], v153, s29, v[64:65]
	v_mad_u64_u32 v[4:5], s[4:5], v4, 40, v[26:27]
	s_waitcnt lgkmcnt(1)
	v_cvt_f32_f16_sdwa v3, v2 dst_sel:DWORD dst_unused:UNUSED_PAD src0_sel:WORD_1
	v_cvt_f32_f16_e32 v2, v2
	v_ashrrev_i32_e32 v5, 31, v4
	v_lshl_add_u64 v[4:5], v[4:5], 3, s[72:73]
	v_pk_add_f32 v[2:3], v[2:3], 0 op_sel_hi:[1,0]
	s_waitcnt lgkmcnt(0)
	v_div_scale_f32 v7, s[4:5], v6, v6, v3
	v_rcp_f32_e32 v8, v7
	s_nop 0
	v_fma_f32 v9, -v7, v8, 1.0
	v_fmac_f32_e32 v8, v9, v8
	v_div_scale_f32 v9, vcc, v3, v6, v3
	v_mul_f32_e32 v10, v9, v8
	v_fma_f32 v11, -v7, v10, v9
	v_fmac_f32_e32 v10, v11, v8
	v_fma_f32 v7, -v7, v10, v9
	v_div_scale_f32 v9, s[4:5], v6, v6, v2
	v_rcp_f32_e32 v11, v9
	v_div_fmas_f32 v7, v7, v8, v10
	v_div_fixup_f32 v3, v7, v6, v3
	v_fma_f32 v7, -v9, v11, 1.0
	v_fmac_f32_e32 v11, v7, v11
	v_div_scale_f32 v7, vcc, v2, v6, v2
	v_mul_f32_e32 v8, v7, v11
	v_fma_f32 v10, -v9, v8, v7
	v_fmac_f32_e32 v8, v10, v11
	v_fma_f32 v7, -v9, v8, v7
	v_div_fmas_f32 v7, v7, v11, v8
	v_div_fixup_f32 v2, v7, v6, v2
	global_store_dwordx2 v[4:5], v[2:3], off
.LBB9_216:                              ;   in Loop: Header=BB9_13 Depth=1
	s_or_b64 exec, exec, s[74:75]
	v_mov_b32_e32 v2, 50
	s_and_saveexec_b64 s[74:75], s[82:83]
	s_cbranch_execz .LBB9_218
; %bb.217:                              ;   in Loop: Header=BB9_13 Depth=1
	ds_read_b32 v2, v120 offset:128
	ds_read_b32 v6, v65 offset:164
	v_mad_u64_u32 v[4:5], s[4:5], v152, s29, v[60:61]
	v_mul_lo_u32 v4, v4, 40
	s_waitcnt lgkmcnt(1)
	v_cvt_f32_f16_sdwa v3, v2 dst_sel:DWORD dst_unused:UNUSED_PAD src0_sel:WORD_1
	v_cvt_f32_f16_e32 v2, v2
	v_ashrrev_i32_e32 v5, 31, v4
	v_or_b32_e32 v4, v4, v28
	v_lshl_add_u64 v[4:5], v[4:5], 3, s[72:73]
	v_pk_add_f32 v[2:3], v[2:3], 0 op_sel_hi:[1,0]
	s_waitcnt lgkmcnt(0)
	v_div_scale_f32 v7, s[4:5], v6, v6, v3
	v_rcp_f32_e32 v8, v7
	s_nop 0
	v_fma_f32 v9, -v7, v8, 1.0
	v_fmac_f32_e32 v8, v9, v8
	v_div_scale_f32 v9, vcc, v3, v6, v3
	v_mul_f32_e32 v10, v9, v8
	v_fma_f32 v11, -v7, v10, v9
	v_fmac_f32_e32 v10, v11, v8
	v_fma_f32 v7, -v7, v10, v9
	v_div_scale_f32 v9, s[4:5], v6, v6, v2
	v_rcp_f32_e32 v11, v9
	v_div_fmas_f32 v7, v7, v8, v10
	v_div_fixup_f32 v3, v7, v6, v3
	v_fma_f32 v7, -v9, v11, 1.0
	v_fmac_f32_e32 v11, v7, v11
	v_div_scale_f32 v7, vcc, v2, v6, v2
	v_mul_f32_e32 v8, v7, v11
	v_fma_f32 v10, -v9, v8, v7
	v_fmac_f32_e32 v8, v10, v11
	v_fma_f32 v7, -v9, v8, v7
	v_div_fmas_f32 v7, v7, v11, v8
	v_div_fixup_f32 v2, v7, v6, v2
	global_store_dwordx2 v[4:5], v[2:3], off offset:256
	v_mov_b32_e32 v2, 0
.LBB9_218:                              ;   in Loop: Header=BB9_13 Depth=1
	s_or_b64 exec, exec, s[74:75]
	v_cmp_gt_i32_e32 vcc, 50, v2
	s_mov_b64 s[76:77], -1
	s_and_saveexec_b64 s[74:75], vcc
; %bb.219:                              ;   in Loop: Header=BB9_13 Depth=1
	v_cmp_eq_u32_e32 vcc, 0, v2
	s_orn2_b64 s[76:77], vcc, exec
; %bb.220:                              ;   in Loop: Header=BB9_13 Depth=1
	s_or_b64 exec, exec, s[74:75]
                                        ; implicit-def: $vgpr2_vgpr3
	s_and_saveexec_b64 s[74:75], s[76:77]
	s_cbranch_execz .LBB9_224
; %bb.221:                              ;   in Loop: Header=BB9_13 Depth=1
	s_mov_b64 s[78:79], s[8:9]
                                        ; implicit-def: $vgpr2_vgpr3
	s_and_saveexec_b64 s[76:77], s[6:7]
	s_cbranch_execz .LBB9_223
; %bb.222:                              ;   in Loop: Header=BB9_13 Depth=1
	ds_read_b32 v2, v121 offset:128
	ds_read_b32 v4, v101 offset:164
	s_or_b64 s[78:79], s[8:9], exec
	s_waitcnt lgkmcnt(1)
	v_cvt_f32_f16_sdwa v3, v2 dst_sel:DWORD dst_unused:UNUSED_PAD src0_sel:WORD_1
	v_cvt_f32_f16_e32 v2, v2
	v_pk_add_f32 v[2:3], v[2:3], 0 op_sel_hi:[1,0]
	s_waitcnt lgkmcnt(0)
	v_div_scale_f32 v5, s[4:5], v4, v4, v3
	v_rcp_f32_e32 v7, v5
	v_div_scale_f32 v6, s[4:5], v4, v4, v2
	v_div_scale_f32 v9, vcc, v3, v4, v3
	v_fma_f32 v10, -v5, v7, 1.0
	v_fmac_f32_e32 v7, v10, v7
	v_rcp_f32_e32 v8, v6
	v_mul_f32_e32 v10, v9, v7
	v_fma_f32 v12, -v5, v10, v9
	v_fmac_f32_e32 v10, v12, v7
	v_fma_f32 v5, -v5, v10, v9
	v_fma_f32 v11, -v6, v8, 1.0
	v_div_fmas_f32 v5, v5, v7, v10
	v_div_fixup_f32 v3, v5, v4, v3
	v_fmac_f32_e32 v8, v11, v8
	v_div_scale_f32 v5, vcc, v2, v4, v2
	v_mul_f32_e32 v7, v5, v8
	v_fma_f32 v9, -v6, v7, v5
	v_fmac_f32_e32 v7, v9, v8
	v_fma_f32 v5, -v6, v7, v5
	v_div_fmas_f32 v5, v5, v8, v7
	v_div_fixup_f32 v2, v5, v4, v2
.LBB9_223:                              ;   in Loop: Header=BB9_13 Depth=1
	s_or_b64 exec, exec, s[76:77]
	s_andn2_b64 s[4:5], s[8:9], exec
	s_and_b64 s[6:7], s[78:79], exec
	s_or_b64 s[8:9], s[4:5], s[6:7]
.LBB9_224:                              ;   in Loop: Header=BB9_13 Depth=1
	s_or_b64 exec, exec, s[74:75]
.LBB9_225:                              ;   in Loop: Header=BB9_13 Depth=1
	s_and_saveexec_b64 s[6:7], s[8:9]
	s_cbranch_execz .LBB9_12
; %bb.226:                              ;   in Loop: Header=BB9_13 Depth=1
	v_mad_u64_u32 v[4:5], s[4:5], v67, s29, v[60:61]
	v_mul_lo_u32 v4, v4, 40
	v_ashrrev_i32_e32 v5, 31, v4
	v_or_b32_e32 v4, v4, v28
	v_lshl_add_u64 v[4:5], v[4:5], 3, s[72:73]
	global_store_dwordx2 v[4:5], v[2:3], off offset:256
	s_branch .LBB9_12
.LBB9_227:
	v_writelane_b32 v181, s48, 12
	s_nop 1
	v_writelane_b32 v181, s49, 13
	s_andn2_b64 vcc, exec, s[6:7]
	s_cbranch_vccz .LBB9_230
.LBB9_228:
	s_endpgm
.LBB9_229:
	v_readlane_b32 s40, v181, 14
	v_readlane_b32 s41, v181, 15
	;; [unrolled: 1-line block ×4, first 2 shown]
	s_andn2_b64 vcc, exec, s[6:7]
	s_cbranch_vccnz .LBB9_228
.LBB9_230:
	v_readlane_b32 s6, v181, 3
	s_abs_i32 s0, s6
	v_cvt_f32_u32_e32 v2, s0
	s_sub_i32 s3, 0, s0
	s_abs_i32 s2, s52
	s_xor_b32 s1, s52, s6
	v_rcp_iflag_f32_e32 v2, v2
	s_ashr_i32 s1, s1, 31
	s_mov_b32 s20, s8
	v_readlane_b32 s8, v181, 2
	v_mul_f32_e32 v2, 0x4f7ffffe, v2
	v_cvt_u32_f32_e32 v2, v2
	v_readlane_b32 s9, v181, 1
	v_mov_b32_e32 v8, s10
	v_readfirstlane_b32 s4, v2
	s_mul_i32 s3, s3, s4
	s_mul_hi_u32 s3, s4, s3
	s_add_i32 s4, s4, s3
	s_mul_hi_u32 s3, s2, s4
	s_mul_i32 s4, s3, s0
	s_sub_i32 s2, s2, s4
	s_add_i32 s5, s3, 1
	s_sub_i32 s4, s2, s0
	s_cmp_ge_u32 s2, s0
	s_cselect_b32 s3, s5, s3
	s_cselect_b32 s2, s4, s2
	s_add_i32 s4, s3, 1
	s_cmp_ge_u32 s2, s0
	s_cselect_b32 s0, s4, s3
	s_abs_i32 s3, s8
	v_cvt_f32_u32_e32 v2, s3
	s_xor_b32 s0, s0, s1
	s_sub_i32 s2, s0, s1
	s_sub_i32 s4, 0, s3
	v_rcp_iflag_f32_e32 v2, v2
	s_mul_i32 s0, s2, s6
	s_sub_i32 s0, s52, s0
	s_abs_i32 s5, s0
	v_mul_f32_e32 v2, 0x4f7ffffe, v2
	v_cvt_u32_f32_e32 v2, v2
	s_xor_b32 s1, s0, s8
	s_ashr_i32 s1, s1, 31
	v_readfirstlane_b32 s6, v2
	s_mul_i32 s4, s4, s6
	s_mul_hi_u32 s4, s6, s4
	s_add_i32 s6, s6, s4
	s_mul_hi_u32 s4, s5, s6
	s_mul_i32 s6, s4, s3
	s_sub_i32 s5, s5, s6
	s_add_i32 s7, s4, 1
	s_sub_i32 s6, s5, s3
	s_cmp_ge_u32 s5, s3
	s_cselect_b32 s4, s7, s4
	s_cselect_b32 s5, s6, s5
	s_add_i32 s6, s4, 1
	s_cmp_ge_u32 s5, s3
	s_cselect_b32 s3, s6, s4
	s_abs_i32 s4, s9
	v_cvt_f32_u32_e32 v2, s4
	s_xor_b32 s3, s3, s1
	s_sub_i32 s5, 0, s4
	s_sub_i32 s3, s3, s1
	v_rcp_iflag_f32_e32 v2, v2
	s_mul_i32 s1, s3, s8
	s_sub_i32 s1, s0, s1
	s_abs_i32 s6, s1
	v_mul_f32_e32 v2, 0x4f7ffffe, v2
	v_cvt_u32_f32_e32 v2, v2
	s_xor_b32 s0, s1, s9
	s_ashr_i32 s0, s0, 31
	v_readfirstlane_b32 s7, v2
	s_mul_i32 s5, s5, s7
	s_mul_hi_u32 s5, s7, s5
	s_add_i32 s7, s7, s5
	s_mul_hi_u32 s5, s6, s7
	s_mul_i32 s7, s5, s4
	s_sub_i32 s6, s6, s7
	s_add_i32 s8, s5, 1
	s_sub_i32 s7, s6, s4
	s_cmp_ge_u32 s6, s4
	s_cselect_b32 s5, s8, s5
	s_cselect_b32 s6, s7, s6
	s_add_i32 s7, s5, 1
	s_cmp_ge_u32 s6, s4
	s_cselect_b32 s4, s7, s5
	s_xor_b32 s4, s4, s0
	s_sub_i32 s0, s4, s0
	s_mul_i32 s4, s0, s9
	s_sub_i32 s1, s1, s4
	s_ashr_i32 s4, s1, 31
	v_readlane_b32 s5, v181, 10
	s_abs_i32 s1, s1
	s_xor_b32 s4, s4, s5
	s_mul_hi_u32 s5, s1, s51
	s_mul_i32 s6, s5, s65
	s_sub_i32 s1, s1, s6
	s_add_i32 s6, s5, 1
	s_sub_i32 s7, s1, s65
	s_cmp_ge_u32 s1, s65
	s_cselect_b32 s5, s6, s5
	s_cselect_b32 s1, s7, s1
	s_add_i32 s6, s5, 1
	s_cmp_ge_u32 s1, s65
	s_cselect_b32 s1, s6, s5
	s_abs_i32 s8, s20
	v_cvt_f32_u32_e32 v2, s8
	s_xor_b32 s1, s1, s4
	s_sub_i32 s1, s1, s4
	s_cmp_eq_u64 s[22:23], 0
	v_rcp_iflag_f32_e32 v2, v2
	s_nop 0
	v_mul_f32_e32 v2, 0x4f7ffffe, v2
	v_cvt_u32_f32_e32 v2, v2
	s_nop 0
	v_readfirstlane_b32 s11, v2
	s_cbranch_scc1 .LBB9_232
; %bb.231:
	v_readlane_b32 s4, v181, 0
	s_mul_i32 s4, s2, s4
	s_add_i32 s4, s1, s4
	s_ashr_i32 s5, s4, 31
	s_lshl_b64 s[4:5], s[4:5], 2
	s_add_u32 s4, s22, s4
	s_addc_u32 s5, s23, s5
	v_mov_b32_e32 v2, 0
	global_load_dword v2, v2, s[4:5]
	s_waitcnt vmcnt(0)
	v_ashrrev_i32_e32 v3, 31, v2
	v_lshrrev_b32_e32 v3, 26, v3
	v_add_u32_e32 v2, v2, v3
	v_ashrrev_i32_e32 v2, 6, v2
	v_min_i32_e32 v8, s10, v2
.LBB9_232:
	v_readlane_b32 s6, v181, 4
	s_mul_i32 s4, s3, s33
	s_lshl_b32 s10, s0, 3
	v_readlane_b32 s7, v181, 5
	s_add_i32 s0, s10, s4
	s_mul_i32 s4, s2, s7
	s_ashr_i32 s5, s4, 31
	s_add_u32 s4, s12, s4
	s_mul_i32 s0, s0, s6
	s_addc_u32 s5, s13, s5
	s_ashr_i32 s7, s0, 31
	s_add_u32 s6, s4, s0
	s_addc_u32 s7, s5, s7
	s_lshl_b32 s9, s1, 3
	v_lshrrev_b32_e32 v3, 3, v27
	v_and_b32_e32 v2, 7, v27
	v_add_u32_e32 v3, s9, v3
	v_or_b32_e32 v4, s10, v2
	v_cmp_le_i32_e64 s[0:1], s28, v3
	v_cmp_le_i32_e64 s[4:5], s33, v4
	s_mov_b32 s12, 0x10001
	v_lshl_add_u32 v33, v26, 2, 0
	v_cmp_gt_i32_e32 vcc, s33, v4
	s_or_b64 s[0:1], s[0:1], s[4:5]
	s_and_saveexec_b64 s[4:5], s[0:1]
	s_xor_b64 s[0:1], exec, s[4:5]
	v_readlane_b32 s24, v181, 12
	v_readlane_b32 s25, v181, 13
; %bb.233:
	s_movk_i32 s4, 0xb0
	v_mad_u32_u24 v3, v27, s4, v33
	v_mov_b32_e32 v4, 0
	ds_write_b32 v3, v4
                                        ; implicit-def: $vgpr3
; %bb.234:
	s_or_saveexec_b64 s[0:1], s[0:1]
	v_mul_lo_u32 v1, v1, s12
	v_readlane_b32 s22, v181, 6
	v_readlane_b32 s23, v181, 11
	s_xor_b64 exec, exec, s[0:1]
	s_cbranch_execz .LBB9_236
; %bb.235:
	v_mul_lo_u32 v3, v3, s53
	v_mul_lo_u32 v4, v2, s23
	v_add3_u32 v4, v4, v26, v3
	v_ashrrev_i32_e32 v5, 31, v4
	v_lshl_add_u64 v[4:5], v[4:5], 3, s[6:7]
	global_load_dwordx2 v[4:5], v[4:5], off
	s_movk_i32 s4, 0xb0
	s_waitcnt vmcnt(0)
	v_cvt_pk_f16_f32 v3, v4, v5
	v_pk_mul_f16 v3, v3, v1
	v_mad_u32_u24 v4, v27, s4, v33
	ds_write_b32 v4, v3
.LBB9_236:
	s_or_b64 exec, exec, s[0:1]
	v_add_u32_e32 v3, 8, v27
	v_lshrrev_b32_e32 v4, 3, v3
	v_add_u32_e32 v4, s9, v4
	v_cmp_le_i32_e64 s[0:1], s28, v4
	s_xor_b64 s[4:5], vcc, -1
	s_or_b64 s[0:1], s[0:1], s[4:5]
	s_and_saveexec_b64 s[12:13], s[0:1]
	s_xor_b64 s[0:1], exec, s[12:13]
; %bb.237:
	s_movk_i32 s12, 0xb0
	v_mad_u32_u24 v3, v3, s12, v33
	v_mov_b32_e32 v4, 0
	ds_write_b32 v3, v4
                                        ; implicit-def: $vgpr4
                                        ; implicit-def: $vgpr3
; %bb.238:
	s_andn2_saveexec_b64 s[0:1], s[0:1]
	s_cbranch_execz .LBB9_240
; %bb.239:
	v_mul_lo_u32 v4, v4, s53
	v_mul_lo_u32 v5, v2, s23
	v_add3_u32 v4, v5, v26, v4
	v_ashrrev_i32_e32 v5, 31, v4
	v_lshl_add_u64 v[4:5], v[4:5], 3, s[6:7]
	global_load_dwordx2 v[4:5], v[4:5], off
	s_movk_i32 s12, 0xb0
	v_mad_u32_u24 v3, v3, s12, v33
	s_waitcnt vmcnt(0)
	v_cvt_pk_f16_f32 v4, v4, v5
	v_pk_mul_f16 v4, v4, v1
	ds_write_b32 v3, v4
.LBB9_240:
	s_or_b64 exec, exec, s[0:1]
	v_add_u32_e32 v40, 16, v27
	v_lshrrev_b32_e32 v3, 3, v40
	v_add_u32_e32 v3, s9, v3
	v_cmp_le_i32_e32 vcc, s28, v3
	s_or_b64 s[0:1], vcc, s[4:5]
	s_and_saveexec_b64 s[12:13], s[0:1]
	s_xor_b64 s[0:1], exec, s[12:13]
; %bb.241:
	s_movk_i32 s12, 0xb0
	v_mad_u32_u24 v3, v40, s12, v33
	v_mov_b32_e32 v4, 0
	ds_write_b32 v3, v4
                                        ; implicit-def: $vgpr3
; %bb.242:
	s_andn2_saveexec_b64 s[0:1], s[0:1]
	s_cbranch_execz .LBB9_244
; %bb.243:
	v_mul_lo_u32 v3, v3, s53
	v_mul_lo_u32 v4, v2, s23
	v_add3_u32 v4, v4, v26, v3
	v_ashrrev_i32_e32 v5, 31, v4
	v_lshl_add_u64 v[4:5], v[4:5], 3, s[6:7]
	global_load_dwordx2 v[4:5], v[4:5], off
	s_movk_i32 s12, 0xb0
	s_waitcnt vmcnt(0)
	v_cvt_pk_f16_f32 v3, v4, v5
	v_pk_mul_f16 v3, v3, v1
	v_mad_u32_u24 v4, v40, s12, v33
	ds_write_b32 v4, v3
.LBB9_244:
	s_or_b64 exec, exec, s[0:1]
	v_add_u32_e32 v3, 24, v27
	v_lshrrev_b32_e32 v4, 3, v3
	v_add_u32_e32 v4, s9, v4
	v_cmp_le_i32_e32 vcc, s28, v4
	s_or_b64 s[0:1], vcc, s[4:5]
	s_and_saveexec_b64 s[12:13], s[0:1]
	s_xor_b64 s[0:1], exec, s[12:13]
; %bb.245:
	s_movk_i32 s12, 0xb0
	v_mad_u32_u24 v3, v3, s12, v33
	v_mov_b32_e32 v4, 0
	ds_write_b32 v3, v4
                                        ; implicit-def: $vgpr4
                                        ; implicit-def: $vgpr3
; %bb.246:
	s_andn2_saveexec_b64 s[0:1], s[0:1]
	s_cbranch_execz .LBB9_248
; %bb.247:
	v_mul_lo_u32 v4, v4, s53
	v_mul_lo_u32 v5, v2, s23
	v_add3_u32 v4, v5, v26, v4
	v_ashrrev_i32_e32 v5, 31, v4
	v_lshl_add_u64 v[4:5], v[4:5], 3, s[6:7]
	global_load_dwordx2 v[4:5], v[4:5], off
	s_movk_i32 s12, 0xb0
	v_mad_u32_u24 v3, v3, s12, v33
	s_waitcnt vmcnt(0)
	v_cvt_pk_f16_f32 v4, v4, v5
	v_pk_mul_f16 v4, v4, v1
	ds_write_b32 v3, v4
.LBB9_248:
	s_or_b64 exec, exec, s[0:1]
	v_add_u32_e32 v42, 32, v27
	v_lshrrev_b32_e32 v3, 3, v42
	v_add_u32_e32 v3, s9, v3
	v_cmp_le_i32_e32 vcc, s28, v3
	s_or_b64 s[0:1], vcc, s[4:5]
	s_and_saveexec_b64 s[12:13], s[0:1]
	s_xor_b64 s[0:1], exec, s[12:13]
; %bb.249:
	s_movk_i32 s12, 0xb0
	v_mad_u32_u24 v3, v42, s12, v33
	v_mov_b32_e32 v4, 0
	ds_write_b32 v3, v4
                                        ; implicit-def: $vgpr3
; %bb.250:
	s_andn2_saveexec_b64 s[0:1], s[0:1]
	s_cbranch_execz .LBB9_252
; %bb.251:
	v_mul_lo_u32 v3, v3, s53
	v_mul_lo_u32 v4, v2, s23
	v_add3_u32 v4, v4, v26, v3
	v_ashrrev_i32_e32 v5, 31, v4
	v_lshl_add_u64 v[4:5], v[4:5], 3, s[6:7]
	global_load_dwordx2 v[4:5], v[4:5], off
	s_movk_i32 s12, 0xb0
	s_waitcnt vmcnt(0)
	v_cvt_pk_f16_f32 v3, v4, v5
	v_pk_mul_f16 v3, v3, v1
	v_mad_u32_u24 v4, v42, s12, v33
	ds_write_b32 v4, v3
.LBB9_252:
	s_or_b64 exec, exec, s[0:1]
	v_add_u32_e32 v3, 40, v27
	v_lshrrev_b32_e32 v4, 3, v3
	v_add_u32_e32 v4, s9, v4
	v_cmp_le_i32_e32 vcc, s28, v4
	s_or_b64 s[0:1], vcc, s[4:5]
	s_and_saveexec_b64 s[12:13], s[0:1]
	s_xor_b64 s[0:1], exec, s[12:13]
; %bb.253:
	s_movk_i32 s12, 0xb0
	v_mad_u32_u24 v3, v3, s12, v33
	v_mov_b32_e32 v4, 0
	ds_write_b32 v3, v4
                                        ; implicit-def: $vgpr4
                                        ; implicit-def: $vgpr3
; %bb.254:
	s_andn2_saveexec_b64 s[0:1], s[0:1]
	s_cbranch_execz .LBB9_256
; %bb.255:
	v_mul_lo_u32 v4, v4, s53
	v_mul_lo_u32 v5, v2, s23
	v_add3_u32 v4, v5, v26, v4
	v_ashrrev_i32_e32 v5, 31, v4
	v_lshl_add_u64 v[4:5], v[4:5], 3, s[6:7]
	global_load_dwordx2 v[4:5], v[4:5], off
	s_movk_i32 s12, 0xb0
	v_mad_u32_u24 v3, v3, s12, v33
	s_waitcnt vmcnt(0)
	v_cvt_pk_f16_f32 v4, v4, v5
	v_pk_mul_f16 v4, v4, v1
	ds_write_b32 v3, v4
.LBB9_256:
	s_or_b64 exec, exec, s[0:1]
	v_add_u32_e32 v43, 48, v27
	v_lshrrev_b32_e32 v3, 3, v43
	v_add_u32_e32 v3, s9, v3
	v_cmp_le_i32_e32 vcc, s28, v3
	s_or_b64 s[0:1], vcc, s[4:5]
	s_and_saveexec_b64 s[12:13], s[0:1]
	s_xor_b64 s[0:1], exec, s[12:13]
; %bb.257:
	s_movk_i32 s12, 0xb0
	v_mad_u32_u24 v3, v43, s12, v33
	v_mov_b32_e32 v4, 0
	ds_write_b32 v3, v4
                                        ; implicit-def: $vgpr3
; %bb.258:
	s_andn2_saveexec_b64 s[0:1], s[0:1]
	s_cbranch_execz .LBB9_260
; %bb.259:
	v_mul_lo_u32 v3, v3, s53
	v_mul_lo_u32 v4, v2, s23
	v_add3_u32 v4, v4, v26, v3
	v_ashrrev_i32_e32 v5, 31, v4
	v_lshl_add_u64 v[4:5], v[4:5], 3, s[6:7]
	global_load_dwordx2 v[4:5], v[4:5], off
	s_movk_i32 s12, 0xb0
	s_waitcnt vmcnt(0)
	v_cvt_pk_f16_f32 v3, v4, v5
	v_pk_mul_f16 v3, v3, v1
	v_mad_u32_u24 v4, v43, s12, v33
	ds_write_b32 v4, v3
.LBB9_260:
	s_or_b64 exec, exec, s[0:1]
	v_add_u32_e32 v3, 56, v27
	v_lshrrev_b32_e32 v4, 3, v3
	v_add_u32_e32 v4, s9, v4
	v_cmp_le_i32_e32 vcc, s28, v4
	s_sub_i32 s12, 0, s8
	s_or_b64 s[0:1], vcc, s[4:5]
	s_and_saveexec_b64 s[4:5], s[0:1]
	s_xor_b64 s[0:1], exec, s[4:5]
; %bb.261:
	s_movk_i32 s4, 0xb0
	v_mad_u32_u24 v2, v3, s4, v33
	v_mov_b32_e32 v3, 0
	ds_write_b32 v2, v3
                                        ; implicit-def: $vgpr4
                                        ; implicit-def: $vgpr2
                                        ; implicit-def: $vgpr3
; %bb.262:
	s_or_saveexec_b64 s[0:1], s[0:1]
	s_mul_i32 s12, s12, s11
	v_and_b32_e32 v47, 0x3ff, v0
	s_xor_b64 exec, exec, s[0:1]
	s_cbranch_execz .LBB9_264
; %bb.263:
	v_mul_lo_u32 v0, v4, s53
	v_mul_lo_u32 v2, v2, s23
	v_add3_u32 v4, v2, v26, v0
	v_ashrrev_i32_e32 v5, 31, v4
	v_lshl_add_u64 v[4:5], v[4:5], 3, s[6:7]
	global_load_dwordx2 v[4:5], v[4:5], off
	s_movk_i32 s4, 0xb0
	v_mad_u32_u24 v2, v3, s4, v33
	s_waitcnt vmcnt(0)
	v_cvt_pk_f16_f32 v0, v4, v5
	v_pk_mul_f16 v0, v0, v1
	ds_write_b32 v2, v0
.LBB9_264:
	s_or_b64 exec, exec, s[0:1]
	v_lshrrev_b32_e32 v10, 3, v47
	v_and_b32_e32 v0, 7, v10
	v_lshl_add_u32 v45, v63, 3, v10
	v_or_b32_e32 v2, s10, v0
	v_cmp_gt_i32_e32 vcc, s33, v2
	v_cmp_le_i32_e64 s[0:1], s33, v2
	v_lshrrev_b32_e32 v2, 3, v45
	v_add_u32_e32 v2, s9, v2
	v_cmp_le_i32_e64 s[4:5], s28, v2
	s_mul_hi_u32 s12, s11, s12
	v_and_b32_e32 v44, 7, v47
	v_mul_lo_u32 v0, s23, v0
	s_or_b64 s[0:1], s[4:5], s[0:1]
	s_and_saveexec_b64 s[4:5], s[0:1]
	s_xor_b64 s[0:1], exec, s[4:5]
; %bb.265:
	v_mul_u32_u24_e32 v2, 0xb0, v45
	v_lshlrev_b32_e32 v3, 2, v44
	v_add3_u32 v2, 0, v2, v3
	v_mov_b32_e32 v3, 0
	ds_write_b32 v2, v3 offset:128
                                        ; implicit-def: $vgpr2
; %bb.266:
	s_or_saveexec_b64 s[0:1], s[0:1]
	s_abs_i32 s10, s2
	s_add_i32 s11, s11, s12
	v_add3_u32 v0, v0, v44, 32
	v_lshl_add_u32 v46, v44, 2, 0
	s_xor_b64 exec, exec, s[0:1]
	s_cbranch_execz .LBB9_268
; %bb.267:
	v_mad_u64_u32 v[2:3], s[4:5], v2, s53, v[0:1]
	v_ashrrev_i32_e32 v3, 31, v2
	v_lshl_add_u64 v[2:3], v[2:3], 3, s[6:7]
	global_load_dwordx2 v[2:3], v[2:3], off
	s_movk_i32 s4, 0xb0
	s_waitcnt vmcnt(0)
	v_cvt_pk_f16_f32 v2, v2, v3
	v_pk_mul_f16 v2, v2, v1
	v_mad_u32_u24 v3, v45, s4, v46
	ds_write_b32 v3, v2 offset:128
.LBB9_268:
	s_or_b64 exec, exec, s[0:1]
	v_add_u32_e32 v58, 32, v45
	v_lshrrev_b32_e32 v2, 3, v58
	v_add_u32_e32 v2, s9, v2
	v_cmp_le_i32_e64 s[0:1], s28, v2
	s_xor_b64 s[4:5], vcc, -1
	s_mul_hi_u32 s11, s10, s11
	s_or_b64 s[0:1], s[0:1], s[4:5]
	s_and_saveexec_b64 s[4:5], s[0:1]
	s_xor_b64 s[0:1], exec, s[4:5]
; %bb.269:
	v_mul_u32_u24_e32 v0, 0xb0, v58
	v_lshlrev_b32_e32 v1, 2, v44
	v_add3_u32 v0, 0, v0, v1
	v_mov_b32_e32 v1, 0
	ds_write_b32 v0, v1 offset:128
                                        ; implicit-def: $vgpr0
                                        ; implicit-def: $vgpr2
                                        ; implicit-def: $vgpr1
; %bb.270:
	s_or_saveexec_b64 s[0:1], s[0:1]
	s_ashr_i32 s12, s2, 31
	s_xor_b64 exec, exec, s[0:1]
	s_cbranch_execz .LBB9_272
; %bb.271:
	v_mad_u64_u32 v[2:3], s[4:5], v2, s53, v[0:1]
	v_ashrrev_i32_e32 v3, 31, v2
	v_lshl_add_u64 v[2:3], v[2:3], 3, s[6:7]
	global_load_dwordx2 v[2:3], v[2:3], off
	s_movk_i32 s4, 0xb0
	s_waitcnt vmcnt(0)
	v_cvt_pk_f16_f32 v0, v2, v3
	v_pk_mul_f16 v0, v0, v1
	v_mad_u32_u24 v1, v58, s4, v46
	ds_write_b32 v1, v0 offset:128
.LBB9_272:
	s_or_b64 exec, exec, s[0:1]
	s_mul_hi_u32 s0, s36, s2
	s_mul_i32 s1, s36, s12
	s_add_i32 s0, s0, s1
	s_mul_i32 s1, s37, s2
	v_readlane_b32 s4, v181, 8
	s_add_i32 s0, s0, s1
	s_mul_i32 s1, s36, s2
	v_readlane_b32 s5, v181, 9
	s_add_u32 s1, s14, s1
	s_mul_i32 s4, s3, s5
	s_addc_u32 s0, s15, s0
	s_ashr_i32 s5, s4, 31
	s_add_u32 s4, s1, s4
	s_mul_i32 s11, s11, s8
	s_addc_u32 s5, s0, s5
	s_sub_i32 s0, s10, s11
	s_sub_i32 s1, s0, s8
	s_cmp_ge_u32 s0, s8
	s_cselect_b32 s0, s1, s0
	s_sub_i32 s1, s0, s8
	s_cmp_ge_u32 s0, s8
	s_cselect_b32 s0, s1, s0
	s_xor_b32 s0, s0, s12
	s_sub_i32 s0, s0, s12
	s_ashr_i32 s1, s0, 31
	s_mul_i32 s1, s46, s1
	s_mul_hi_u32 s6, s46, s0
	s_add_i32 s1, s6, s1
	s_mul_i32 s6, s47, s0
	s_add_i32 s1, s1, s6
	s_mul_i32 s0, s46, s0
	s_add_u32 s6, s18, s0
	s_addc_u32 s7, s19, s1
	s_mul_hi_u32 s0, s44, s2
	s_mul_i32 s1, s44, s12
	s_add_i32 s0, s0, s1
	s_mul_i32 s1, s45, s2
	s_add_i32 s0, s0, s1
	s_mul_i32 s1, s44, s2
	s_add_u32 s1, s16, s1
	s_mul_i32 s3, s3, s39
	s_addc_u32 s0, s17, s0
	s_ashr_i32 s8, s3, 31
	s_add_u32 s2, s1, s3
	s_addc_u32 s3, s0, s8
	s_movk_i32 s0, 0xb00
	v_and_b32_e32 v48, 15, v47
	v_and_b32_e32 v1, 0x7e, v10
	v_mad_u32_u24 v0, v63, s0, 0
	v_mul_u32_u24_e32 v65, 0xb0, v48
	v_lshlrev_b32_e32 v49, 2, v1
	v_add3_u32 v9, v0, v65, v49
	s_waitcnt lgkmcnt(0)
	s_barrier
	ds_read2_b64 v[4:7], v9 offset1:4
	ds_read2_b64 v[0:3], v9 offset0:8 offset1:12
	ds_read_b64 v[14:15], v9 offset:128
	v_add_u32_e32 v71, -1, v8
	v_add_u32_e32 v8, s9, v27
	v_mul_hi_u32 v9, s42, v8
	v_add_u32_e32 v9, v8, v9
	v_lshrrev_b32_e32 v9, s43, v9
	v_cmp_lt_i32_e32 vcc, s84, v71
	v_mul_lo_u32 v9, v9, s28
	s_movk_i32 s0, 0xb0
	v_sub_u32_e32 v11, v8, v9
	v_lshrrev_b32_e32 v64, 1, v47
	s_waitcnt lgkmcnt(0)
	s_barrier
	s_cbranch_vccnz .LBB9_274
; %bb.273:
	v_lshlrev_b32_e32 v8, 1, v47
	v_mul_lo_u32 v18, s34, v45
	v_and_b32_e32 v22, 62, v8
	v_mov_b32_e32 v23, 0
	s_ashr_i32 s35, s34, 31
	v_lshlrev_b32_e32 v69, 2, v47
	v_mov_b32_e32 v8, 0x1600
	v_lshl_add_u32 v20, s34, 5, v18
	v_mad_i64_i32 v[24:25], s[8:9], v11, s24, 0
	v_lshl_add_u32 v62, v63, 5, v64
	v_mul_u32_u24_e32 v67, 0xb0, v45
	v_and_b32_e32 v16, 28, v69
	v_mov_b32_e32 v17, v23
	v_ashrrev_i32_e32 v19, 31, v18
	v_mad_u32_u24 v68, v45, s0, v8
	v_ashrrev_i32_e32 v21, 31, v20
	s_mov_b64 s[0:1], 0
	v_mov_b64_e32 v[8:9], s[34:35]
	s_branch .LBB9_275
.LBB9_274:
	s_mov_b64 s[0:1], -1
                                        ; implicit-def: $vgpr22
                                        ; implicit-def: $vgpr24_vgpr25
                                        ; implicit-def: $vgpr8_vgpr9
                                        ; implicit-def: $vgpr62
                                        ; implicit-def: $vgpr67
                                        ; implicit-def: $vgpr69
                                        ; implicit-def: $vgpr16
                                        ; implicit-def: $vgpr18_vgpr19
                                        ; implicit-def: $vgpr68
                                        ; implicit-def: $vgpr20_vgpr21
.LBB9_275:
	v_mul_lo_u32 v12, s30, v45
	v_mul_u32_u24_e32 v70, 0x90, v27
	s_andn2_b64 vcc, exec, s[0:1]
	v_lshl_or_b32 v66, v10, 2, 4
	v_lshlrev_b32_e32 v60, 1, v10
	v_ashrrev_i32_e32 v13, 31, v12
	v_lshlrev_b32_e32 v59, 1, v48
	s_cbranch_vccnz .LBB9_283
; %bb.276:
	v_lshlrev_b32_e32 v8, 1, v47
	v_and_b32_e32 v22, 62, v8
	v_mad_i64_i32 v[24:25], s[0:1], v11, s24, 0
	v_lshlrev_b32_e32 v69, 2, v47
	v_mov_b32_e32 v29, 0
	v_lshlrev_b32_e32 v28, 1, v22
	v_lshl_add_u64 v[8:9], v[24:25], 1, s[6:7]
	v_and_b32_e32 v16, 28, v69
	v_lshl_add_u64 v[30:31], v[8:9], 0, v[28:29]
	v_mul_u32_u24_e32 v67, 0xb0, v45
	v_lshlrev_b32_e32 v8, 2, v16
	v_lshl_add_u32 v62, v63, 5, v64
	s_movk_i32 s8, 0xb0
	v_add3_u32 v76, 0, v67, v8
	v_mov_b32_e32 v8, 0x1600
	v_and_b32_e32 v32, 4, v69
	v_mad_u32_u24 v68, v45, s8, v8
	v_mad_u32_u24 v8, v62, s8, 0
	v_lshlrev_b32_e32 v9, 2, v32
	s_movk_i32 s8, 0x80
	v_add3_u32 v79, v8, v9, s8
	v_and_b32_e32 v8, 8, v47
	v_lshl_or_b32 v8, v63, 4, v8
	v_lshrrev_b32_e32 v8, 3, v8
	s_movk_i32 s8, 0x90
	v_mad_u32_u24 v8, v8, s8, 0
	v_and_b32_e32 v9, 0x1f8, v64
	v_add_u32_e32 v80, v8, v9
	v_add_u32_e32 v81, v8, v66
	v_mbcnt_hi_u32_b32 v8, -1, v61
	v_add3_u32 v75, 0, v70, v28
	v_and_b32_e32 v28, 64, v8
	v_add_u32_e32 v28, 64, v28
	v_xor_b32_e32 v36, 32, v8
	v_cmp_lt_i32_e32 vcc, v36, v28
	v_mul_lo_u32 v18, s34, v45
	v_and_b32_e32 v38, 0xfc, v60
	v_cndmask_b32_e32 v36, v8, v36, vcc
	v_lshlrev_b32_e32 v82, 2, v36
	v_xor_b32_e32 v36, 16, v8
	v_cmp_lt_i32_e32 vcc, v36, v28
	v_or_b32_e32 v28, 2, v60
	v_lshl_add_u32 v20, s34, 5, v18
	v_cndmask_b32_e32 v8, v8, v36, vcc
	v_lshlrev_b32_e32 v83, 2, v8
	v_or_b32_e32 v8, 3, v60
	v_mul_lo_u32 v34, s34, v62
	v_add_u32_e32 v9, 32, v80
	v_add_u32_e32 v10, 64, v80
	;; [unrolled: 1-line block ×3, first 2 shown]
	v_mul_lo_u32 v36, s30, v62
	v_mul_u32_u24_e32 v8, 0xb0, v8
	v_mul_u32_u24_e32 v28, 0xb0, v28
	;; [unrolled: 1-line block ×3, first 2 shown]
	v_mul_lo_u32 v38, s30, v58
	v_mov_b32_e32 v23, v29
	s_ashr_i32 s35, s34, 31
	v_cmp_gt_u32_e64 s[0:1], 64, v62
	v_mov_b32_e32 v17, v29
	v_ashrrev_i32_e32 v19, 31, v18
	v_add_u32_e32 v77, 0x1600, v76
	v_ashrrev_i32_e32 v21, 31, v20
	v_add3_u32 v78, 0, v65, v49
	v_ashrrev_i32_e32 v35, 31, v34
	v_ashrrev_i32_e32 v37, 31, v36
	v_ashrrev_i32_e32 v39, 31, v38
	v_add3_u32 v84, 0, v50, v59
	v_add3_u32 v85, 0, v28, v59
	v_add3_u32 v86, 0, v8, v59
	s_lshl_b32 s8, s84, 6
	v_mov_b32_e32 v8, 0xfeffffff
	v_lshlrev_b32_e32 v28, 2, v16
	v_add_u32_e32 v87, 0x2c00, v9
	v_add_u32_e32 v88, 0x2c00, v10
	;; [unrolled: 1-line block ×3, first 2 shown]
	s_mov_b32 s10, 0x3fb8aa3b
	s_mov_b32 s11, 0xc2ce8ed0
	;; [unrolled: 1-line block ×5, first 2 shown]
	v_mov_b32_e32 v90, 0x7f800000
	v_mov_b32_e32 v91, v29
	;; [unrolled: 1-line block ×12, first 2 shown]
.LBB9_277:                              ; =>This Inner Loop Header: Depth=1
	s_ashr_i32 s9, s8, 31
	v_lshl_add_u64 v[10:11], s[8:9], 1, v[30:31]
	global_load_dword v9, v[10:11], off
	s_mul_hi_i32 s13, s8, s34
	s_mul_i32 s12, s8, s34
	s_lshl_b64 s[12:13], s[12:13], 2
	s_add_u32 s12, s4, s12
	s_addc_u32 s13, s5, s13
	s_waitcnt vmcnt(0)
	ds_write_b32 v75, v9 offset:11264
	s_and_saveexec_b64 s[14:15], s[0:1]
	s_cbranch_execz .LBB9_279
; %bb.278:                              ;   in Loop: Header=BB9_277 Depth=1
	v_lshl_add_u64 v[10:11], v[34:35], 2, s[12:13]
	v_lshlrev_b32_e32 v92, 2, v32
	v_mov_b32_e32 v93, v29
	v_lshl_add_u64 v[10:11], v[10:11], 0, v[92:93]
	global_load_dwordx4 v[92:95], v[10:11], off offset:128
	s_waitcnt vmcnt(0)
	ds_write_b128 v79, v[92:95]
.LBB9_279:                              ;   in Loop: Header=BB9_277 Depth=1
	s_or_b64 exec, exec, s[14:15]
	v_lshl_add_u64 v[10:11], v[18:19], 2, s[12:13]
	v_lshl_add_u64 v[10:11], v[10:11], 0, v[28:29]
	;; [unrolled: 1-line block ×4, first 2 shown]
	global_load_dwordx4 v[92:95], v[10:11], off
	global_load_dwordx4 v[96:99], v[100:101], off
	v_add_u32_e32 v9, 0x800, v78
	v_add_u32_e32 v10, 0x1000, v78
	;; [unrolled: 1-line block ×3, first 2 shown]
	s_mul_hi_i32 s13, s8, s30
	s_mul_i32 s12, s8, s30
	s_lshl_b64 s[12:13], s[12:13], 2
	s_add_u32 s12, s2, s12
	s_addc_u32 s13, s3, s13
	s_waitcnt vmcnt(1)
	ds_write_b128 v76, v[92:95]
	s_waitcnt vmcnt(0)
	ds_write_b128 v77, v[96:99]
	s_waitcnt lgkmcnt(0)
	s_barrier
	ds_read2_b64 v[92:95], v78 offset1:4
	ds_read2_b64 v[100:103], v9 offset0:96 offset1:100
	ds_read2_b64 v[108:111], v10 offset0:192 offset1:196
	;; [unrolled: 1-line block ×3, first 2 shown]
	s_waitcnt lgkmcnt(3)
	v_mfma_f32_16x16x16_f16 v[96:99], v[92:93], v[4:5], 0
	s_waitcnt lgkmcnt(2)
	v_mfma_f32_16x16x16_f16 v[104:107], v[100:101], v[4:5], 0
	;; [unrolled: 2-line block ×4, first 2 shown]
	v_mfma_f32_16x16x16_f16 v[92:95], v[94:95], v[6:7], v[96:99]
	v_mfma_f32_16x16x16_f16 v[96:99], v[102:103], v[6:7], v[104:107]
	;; [unrolled: 1-line block ×3, first 2 shown]
	ds_read2_b64 v[108:111], v78 offset0:8 offset1:12
	s_nop 1
	ds_read2_b64 v[112:115], v9 offset0:104 offset1:108
	v_mfma_f32_16x16x16_f16 v[104:107], v[118:119], v[6:7], v[120:123]
	ds_read2_b64 v[116:119], v10 offset0:200 offset1:204
	s_nop 1
	ds_read2_b64 v[120:123], v11 offset0:40 offset1:44
	s_waitcnt lgkmcnt(3)
	v_mfma_f32_16x16x16_f16 v[92:95], v[108:109], v[0:1], v[92:95]
	s_waitcnt lgkmcnt(2)
	v_mfma_f32_16x16x16_f16 v[96:99], v[112:113], v[0:1], v[96:99]
	;; [unrolled: 2-line block ×3, first 2 shown]
	v_mfma_f32_16x16x16_f16 v[100:103], v[116:117], v[0:1], v[100:103]
	ds_read_b64 v[10:11], v78 offset:128
	ds_read_b64 v[108:109], v78 offset:2944
	ds_read_b64 v[112:113], v78 offset:5760
	ds_read_b64 v[116:117], v78 offset:8576
	s_waitcnt lgkmcnt(0)
	s_barrier
	v_mfma_f32_16x16x16_f16 v[92:95], v[110:111], v[2:3], v[92:95]
	v_mfma_f32_16x16x16_f16 v[96:99], v[114:115], v[2:3], v[96:99]
	ds_read_b32 v9, v80 offset:11264
	ds_read_b32 v63, v81 offset:11264
	ds_read2_b32 v[110:111], v87 offset1:1
	ds_read2_b32 v[114:115], v88 offset1:1
	;; [unrolled: 1-line block ×3, first 2 shown]
	s_waitcnt lgkmcnt(4)
	v_cvt_f32_f16_e32 v72, v9
	v_cvt_f32_f16_sdwa v9, v9 dst_sel:DWORD dst_unused:UNUSED_PAD src0_sel:WORD_1
	v_mfma_f32_16x16x16_f16 v[104:107], v[122:123], v[2:3], v[104:107]
	s_waitcnt lgkmcnt(2)
	v_cvt_f32_f16_sdwa v122, v110 dst_sel:DWORD dst_unused:UNUSED_PAD src0_sel:WORD_1
	s_waitcnt lgkmcnt(0)
	v_cvt_f32_f16_e32 v125, v120
	v_cvt_f32_f16_e32 v123, v111
	v_mfma_f32_16x16x16_f16 v[100:103], v[118:119], v[2:3], v[100:103]
	v_cvt_f32_f16_e32 v118, v63
	v_cvt_f32_f16_sdwa v63, v63 dst_sel:DWORD dst_unused:UNUSED_PAD src0_sel:WORD_1
	v_cvt_f32_f16_e32 v119, v110
	v_mfma_f32_16x16x16_f16 v[92:95], v[10:11], v[14:15], v[92:95]
	v_cvt_f32_f16_sdwa v10, v111 dst_sel:DWORD dst_unused:UNUSED_PAD src0_sel:WORD_1
	v_cvt_f32_f16_e32 v11, v114
	v_cvt_f32_f16_sdwa v114, v114 dst_sel:DWORD dst_unused:UNUSED_PAD src0_sel:WORD_1
	v_mfma_f32_16x16x16_f16 v[104:107], v[116:117], v[14:15], v[104:107]
	v_cvt_f32_f16_e32 v124, v115
	v_cvt_f32_f16_sdwa v115, v115 dst_sel:DWORD dst_unused:UNUSED_PAD src0_sel:WORD_1
	v_mfma_f32_16x16x16_f16 v[96:99], v[108:109], v[14:15], v[96:99]
	v_mfma_f32_16x16x16_f16 v[108:111], v[112:113], v[14:15], v[100:103]
	v_cvt_f32_f16_sdwa v112, v120 dst_sel:DWORD dst_unused:UNUSED_PAD src0_sel:WORD_1
	v_cvt_f32_f16_e32 v113, v121
	v_cvt_f32_f16_sdwa v120, v121 dst_sel:DWORD dst_unused:UNUSED_PAD src0_sel:WORD_1
	v_add_f32_e32 v103, v92, v72
	v_add_f32_e32 v72, v93, v9
	;; [unrolled: 1-line block ×16, first 2 shown]
	v_max3_f32 v63, v8, v63, v104
	v_add_f32_e32 v9, v107, v120
	v_add_f32_e32 v107, 0x40051340, v94
	;; [unrolled: 1-line block ×3, first 2 shown]
	v_max3_f32 v63, v63, v105, v106
	v_add_f32_e32 v99, v109, v114
	v_add_f32_e32 v100, v110, v124
	v_add_f32_e32 v109, 0x40051340, v96
	v_add_f32_e32 v110, 0x40051340, v97
	v_max3_f32 v63, v63, v107, v108
	v_add_f32_e32 v101, v111, v115
	v_add_f32_e32 v111, 0x40051340, v98
	;; [unrolled: 1-line block ×3, first 2 shown]
	v_max3_f32 v63, v63, v109, v110
	v_add_f32_e32 v113, 0x40051340, v100
	v_add_f32_e32 v114, 0x40051340, v101
	v_max3_f32 v63, v63, v111, v112
	v_add_f32_e32 v115, 0x40051340, v102
	v_add_f32_e32 v116, 0x40051340, v11
	v_max3_f32 v63, v63, v113, v114
	v_add_f32_e32 v117, 0x40051340, v10
	v_add_f32_e32 v118, 0x40051340, v9
	v_max3_f32 v63, v63, v115, v116
	v_max3_f32 v63, v63, v117, v118
	ds_bpermute_b32 v104, v82, v63
	s_waitcnt lgkmcnt(0)
	v_max_f32_e32 v104, v104, v104
	v_max_f32_e32 v63, v63, v104
	ds_bpermute_b32 v104, v83, v63
	s_and_saveexec_b64 s[14:15], s[0:1]
	s_cbranch_execz .LBB9_281
; %bb.280:                              ;   in Loop: Header=BB9_277 Depth=1
	v_lshl_add_u64 v[106:107], v[36:37], 2, s[12:13]
	v_lshlrev_b32_e32 v108, 2, v32
	v_mov_b32_e32 v109, v29
	v_lshl_add_u64 v[106:107], v[106:107], 0, v[108:109]
	global_load_dwordx4 v[106:109], v[106:107], off offset:128
	s_waitcnt vmcnt(0)
	ds_write_b128 v79, v[106:109]
.LBB9_281:                              ;   in Loop: Header=BB9_277 Depth=1
	s_or_b64 exec, exec, s[14:15]
	s_waitcnt lgkmcnt(0)
	v_max_f32_e32 v104, v104, v104
	v_max_f32_e32 v63, v63, v63
	;; [unrolled: 1-line block ×3, first 2 shown]
	v_sub_f32_e32 v103, v103, v63
	v_mul_f32_e32 v104, 0x3fb8aa3b, v103
	v_fma_f32 v105, v103, s10, -v104
	v_rndne_f32_e32 v106, v104
	v_fmac_f32_e32 v105, 0x32a5705f, v103
	v_sub_f32_e32 v104, v104, v106
	v_add_f32_e32 v104, v104, v105
	v_exp_f32_e32 v104, v104
	v_cvt_i32_f32_e32 v105, v106
	v_cmp_ngt_f32_e32 vcc, s11, v103
	v_sub_f32_e32 v116, v100, v63
	v_mul_f32_e32 v100, 0x3fb8aa3b, v116
	v_ldexp_f32 v104, v104, v105
	v_sub_f32_e32 v105, v72, v63
	v_mul_f32_e32 v72, 0x3fb8aa3b, v105
	v_fma_f32 v106, v105, s10, -v72
	v_rndne_f32_e32 v107, v72
	v_fmac_f32_e32 v106, 0x32a5705f, v105
	v_sub_f32_e32 v72, v72, v107
	v_add_f32_e32 v72, v72, v106
	v_exp_f32_e32 v106, v72
	v_cvt_i32_f32_e32 v107, v107
	v_cndmask_b32_e32 v72, 0, v104, vcc
	v_sub_f32_e32 v104, v92, v63
	v_mul_f32_e32 v92, 0x3fb8aa3b, v104
	v_cmp_nlt_f32_e32 vcc, s16, v103
	v_ldexp_f32 v103, v106, v107
	v_fma_f32 v106, v104, s10, -v92
	v_rndne_f32_e32 v107, v92
	v_fmac_f32_e32 v106, 0x32a5705f, v104
	v_sub_f32_e32 v92, v92, v107
	v_add_f32_e32 v92, v92, v106
	v_exp_f32_e32 v106, v92
	v_cvt_i32_f32_e32 v107, v107
	v_cndmask_b32_e32 v72, v90, v72, vcc
	v_cmp_ngt_f32_e32 vcc, s11, v105
	v_sub_f32_e32 v117, v101, v63
	v_mul_f32_e32 v101, 0x3fb8aa3b, v117
	v_cndmask_b32_e32 v92, 0, v103, vcc
	v_cmp_nlt_f32_e32 vcc, s16, v105
	v_sub_f32_e32 v105, v93, v63
	v_mul_f32_e32 v93, 0x3fb8aa3b, v105
	v_ldexp_f32 v103, v106, v107
	v_fma_f32 v106, v105, s10, -v93
	v_rndne_f32_e32 v107, v93
	v_fmac_f32_e32 v106, 0x32a5705f, v105
	v_sub_f32_e32 v93, v93, v107
	v_add_f32_e32 v93, v93, v106
	v_exp_f32_e32 v106, v93
	v_cvt_i32_f32_e32 v107, v107
	v_cndmask_b32_e32 v92, v90, v92, vcc
	v_cmp_ngt_f32_e32 vcc, s11, v104
	v_sub_f32_e32 v11, v11, v63
	v_sub_f32_e32 v10, v10, v63
	v_cndmask_b32_e32 v93, 0, v103, vcc
	v_cmp_nlt_f32_e32 vcc, s16, v104
	v_sub_f32_e32 v104, v94, v63
	v_mul_f32_e32 v94, 0x3fb8aa3b, v104
	v_ldexp_f32 v103, v106, v107
	v_fma_f32 v106, v104, s10, -v94
	v_rndne_f32_e32 v107, v94
	v_fmac_f32_e32 v106, 0x32a5705f, v104
	v_sub_f32_e32 v94, v94, v107
	v_add_f32_e32 v94, v94, v106
	v_exp_f32_e32 v106, v94
	v_cvt_i32_f32_e32 v107, v107
	v_cndmask_b32_e32 v93, v90, v93, vcc
	v_cmp_ngt_f32_e32 vcc, s11, v105
	v_sub_f32_e32 v8, v8, v63
	s_add_i32 s84, s84, 1
	v_cndmask_b32_e32 v94, 0, v103, vcc
	v_cmp_nlt_f32_e32 vcc, s16, v105
	v_sub_f32_e32 v105, v95, v63
	v_mul_f32_e32 v95, 0x3fb8aa3b, v105
	v_ldexp_f32 v103, v106, v107
	v_fma_f32 v106, v105, s10, -v95
	v_rndne_f32_e32 v107, v95
	v_fmac_f32_e32 v106, 0x32a5705f, v105
	v_sub_f32_e32 v95, v95, v107
	v_add_f32_e32 v95, v95, v106
	v_exp_f32_e32 v106, v95
	v_cvt_i32_f32_e32 v107, v107
	v_cndmask_b32_e32 v94, v90, v94, vcc
	v_cmp_ngt_f32_e32 vcc, s11, v104
	s_add_i32 s8, s8, 64
	s_nop 0
	v_cndmask_b32_e32 v95, 0, v103, vcc
	v_cmp_nlt_f32_e32 vcc, s16, v104
	v_sub_f32_e32 v104, v96, v63
	v_mul_f32_e32 v96, 0x3fb8aa3b, v104
	v_ldexp_f32 v103, v106, v107
	v_fma_f32 v106, v104, s10, -v96
	v_rndne_f32_e32 v107, v96
	v_fmac_f32_e32 v106, 0x32a5705f, v104
	v_sub_f32_e32 v96, v96, v107
	v_add_f32_e32 v96, v96, v106
	v_exp_f32_e32 v106, v96
	v_cvt_i32_f32_e32 v107, v107
	v_cndmask_b32_e32 v95, v90, v95, vcc
	v_cmp_ngt_f32_e32 vcc, s11, v105
	s_nop 1
	v_cndmask_b32_e32 v96, 0, v103, vcc
	v_cmp_nlt_f32_e32 vcc, s16, v105
	v_sub_f32_e32 v105, v97, v63
	v_mul_f32_e32 v97, 0x3fb8aa3b, v105
	v_ldexp_f32 v103, v106, v107
	v_fma_f32 v106, v105, s10, -v97
	v_rndne_f32_e32 v107, v97
	v_fmac_f32_e32 v106, 0x32a5705f, v105
	v_sub_f32_e32 v97, v97, v107
	v_add_f32_e32 v97, v97, v106
	v_exp_f32_e32 v106, v97
	v_cvt_i32_f32_e32 v107, v107
	v_cndmask_b32_e32 v96, v90, v96, vcc
	v_cmp_ngt_f32_e32 vcc, s11, v104
	;; [unrolled: 15-line block ×4, first 2 shown]
	s_nop 1
	v_cndmask_b32_e32 v99, 0, v103, vcc
	v_cmp_nlt_f32_e32 vcc, s16, v104
	v_ldexp_f32 v103, v106, v107
	v_fma_f32 v104, v116, s10, -v100
	v_rndne_f32_e32 v106, v100
	v_fmac_f32_e32 v104, 0x32a5705f, v116
	v_sub_f32_e32 v100, v100, v106
	v_add_f32_e32 v100, v100, v104
	v_exp_f32_e32 v104, v100
	v_cvt_i32_f32_e32 v106, v106
	v_cndmask_b32_e32 v99, v90, v99, vcc
	v_cmp_ngt_f32_e32 vcc, s11, v105
	s_nop 1
	v_cndmask_b32_e32 v100, 0, v103, vcc
	v_cmp_nlt_f32_e32 vcc, s16, v105
	v_ldexp_f32 v103, v104, v106
	v_fma_f32 v104, v117, s10, -v101
	v_rndne_f32_e32 v105, v101
	v_fmac_f32_e32 v104, 0x32a5705f, v117
	v_sub_f32_e32 v101, v101, v105
	v_add_f32_e32 v101, v101, v104
	v_cvt_i32_f32_e32 v119, v105
	v_lshl_add_u64 v[104:105], v[12:13], 2, s[12:13]
	v_lshl_add_u64 v[104:105], v[104:105], 0, v[28:29]
	;; [unrolled: 1-line block ×4, first 2 shown]
	global_load_dwordx4 v[108:111], v[104:105], off
	global_load_dwordx4 v[112:115], v[106:107], off
	v_sub_f32_e32 v104, v102, v63
	v_mul_f32_e32 v102, 0x3fb8aa3b, v104
	v_fma_f32 v105, v104, s10, -v102
	v_rndne_f32_e32 v106, v102
	v_fmac_f32_e32 v105, 0x32a5705f, v104
	v_sub_f32_e32 v102, v102, v106
	v_exp_f32_e32 v118, v101
	v_add_f32_e32 v102, v102, v105
	v_exp_f32_e32 v105, v102
	v_cvt_i32_f32_e32 v106, v106
	v_cndmask_b32_e32 v100, v90, v100, vcc
	v_cmp_ngt_f32_e32 vcc, s11, v116
	s_waitcnt vmcnt(1)
	ds_write_b128 v76, v[108:111]
	s_waitcnt vmcnt(0)
	ds_write_b128 v77, v[112:115]
	v_cndmask_b32_e32 v103, 0, v103, vcc
	v_cmp_nlt_f32_e32 vcc, s16, v116
	s_waitcnt lgkmcnt(0)
	s_barrier
	v_cndmask_b32_e32 v101, v90, v103, vcc
	v_ldexp_f32 v103, v118, v119
	v_cmp_ngt_f32_e32 vcc, s11, v117
	v_sub_f32_e32 v118, v9, v63
	v_mul_f32_e32 v9, 0x3fb8aa3b, v118
	v_cndmask_b32_e32 v102, 0, v103, vcc
	v_ldexp_f32 v103, v105, v106
	v_mul_f32_e32 v105, 0x3fb8aa3b, v11
	v_fma_f32 v106, v11, s10, -v105
	v_rndne_f32_e32 v107, v105
	v_fmac_f32_e32 v106, 0x32a5705f, v11
	v_sub_f32_e32 v105, v105, v107
	v_add_f32_e32 v105, v105, v106
	v_exp_f32_e32 v105, v105
	v_cvt_i32_f32_e32 v106, v107
	v_cmp_nlt_f32_e32 vcc, s16, v117
	v_cvt_pk_f16_f32 v119, v97, v98
	s_nop 0
	v_cndmask_b32_e32 v102, v90, v102, vcc
	v_cmp_ngt_f32_e32 vcc, s11, v104
	v_cvt_pk_f16_f32 v121, v101, v102
	s_nop 0
	v_cndmask_b32_e32 v103, 0, v103, vcc
	v_cmp_nlt_f32_e32 vcc, s16, v104
	v_ldexp_f32 v104, v105, v106
	v_mul_f32_e32 v105, 0x3fb8aa3b, v10
	v_fma_f32 v106, v10, s10, -v105
	v_rndne_f32_e32 v107, v105
	v_fmac_f32_e32 v106, 0x32a5705f, v10
	v_sub_f32_e32 v105, v105, v107
	v_add_f32_e32 v105, v105, v106
	v_cvt_i32_f32_e32 v106, v107
	v_mul_f32_e32 v107, 0x3fb8aa3b, v8
	v_fma_f32 v116, v8, s10, -v107
	v_rndne_f32_e32 v117, v107
	v_exp_f32_e32 v105, v105
	v_fmac_f32_e32 v116, 0x32a5705f, v8
	v_sub_f32_e32 v107, v107, v117
	v_add_f32_e32 v107, v107, v116
	v_exp_f32_e32 v107, v107
	v_cvt_i32_f32_e32 v116, v117
	v_cndmask_b32_e32 v103, v90, v103, vcc
	v_cmp_ngt_f32_e32 vcc, s11, v11
	s_nop 1
	v_cndmask_b32_e32 v104, 0, v104, vcc
	v_cmp_nlt_f32_e32 vcc, s16, v11
	v_ldexp_f32 v11, v105, v106
	v_fma_f32 v105, v118, s10, -v9
	v_rndne_f32_e32 v106, v9
	v_cndmask_b32_e32 v104, v90, v104, vcc
	v_cmp_ngt_f32_e32 vcc, s11, v10
	v_fmac_f32_e32 v105, 0x32a5705f, v118
	v_sub_f32_e32 v9, v9, v106
	v_cndmask_b32_e32 v11, 0, v11, vcc
	v_add_f32_e32 v9, v9, v105
	v_ldexp_f32 v105, v107, v116
	v_cmp_ngt_f32_e32 vcc, s11, v8
	v_exp_f32_e32 v9, v9
	v_cvt_i32_f32_e32 v117, v106
	v_cndmask_b32_e32 v105, 0, v105, vcc
	v_cmp_nlt_f32_e32 vcc, s16, v8
	v_ldexp_f32 v116, v9, v117
	s_nop 0
	v_cndmask_b32_e32 v105, v90, v105, vcc
	v_cmp_le_f32_e32 vcc, s17, v8
	v_cvt_pk_f16_f32 v117, v93, v94
	s_nop 0
	v_cndmask_b32_e32 v105, 0, v105, vcc
	v_cvt_f16_f32_e32 v8, v105
	v_cmp_nlt_f32_e32 vcc, s16, v10
	v_mul_u32_u24_e32 v107, 0x10001, v8
	s_nop 0
	v_cndmask_b32_e32 v106, v90, v11, vcc
	v_pk_mul_f16 v9, v74, v107
	v_pk_mul_f16 v11, v73, v107
	ds_read_u16 v73, v85
	ds_read_u16 v74, v85 offset:32
	ds_read_u16 v110, v85 offset:2816
	ds_read_u16 v112, v85 offset:2848
	ds_read_u16 v113, v85 offset:64
	ds_read_u16 v114, v85 offset:2880
	ds_read_u16 v124, v85 offset:96
	ds_read_u16 v125, v85 offset:128
	ds_read_u16 v108, v86
	ds_read_u16 v111, v86 offset:32
	ds_read_u16 v115, v86 offset:64
	;; [unrolled: 1-line block ×4, first 2 shown]
	s_waitcnt lgkmcnt(4)
	v_perm_b32 v109, v108, v73, s18
	ds_read_u16 v73, v84 offset:176
	ds_read_u16 v108, v84
	ds_read_u16 v128, v84 offset:32
	ds_read_u16 v129, v84 offset:208
	;; [unrolled: 1-line block ×6, first 2 shown]
	s_waitcnt lgkmcnt(6)
	v_perm_b32 v108, v73, v108, s18
	v_cvt_f32_f16_e32 v8, v9
	v_cvt_f32_f16_sdwa v9, v9 dst_sel:DWORD dst_unused:UNUSED_PAD src0_sel:WORD_1
	v_cvt_f32_f16_e32 v10, v11
	v_cvt_f32_f16_sdwa v11, v11 dst_sel:DWORD dst_unused:UNUSED_PAD src0_sel:WORD_1
	v_cmp_ngt_f32_e32 vcc, s11, v118
	v_pk_mul_f16 v57, v57, v107
	v_pk_mul_f16 v170, v56, v107
	v_cndmask_b32_e32 v73, 0, v116, vcc
	v_cvt_pk_f16_f32 v116, v72, v92
	v_cmp_nlt_f32_e32 vcc, s16, v118
	v_cvt_pk_f16_f32 v118, v95, v96
	v_mfma_f32_16x16x16_f16 v[8:11], v[108:109], v[116:117], v[8:11]
	ds_read_u16 v108, v86 offset:2816
	ds_read_u16 v120, v86 offset:5632
	;; [unrolled: 1-line block ×8, first 2 shown]
	s_waitcnt lgkmcnt(7)
	v_perm_b32 v109, v108, v110, s18
	ds_read_u16 v108, v84 offset:2816
	ds_read_u16 v110, v84 offset:2992
	ds_read_u16 v140, v84 offset:2848
	ds_read_u16 v141, v84 offset:2880
	ds_read_u16 v142, v84 offset:2912
	ds_read_u16 v143, v84 offset:2944
	ds_read_u16 v144, v84 offset:304
	v_cvt_f16_f32_e32 v8, v8
	v_cvt_f16_f32_e32 v9, v9
	;; [unrolled: 1-line block ×4, first 2 shown]
	s_waitcnt lgkmcnt(5)
	v_perm_b32 v108, v110, v108, s18
	v_cvt_f32_f16_e32 v8, v8
	v_cvt_f32_f16_e32 v9, v9
	;; [unrolled: 1-line block ×4, first 2 shown]
	v_cndmask_b32_e32 v73, v90, v73, vcc
	v_cvt_pk_f16_f32 v123, v106, v73
	v_mfma_f32_16x16x16_f16 v[8:11], v[108:109], v[118:119], v[8:11]
	ds_read_u16 v108, v85 offset:5632
	ds_read_u16 v110, v85 offset:8448
	ds_read_u16 v145, v85 offset:5664
	ds_read_u16 v146, v85 offset:5696
	ds_read_u16 v147, v85 offset:5728
	ds_read_u16 v148, v85 offset:5760
	ds_read_u16 v149, v85 offset:2944
	s_waitcnt lgkmcnt(6)
	v_perm_b32 v109, v120, v108, s18
	ds_read_u16 v108, v84 offset:5632
	ds_read_u16 v150, v84 offset:5664
	;; [unrolled: 1-line block ×13, first 2 shown]
	v_cvt_f16_f32_e32 v8, v8
	v_cvt_f16_f32_e32 v9, v9
	;; [unrolled: 1-line block ×4, first 2 shown]
	s_waitcnt lgkmcnt(7)
	v_perm_b32 v108, v120, v108, s18
	v_cvt_f32_f16_e32 v8, v8
	v_cvt_f32_f16_e32 v9, v9
	v_cvt_f32_f16_e32 v10, v10
	v_cvt_f32_f16_e32 v11, v11
	v_cvt_pk_f16_f32 v120, v99, v100
	v_perm_b32 v56, v129, v128, s18
	v_pk_mul_f16 v55, v55, v107
	v_mfma_f32_16x16x16_f16 v[8:11], v[108:109], v[120:121], v[8:11]
	ds_read_u16 v108, v86 offset:8448
	ds_read_u16 v160, v86 offset:8480
	ds_read_u16 v161, v86 offset:8512
	ds_read_u16 v162, v86 offset:8544
	ds_read_u16 v163, v86 offset:8576
	ds_read_u16 v164, v86 offset:5760
	s_waitcnt lgkmcnt(5)
	v_perm_b32 v109, v108, v110, s18
	ds_read_u16 v108, v84 offset:8624
	ds_read_u16 v165, v84 offset:8656
	;; [unrolled: 1-line block ×6, first 2 shown]
	v_cvt_f16_f32_e32 v8, v8
	v_cvt_f16_f32_e32 v9, v9
	v_cvt_f16_f32_e32 v10, v10
	v_cvt_f16_f32_e32 v11, v11
	s_waitcnt lgkmcnt(5)
	v_perm_b32 v108, v108, v122, s18
	v_cvt_f32_f16_e32 v8, v8
	v_cvt_f32_f16_e32 v9, v9
	;; [unrolled: 1-line block ×4, first 2 shown]
	v_cvt_pk_f16_f32 v122, v103, v104
	v_cvt_f32_f16_e32 v110, v170
	v_perm_b32 v113, v115, v113, s18
	v_mfma_f32_16x16x16_f16 v[8:11], v[108:109], v[122:123], v[8:11]
	v_cvt_f32_f16_e32 v108, v57
	v_cvt_f32_f16_sdwa v109, v57 dst_sel:DWORD dst_unused:UNUSED_PAD src0_sel:WORD_1
	v_perm_b32 v57, v111, v74, s18
	v_cvt_f32_f16_sdwa v111, v170 dst_sel:DWORD dst_unused:UNUSED_PAD src0_sel:WORD_1
	ds_read_u16 v74, v84 offset:3024
	ds_read_u16 v128, v84 offset:3056
	ds_read_u16 v129, v84 offset:3088
	v_mfma_f32_16x16x16_f16 v[108:111], v[56:57], v[116:117], v[108:111]
	v_pk_mul_f16 v53, v53, v107
	v_add_f32_e32 v72, v72, v92
	v_add_f32_e32 v72, v93, v72
	s_nop 4
	v_cvt_f16_f32_e32 v56, v108
	v_cvt_f16_f32_e32 v57, v109
	;; [unrolled: 1-line block ×4, first 2 shown]
	v_cvt_f32_f16_e32 v108, v56
	v_cvt_f32_f16_e32 v109, v57
	v_perm_b32 v57, v134, v112, s18
	s_waitcnt lgkmcnt(2)
	v_perm_b32 v56, v74, v140, s18
	v_cvt_f32_f16_e32 v110, v110
	v_cvt_f32_f16_e32 v111, v111
	v_perm_b32 v112, v131, v130, s18
	v_pk_mul_f16 v131, v52, v107
	v_mfma_f32_16x16x16_f16 v[108:111], v[56:57], v[118:119], v[108:111]
	v_cvt_f32_f16_e32 v52, v53
	v_cvt_f32_f16_sdwa v53, v53 dst_sel:DWORD dst_unused:UNUSED_PAD src0_sel:WORD_1
	v_add_f32_e32 v72, v94, v72
	v_add_f32_e32 v72, v95, v72
	s_nop 3
	v_cvt_f16_f32_e32 v56, v108
	v_cvt_f16_f32_e32 v57, v109
	;; [unrolled: 1-line block ×4, first 2 shown]
	v_cvt_f32_f16_e32 v108, v56
	v_cvt_f32_f16_e32 v109, v57
	v_perm_b32 v57, v135, v145, s18
	v_perm_b32 v56, v154, v150, s18
	v_cvt_f32_f16_e32 v110, v74
	v_cvt_f32_f16_e32 v111, v111
	ds_read_u16 v74, v85 offset:8480
	ds_read_u16 v134, v85 offset:8512
	;; [unrolled: 1-line block ×3, first 2 shown]
	v_mfma_f32_16x16x16_f16 v[108:111], v[56:57], v[120:121], v[108:111]
	v_pk_mul_f16 v51, v51, v107
	v_cmp_lt_i32_e32 vcc, s84, v71
	s_and_b64 vcc, exec, vcc
	s_nop 4
	v_cvt_f16_f32_e32 v56, v108
	v_cvt_f16_f32_e32 v57, v109
	;; [unrolled: 1-line block ×4, first 2 shown]
	v_cvt_f32_f16_e32 v108, v56
	v_cvt_f32_f16_e32 v109, v57
	s_waitcnt lgkmcnt(2)
	v_perm_b32 v57, v160, v74, s18
	v_perm_b32 v56, v165, v155, s18
	v_cvt_f32_f16_e32 v110, v110
	v_cvt_f32_f16_e32 v111, v111
	v_pk_mul_f16 v74, v54, v107
	v_cvt_f32_f16_e32 v54, v55
	v_mfma_f32_16x16x16_f16 v[108:111], v[56:57], v[122:123], v[108:111]
	v_cvt_f32_f16_sdwa v55, v55 dst_sel:DWORD dst_unused:UNUSED_PAD src0_sel:WORD_1
	v_cvt_f32_f16_e32 v56, v74
	v_cvt_f32_f16_sdwa v57, v74 dst_sel:DWORD dst_unused:UNUSED_PAD src0_sel:WORD_1
	s_nop 1
	v_mfma_f32_16x16x16_f16 v[54:57], v[112:113], v[116:117], v[54:57]
	v_perm_b32 v113, v136, v114, s18
	v_perm_b32 v112, v128, v141, s18
	ds_read_u16 v74, v86 offset:5696
	ds_read_u16 v128, v86 offset:5728
	s_nop 3
	v_cvt_f16_f32_e32 v54, v54
	v_cvt_f16_f32_e32 v55, v55
	;; [unrolled: 1-line block ×4, first 2 shown]
	v_cvt_f32_f16_e32 v54, v54
	v_cvt_f32_f16_e32 v55, v55
	;; [unrolled: 1-line block ×4, first 2 shown]
	s_nop 1
	v_mfma_f32_16x16x16_f16 v[54:57], v[112:113], v[118:119], v[54:57]
	s_waitcnt lgkmcnt(1)
	v_perm_b32 v113, v74, v146, s18
	v_perm_b32 v112, v156, v151, s18
	ds_read_u16 v74, v84 offset:8512
	ds_read_u16 v130, v84 offset:8544
	s_nop 2
	v_cvt_f16_f32_e32 v54, v54
	v_cvt_f16_f32_e32 v55, v55
	;; [unrolled: 1-line block ×4, first 2 shown]
	v_cvt_f32_f16_e32 v54, v54
	v_cvt_f32_f16_e32 v55, v55
	;; [unrolled: 1-line block ×4, first 2 shown]
	s_nop 1
	v_mfma_f32_16x16x16_f16 v[54:57], v[112:113], v[120:121], v[54:57]
	v_perm_b32 v113, v161, v134, s18
	s_waitcnt lgkmcnt(1)
	v_perm_b32 v112, v166, v74, s18
	ds_read_u16 v74, v84 offset:272
	s_nop 3
	v_cvt_f16_f32_e32 v54, v54
	v_cvt_f16_f32_e32 v55, v55
	;; [unrolled: 1-line block ×4, first 2 shown]
	v_cvt_f32_f16_e32 v54, v54
	v_cvt_f32_f16_e32 v55, v55
	v_cvt_f32_f16_e32 v56, v56
	v_cvt_f32_f16_e32 v57, v57
	s_nop 1
	v_mfma_f32_16x16x16_f16 v[112:115], v[112:113], v[122:123], v[54:57]
	s_nop 2
	v_perm_b32 v57, v126, v124, s18
	s_waitcnt lgkmcnt(0)
	v_perm_b32 v56, v74, v132, s18
	v_cvt_f32_f16_e32 v54, v131
	v_cvt_f32_f16_sdwa v55, v131 dst_sel:DWORD dst_unused:UNUSED_PAD src0_sel:WORD_1
	ds_read_u16 v74, v85 offset:2912
	s_waitcnt lgkmcnt(0)
	v_mfma_f32_16x16x16_f16 v[52:55], v[56:57], v[116:117], v[52:55]
	v_perm_b32 v56, v129, v142, s18
	v_perm_b32 v57, v137, v74, s18
	v_pk_mul_f16 v74, v50, v107
	v_cvt_f32_f16_e32 v50, v51
	s_nop 3
	v_cvt_f16_f32_e32 v52, v52
	v_cvt_f16_f32_e32 v53, v53
	;; [unrolled: 1-line block ×4, first 2 shown]
	v_cvt_f32_f16_e32 v52, v52
	v_cvt_f32_f16_e32 v53, v53
	;; [unrolled: 1-line block ×4, first 2 shown]
	v_cvt_f32_f16_sdwa v51, v51 dst_sel:DWORD dst_unused:UNUSED_PAD src0_sel:WORD_1
	s_barrier
	v_mfma_f32_16x16x16_f16 v[52:55], v[56:57], v[118:119], v[52:55]
	v_perm_b32 v57, v128, v147, s18
	v_perm_b32 v56, v157, v152, s18
	s_nop 5
	v_cvt_f16_f32_e32 v52, v52
	v_cvt_f16_f32_e32 v53, v53
	;; [unrolled: 1-line block ×4, first 2 shown]
	v_cvt_f32_f16_e32 v52, v52
	v_cvt_f32_f16_e32 v53, v53
	;; [unrolled: 1-line block ×4, first 2 shown]
	s_nop 1
	v_mfma_f32_16x16x16_f16 v[52:55], v[56:57], v[120:121], v[52:55]
	v_perm_b32 v57, v162, v135, s18
	v_perm_b32 v56, v167, v130, s18
	s_nop 5
	v_cvt_f16_f32_e32 v52, v52
	v_cvt_f16_f32_e32 v53, v53
	;; [unrolled: 1-line block ×4, first 2 shown]
	v_cvt_f32_f16_e32 v52, v52
	v_cvt_f32_f16_e32 v53, v53
	;; [unrolled: 1-line block ×4, first 2 shown]
	s_nop 1
	v_mfma_f32_16x16x16_f16 v[92:95], v[56:57], v[122:123], v[52:55]
	v_add_f32_e32 v56, v96, v72
	v_add_f32_e32 v56, v97, v56
	s_nop 0
	v_perm_b32 v55, v139, v125, s18
	v_perm_b32 v54, v144, v133, s18
	v_cvt_f32_f16_e32 v52, v74
	v_cvt_f32_f16_sdwa v53, v74 dst_sel:DWORD dst_unused:UNUSED_PAD src0_sel:WORD_1
	v_add_f32_e32 v56, v98, v56
	v_add_f32_e32 v56, v99, v56
	v_mfma_f32_16x16x16_f16 v[50:53], v[54:55], v[116:117], v[50:53]
	v_perm_b32 v55, v138, v149, s18
	v_perm_b32 v54, v153, v143, s18
	v_add_f32_e32 v56, v100, v56
	v_add_f32_e32 v56, v101, v56
	s_nop 3
	v_cvt_f16_f32_e32 v50, v50
	v_cvt_f16_f32_e32 v51, v51
	;; [unrolled: 1-line block ×4, first 2 shown]
	v_cvt_f32_f16_e32 v50, v50
	v_cvt_f32_f16_e32 v51, v51
	;; [unrolled: 1-line block ×4, first 2 shown]
	v_add_f32_e32 v56, v102, v56
	v_add_f32_e32 v56, v103, v56
	v_mfma_f32_16x16x16_f16 v[50:53], v[54:55], v[118:119], v[50:53]
	v_perm_b32 v55, v164, v148, s18
	v_perm_b32 v54, v158, v159, s18
	v_add_f32_e32 v56, v104, v56
	v_add_f32_e32 v56, v106, v56
	s_nop 3
	v_cvt_f16_f32_e32 v50, v50
	v_cvt_f16_f32_e32 v51, v51
	;; [unrolled: 1-line block ×4, first 2 shown]
	v_cvt_f32_f16_e32 v50, v50
	v_cvt_f32_f16_e32 v51, v51
	;; [unrolled: 1-line block ×4, first 2 shown]
	v_add_f32_e32 v72, v73, v56
	v_fmac_f32_e32 v72, v91, v105
	v_mfma_f32_16x16x16_f16 v[50:53], v[54:55], v[120:121], v[50:53]
	v_perm_b32 v55, v163, v127, s18
	v_perm_b32 v54, v168, v169, s18
	v_cvt_pk_f16_f32 v57, v108, v109
	v_cvt_pk_f16_f32 v56, v110, v111
	s_nop 3
	v_cvt_f16_f32_e32 v50, v50
	v_cvt_f16_f32_e32 v51, v51
	v_cvt_f16_f32_e32 v52, v52
	v_cvt_f16_f32_e32 v53, v53
	v_cvt_f32_f16_e32 v50, v50
	v_cvt_f32_f16_e32 v51, v51
	;; [unrolled: 1-line block ×4, first 2 shown]
	v_cvt_pk_f16_f32 v74, v8, v9
	v_cvt_pk_f16_f32 v73, v10, v11
	v_mfma_f32_16x16x16_f16 v[96:99], v[54:55], v[122:123], v[50:53]
	v_cvt_pk_f16_f32 v55, v112, v113
	v_cvt_pk_f16_f32 v54, v114, v115
	s_nop 0
	v_cvt_pk_f16_f32 v53, v92, v93
	v_cvt_pk_f16_f32 v52, v94, v95
	s_nop 2
	v_cvt_pk_f16_f32 v51, v96, v97
	v_cvt_pk_f16_f32 v50, v98, v99
	s_cbranch_vccz .LBB9_284
; %bb.282:                              ;   in Loop: Header=BB9_277 Depth=1
	v_mov_b32_e32 v91, v72
	v_mov_b32_e32 v8, v63
	s_branch .LBB9_277
.LBB9_283:
	v_mov_b32_e32 v63, 0xfeffffff
	v_mov_b32_e32 v72, 0
	;; [unrolled: 1-line block ×12, first 2 shown]
	s_branch .LBB9_285
.LBB9_284:
	v_mov_b64_e32 v[8:9], s[34:35]
.LBB9_285:
	s_lshl_b32 s8, s84, 6
	s_ashr_i32 s9, s8, 31
	s_lshl_b64 s[0:1], s[8:9], 1
	s_add_u32 s0, s6, s0
	s_addc_u32 s1, s7, s1
	v_lshl_add_u64 v[10:11], v[24:25], 1, s[0:1]
	v_lshl_add_u64 v[10:11], v[22:23], 1, v[10:11]
	global_load_dword v23, v[10:11], off
	v_lshlrev_b32_e32 v10, 1, v22
	v_add3_u32 v22, 0, v70, v10
	v_mul_hi_u32 v11, v8, s8
	v_mul_lo_u32 v10, v8, s8
	v_mul_lo_u32 v8, v8, s9
	;; [unrolled: 1-line block ×3, first 2 shown]
	v_add_u32_e32 v8, v11, v8
	v_add_u32_e32 v11, v8, v9
	v_cmp_gt_u32_e32 vcc, 64, v62
	v_lshlrev_b64 v[8:9], 2, v[10:11]
	v_cmp_lt_u32_e64 s[0:1], 63, v62
                                        ; implicit-def: $vgpr24
                                        ; implicit-def: $vgpr10
	s_waitcnt vmcnt(0)
	ds_write_b32 v22, v23 offset:11264
	s_and_saveexec_b64 s[6:7], s[0:1]
	s_xor_b64 s[0:1], exec, s[6:7]
; %bb.286:
	v_mul_i32_i24_e32 v24, 0xb0, v62
	v_and_or_b32 v10, v69, 4, 32
	v_mov_b32_e32 v11, 0
                                        ; implicit-def: $vgpr69
; %bb.287:
	s_or_saveexec_b64 s[0:1], s[0:1]
	v_lshl_add_u64 v[22:23], s[4:5], 0, v[8:9]
	s_xor_b64 exec, exec, s[0:1]
	s_cbranch_execz .LBB9_289
; %bb.288:
	v_mul_lo_u32 v8, v62, s34
	v_ashrrev_i32_e32 v9, 31, v8
	v_and_b32_e32 v10, 4, v69
	v_mov_b32_e32 v11, 0
	v_lshl_add_u64 v[8:9], v[8:9], 2, v[22:23]
	v_lshlrev_b32_e32 v34, 2, v10
	v_mov_b32_e32 v35, v11
	v_lshl_add_u64 v[8:9], v[8:9], 0, v[34:35]
	global_load_dwordx4 v[28:31], v[8:9], off offset:128
	v_mul_i32_i24_e32 v24, 0xb0, v62
	v_or_b32_e32 v10, 32, v10
	v_add3_u32 v8, 0, v24, v34
	s_waitcnt vmcnt(0)
	ds_write_b128 v8, v[28:31] offset:128
.LBB9_289:
	s_or_b64 exec, exec, s[0:1]
	v_lshl_add_u64 v[18:19], v[18:19], 2, v[22:23]
	v_lshlrev_b64 v[8:9], 2, v[16:17]
	v_lshl_add_u64 v[34:35], v[18:19], 0, v[8:9]
	v_lshl_add_u64 v[18:19], v[20:21], 2, v[22:23]
	;; [unrolled: 1-line block ×3, first 2 shown]
	global_load_dwordx4 v[18:21], v[34:35], off
	global_load_dwordx4 v[28:31], v[22:23], off
	v_lshlrev_b32_e32 v16, 2, v16
	v_add3_u32 v25, 0, v65, v49
	v_add3_u32 v36, 0, v67, v16
	v_add_u32_e32 v32, 0x800, v25
	v_add_u32_e32 v34, 0x1000, v25
	v_add3_u32 v37, 0, v68, v16
	v_add_u32_e32 v35, 0x2000, v25
	s_movk_i32 s0, 0x90
	s_waitcnt vmcnt(1)
	ds_write_b128 v36, v[18:21]
	s_waitcnt vmcnt(0)
	ds_write_b128 v37, v[28:31]
	s_waitcnt lgkmcnt(0)
	s_barrier
	ds_read2_b64 v[16:19], v25 offset1:4
	ds_read2_b64 v[28:31], v32 offset0:96 offset1:100
	ds_read2_b64 v[76:79], v34 offset0:192 offset1:196
	;; [unrolled: 1-line block ×3, first 2 shown]
	s_waitcnt lgkmcnt(3)
	v_mfma_f32_16x16x16_f16 v[20:23], v[16:17], v[4:5], 0
	s_waitcnt lgkmcnt(2)
	v_mfma_f32_16x16x16_f16 v[68:71], v[28:29], v[4:5], 0
	;; [unrolled: 2-line block ×4, first 2 shown]
	v_mfma_f32_16x16x16_f16 v[16:19], v[18:19], v[6:7], v[20:23]
	v_mfma_f32_16x16x16_f16 v[20:23], v[30:31], v[6:7], v[68:71]
	;; [unrolled: 1-line block ×3, first 2 shown]
	s_nop 1
	ds_read2_b64 v[68:71], v25 offset0:8 offset1:12
	ds_read2_b64 v[76:79], v32 offset0:104 offset1:108
	v_and_or_b32 v32, v47, 8, v41
	ds_read2_b64 v[80:83], v34 offset0:200 offset1:204
	v_mfma_f32_16x16x16_f16 v[4:7], v[86:87], v[6:7], v[88:91]
	ds_read2_b64 v[84:87], v35 offset0:40 offset1:44
	v_lshrrev_b32_e32 v32, 3, v32
	v_and_b32_e32 v34, 0x1f8, v64
	s_waitcnt lgkmcnt(3)
	v_mfma_f32_16x16x16_f16 v[16:19], v[68:69], v[0:1], v[16:19]
	v_mad_u32_u24 v32, v32, s0, 0
	v_add_u32_e32 v68, v32, v34
	v_add_u32_e32 v69, 0x2c20, v68
	s_waitcnt lgkmcnt(2)
	v_mfma_f32_16x16x16_f16 v[20:23], v[76:77], v[0:1], v[20:23]
	v_add_u32_e32 v76, 0x2c60, v68
	v_add_u32_e32 v32, v32, v66
	;; [unrolled: 1-line block ×3, first 2 shown]
	s_waitcnt lgkmcnt(1)
	v_mfma_f32_16x16x16_f16 v[28:31], v[80:81], v[0:1], v[28:31]
	ds_read_b64 v[34:35], v25 offset:128
	ds_read_b64 v[38:39], v25 offset:2944
	;; [unrolled: 1-line block ×4, first 2 shown]
	s_waitcnt lgkmcnt(0)
	s_barrier
	v_mfma_f32_16x16x16_f16 v[4:7], v[84:85], v[0:1], v[4:7]
	v_mfma_f32_16x16x16_f16 v[16:19], v[70:71], v[2:3], v[16:19]
	ds_read_b32 v0, v68 offset:11264
	ds_read_b32 v1, v32 offset:11264
	ds_read2_b32 v[68:69], v69 offset1:1
	ds_read2_b32 v[70:71], v75 offset1:1
	;; [unrolled: 1-line block ×3, first 2 shown]
	s_waitcnt lgkmcnt(4)
	v_cvt_f32_f16_e32 v25, v0
	v_cvt_f32_f16_sdwa v32, v0 dst_sel:DWORD dst_unused:UNUSED_PAD src0_sel:WORD_1
	v_mfma_f32_16x16x16_f16 v[20:23], v[78:79], v[2:3], v[20:23]
	s_waitcnt lgkmcnt(3)
	v_cvt_f32_f16_e32 v75, v1
	v_cvt_f32_f16_sdwa v78, v1 dst_sel:DWORD dst_unused:UNUSED_PAD src0_sel:WORD_1
	s_waitcnt lgkmcnt(2)
	v_cvt_f32_f16_e32 v80, v69
	v_mfma_f32_16x16x16_f16 v[28:31], v[82:83], v[2:3], v[28:31]
	v_cvt_f32_f16_e32 v79, v68
	v_cvt_f32_f16_sdwa v68, v68 dst_sel:DWORD dst_unused:UNUSED_PAD src0_sel:WORD_1
	v_mfma_f32_16x16x16_f16 v[0:3], v[86:87], v[2:3], v[4:7]
	v_mfma_f32_16x16x16_f16 v[4:7], v[34:35], v[14:15], v[16:19]
	s_waitcnt lgkmcnt(1)
	v_cvt_f32_f16_e32 v34, v70
	v_cvt_f32_f16_sdwa v35, v70 dst_sel:DWORD dst_unused:UNUSED_PAD src0_sel:WORD_1
	s_waitcnt lgkmcnt(0)
	v_cvt_f32_f16_sdwa v70, v76 dst_sel:DWORD dst_unused:UNUSED_PAD src0_sel:WORD_1
	v_cvt_f32_f16_sdwa v16, v69 dst_sel:DWORD dst_unused:UNUSED_PAD src0_sel:WORD_1
	v_mfma_f32_16x16x16_f16 v[18:21], v[38:39], v[14:15], v[20:23]
	v_cvt_f32_f16_e32 v38, v71
	v_cvt_f32_f16_sdwa v39, v71 dst_sel:DWORD dst_unused:UNUSED_PAD src0_sel:WORD_1
	v_add_f32_e32 v17, v7, v78
	v_mfma_f32_16x16x16_f16 v[28:31], v[64:65], v[14:15], v[28:31]
	v_cvt_f32_f16_e32 v69, v76
	s_nop 2
	v_add_f32_e32 v22, v20, v80
	v_add_f32_e32 v23, v21, v16
	v_mfma_f32_16x16x16_f16 v[64:67], v[66:67], v[14:15], v[0:3]
	v_add_f32_e32 v14, v4, v25
	v_add_f32_e32 v4, v5, v32
	;; [unrolled: 1-line block ×10, first 2 shown]
	v_max3_f32 v16, v63, v16, v20
	v_cvt_f32_f16_e32 v71, v77
	v_cvt_f32_f16_sdwa v76, v77 dst_sel:DWORD dst_unused:UNUSED_PAD src0_sel:WORD_1
	v_add_f32_e32 v7, v29, v35
	v_add_f32_e32 v6, v30, v38
	;; [unrolled: 1-line block ×4, first 2 shown]
	v_max3_f32 v16, v16, v21, v28
	v_add_f32_e32 v5, v31, v39
	v_add_f32_e32 v31, 0x40051340, v22
	;; [unrolled: 1-line block ×3, first 2 shown]
	v_max3_f32 v16, v16, v29, v30
	v_add_f32_e32 v34, 0x40051340, v25
	v_add_f32_e32 v35, 0x40051340, v7
	v_max3_f32 v16, v16, v31, v32
	v_add_f32_e32 v3, v64, v69
	v_add_f32_e32 v2, v65, v70
	;; [unrolled: 1-line block ×4, first 2 shown]
	v_max3_f32 v16, v16, v34, v35
	v_add_f32_e32 v1, v66, v71
	v_add_f32_e32 v0, v67, v76
	v_max3_f32 v16, v16, v38, v39
	v_add_f32_e32 v20, 0x40051340, v3
	v_add_f32_e32 v21, 0x40051340, v2
	;; [unrolled: 3-line block ×3, first 2 shown]
	v_max3_f32 v20, v16, v20, v21
	v_mbcnt_hi_u32_b32 v21, -1, v61
	v_and_b32_e32 v16, 64, v21
	v_add_u32_e32 v28, 64, v16
	v_xor_b32_e32 v16, 32, v21
	v_cmp_lt_i32_e64 s[0:1], v16, v28
	s_nop 1
	v_cndmask_b32_e64 v16, v21, v16, s[0:1]
	v_lshlrev_b32_e32 v16, 2, v16
	ds_bpermute_b32 v29, v16, v20
	s_waitcnt lgkmcnt(0)
	v_max_f32_e32 v29, v29, v29
	v_max_f32_e32 v20, v20, v29
	v_xor_b32_e32 v29, 16, v21
	v_cmp_lt_i32_e64 s[0:1], v29, v28
	s_nop 1
	v_cndmask_b32_e64 v21, v21, v29, s[0:1]
	v_lshlrev_b32_e32 v21, 2, v21
	ds_bpermute_b32 v28, v21, v20
	s_mul_hi_i32 s1, s8, s30
	s_mul_i32 s0, s8, s30
	s_lshl_b64 s[0:1], s[0:1], 2
	s_add_u32 s0, s2, s0
	s_addc_u32 s1, s3, s1
	s_and_saveexec_b64 s[4:5], vcc
	s_cbranch_execz .LBB9_291
; %bb.290:
	v_mul_lo_u32 v30, v62, s30
	v_ashrrev_i32_e32 v31, 31, v30
	v_lshl_add_u64 v[30:31], v[30:31], 2, s[0:1]
	v_lshl_add_u64 v[30:31], v[10:11], 2, v[30:31]
	global_load_dwordx4 v[64:67], v[30:31], off
	v_lshlrev_b32_e32 v10, 2, v10
	v_add3_u32 v10, 0, v24, v10
	s_waitcnt vmcnt(0)
	ds_write_b128 v10, v[64:67]
.LBB9_291:
	s_or_b64 exec, exec, s[4:5]
	s_waitcnt lgkmcnt(0)
	v_max_f32_e32 v10, v28, v28
	v_max_f32_e32 v11, v20, v20
	;; [unrolled: 1-line block ×3, first 2 shown]
	v_sub_f32_e32 v10, v14, v20
	s_mov_b32 s4, 0x3fb8aa3b
	v_mul_f32_e32 v11, 0x3fb8aa3b, v10
	v_fma_f32 v14, v10, s4, -v11
	v_rndne_f32_e32 v24, v11
	v_fmac_f32_e32 v14, 0x32a5705f, v10
	v_sub_f32_e32 v11, v11, v24
	v_add_f32_e32 v11, v11, v14
	v_exp_f32_e32 v11, v11
	v_cvt_i32_f32_e32 v14, v24
	v_sub_f32_e32 v24, v4, v20
	v_mul_f32_e32 v4, 0x3fb8aa3b, v24
	v_rndne_f32_e32 v28, v4
	v_ldexp_f32 v11, v11, v14
	v_fma_f32 v14, v24, s4, -v4
	v_fmac_f32_e32 v14, 0x32a5705f, v24
	v_sub_f32_e32 v4, v4, v28
	s_mov_b32 s3, 0xc2ce8ed0
	v_add_f32_e32 v4, v4, v14
	v_cmp_ngt_f32_e32 vcc, s3, v10
	s_mov_b32 s2, 0x42b17218
	v_exp_f32_e32 v29, v4
	v_cvt_i32_f32_e32 v28, v28
	v_cndmask_b32_e32 v11, 0, v11, vcc
	v_mov_b32_e32 v4, 0x7f800000
	v_cmp_nlt_f32_e32 vcc, s2, v10
	v_ldexp_f32 v10, v29, v28
	v_sub_f32_e32 v7, v7, v20
	v_cndmask_b32_e32 v14, v4, v11, vcc
	v_sub_f32_e32 v11, v15, v20
	v_mul_f32_e32 v15, 0x3fb8aa3b, v11
	v_fma_f32 v28, v11, s4, -v15
	v_rndne_f32_e32 v29, v15
	v_fmac_f32_e32 v28, 0x32a5705f, v11
	v_sub_f32_e32 v15, v15, v29
	v_add_f32_e32 v15, v15, v28
	v_exp_f32_e32 v28, v15
	v_cvt_i32_f32_e32 v29, v29
	v_cmp_ngt_f32_e32 vcc, s3, v24
	v_sub_f32_e32 v6, v6, v20
	v_sub_f32_e32 v5, v5, v20
	v_cndmask_b32_e32 v10, 0, v10, vcc
	v_cmp_nlt_f32_e32 vcc, s2, v24
	v_sub_f32_e32 v24, v17, v20
	v_mul_f32_e32 v17, 0x3fb8aa3b, v24
	v_cndmask_b32_e32 v15, v4, v10, vcc
	v_ldexp_f32 v10, v28, v29
	v_fma_f32 v28, v24, s4, -v17
	v_rndne_f32_e32 v29, v17
	v_fmac_f32_e32 v28, 0x32a5705f, v24
	v_sub_f32_e32 v17, v17, v29
	v_add_f32_e32 v17, v17, v28
	v_exp_f32_e32 v28, v17
	v_cvt_i32_f32_e32 v29, v29
	v_cmp_ngt_f32_e32 vcc, s3, v11
	v_sub_f32_e32 v3, v3, v20
	v_mul_f32_e32 v31, 0x3fb8aa3b, v3
	v_cndmask_b32_e32 v10, 0, v10, vcc
	v_cmp_nlt_f32_e32 vcc, s2, v11
	v_sub_f32_e32 v11, v18, v20
	v_mul_f32_e32 v18, 0x3fb8aa3b, v11
	v_cndmask_b32_e32 v17, v4, v10, vcc
	v_ldexp_f32 v10, v28, v29
	v_fma_f32 v28, v11, s4, -v18
	v_rndne_f32_e32 v29, v18
	v_fmac_f32_e32 v28, 0x32a5705f, v11
	v_sub_f32_e32 v18, v18, v29
	v_add_f32_e32 v18, v18, v28
	v_exp_f32_e32 v28, v18
	v_cvt_i32_f32_e32 v29, v29
	v_cmp_ngt_f32_e32 vcc, s3, v24
	v_fma_f32 v32, v3, s4, -v31
	v_rndne_f32_e32 v34, v31
	v_cndmask_b32_e32 v10, 0, v10, vcc
	v_cmp_nlt_f32_e32 vcc, s2, v24
	v_sub_f32_e32 v24, v19, v20
	v_mul_f32_e32 v19, 0x3fb8aa3b, v24
	v_cndmask_b32_e32 v18, v4, v10, vcc
	v_ldexp_f32 v10, v28, v29
	v_fma_f32 v28, v24, s4, -v19
	v_rndne_f32_e32 v29, v19
	v_fmac_f32_e32 v28, 0x32a5705f, v24
	v_sub_f32_e32 v19, v19, v29
	v_add_f32_e32 v19, v19, v28
	v_exp_f32_e32 v28, v19
	v_cvt_i32_f32_e32 v29, v29
	v_cmp_ngt_f32_e32 vcc, s3, v11
	v_fmac_f32_e32 v32, 0x32a5705f, v3
	v_sub_f32_e32 v2, v2, v20
	v_cndmask_b32_e32 v10, 0, v10, vcc
	v_cmp_nlt_f32_e32 vcc, s2, v11
	v_sub_f32_e32 v11, v22, v20
	v_mul_f32_e32 v22, 0x3fb8aa3b, v11
	v_cndmask_b32_e32 v19, v4, v10, vcc
	v_ldexp_f32 v10, v28, v29
	v_fma_f32 v28, v11, s4, -v22
	v_rndne_f32_e32 v29, v22
	v_fmac_f32_e32 v28, 0x32a5705f, v11
	v_sub_f32_e32 v22, v22, v29
	v_add_f32_e32 v22, v22, v28
	v_exp_f32_e32 v28, v22
	v_cvt_i32_f32_e32 v29, v29
	v_cmp_ngt_f32_e32 vcc, s3, v24
	v_sub_f32_e32 v1, v1, v20
	s_nop 0
	v_cndmask_b32_e32 v10, 0, v10, vcc
	v_cmp_nlt_f32_e32 vcc, s2, v24
	v_sub_f32_e32 v24, v23, v20
	v_mul_f32_e32 v23, 0x3fb8aa3b, v24
	v_cndmask_b32_e32 v22, v4, v10, vcc
	v_ldexp_f32 v10, v28, v29
	v_fma_f32 v28, v24, s4, -v23
	v_rndne_f32_e32 v29, v23
	v_fmac_f32_e32 v28, 0x32a5705f, v24
	v_sub_f32_e32 v23, v23, v29
	v_add_f32_e32 v23, v23, v28
	v_exp_f32_e32 v28, v23
	v_cvt_i32_f32_e32 v29, v29
	v_cmp_ngt_f32_e32 vcc, s3, v11
	s_nop 1
	v_cndmask_b32_e32 v10, 0, v10, vcc
	v_cmp_nlt_f32_e32 vcc, s2, v11
	v_sub_f32_e32 v11, v25, v20
	v_mul_f32_e32 v25, 0x3fb8aa3b, v11
	v_cndmask_b32_e32 v23, v4, v10, vcc
	v_ldexp_f32 v10, v28, v29
	v_fma_f32 v28, v11, s4, -v25
	v_rndne_f32_e32 v29, v25
	v_fmac_f32_e32 v28, 0x32a5705f, v11
	v_sub_f32_e32 v25, v25, v29
	v_add_f32_e32 v25, v25, v28
	v_exp_f32_e32 v25, v25
	v_cvt_i32_f32_e32 v28, v29
	v_cmp_ngt_f32_e32 vcc, s3, v24
	s_nop 1
	v_cndmask_b32_e32 v10, 0, v10, vcc
	v_cmp_nlt_f32_e32 vcc, s2, v24
	s_nop 1
	v_cndmask_b32_e32 v24, v4, v10, vcc
	v_ldexp_f32 v10, v25, v28
	v_mul_f32_e32 v25, 0x3fb8aa3b, v7
	v_fma_f32 v28, v7, s4, -v25
	v_rndne_f32_e32 v29, v25
	v_fmac_f32_e32 v28, 0x32a5705f, v7
	v_sub_f32_e32 v25, v25, v29
	v_add_f32_e32 v25, v25, v28
	v_exp_f32_e32 v28, v25
	v_cvt_i32_f32_e32 v29, v29
	v_cmp_ngt_f32_e32 vcc, s3, v11
	v_cvt_pk_f16_f32 v61, v23, v24
	s_nop 0
	v_cndmask_b32_e32 v10, 0, v10, vcc
	v_cmp_nlt_f32_e32 vcc, s2, v11
	v_mul_f32_e32 v11, 0x3fb8aa3b, v6
	s_nop 0
	v_cndmask_b32_e32 v25, v4, v10, vcc
	v_ldexp_f32 v10, v28, v29
	v_fma_f32 v28, v6, s4, -v11
	v_rndne_f32_e32 v29, v11
	v_fmac_f32_e32 v28, 0x32a5705f, v6
	v_sub_f32_e32 v11, v11, v29
	v_add_f32_e32 v11, v11, v28
	v_exp_f32_e32 v11, v11
	v_cvt_i32_f32_e32 v29, v29
	v_cmp_ngt_f32_e32 vcc, s3, v7
	s_nop 1
	v_cndmask_b32_e32 v10, 0, v10, vcc
	v_cmp_nlt_f32_e32 vcc, s2, v7
	v_ldexp_f32 v7, v11, v29
	s_nop 0
	v_cndmask_b32_e32 v28, v4, v10, vcc
	v_mul_f32_e32 v10, 0x3fb8aa3b, v5
	v_fma_f32 v11, v5, s4, -v10
	v_rndne_f32_e32 v29, v10
	v_fmac_f32_e32 v11, 0x32a5705f, v5
	v_sub_f32_e32 v10, v10, v29
	v_add_f32_e32 v10, v10, v11
	v_exp_f32_e32 v10, v10
	v_cvt_i32_f32_e32 v11, v29
	v_cmp_ngt_f32_e32 vcc, s3, v6
	v_ldexp_f32 v30, v10, v11
	s_nop 0
	v_cndmask_b32_e32 v7, 0, v7, vcc
	v_cmp_nlt_f32_e32 vcc, s2, v6
	v_mul_lo_u32 v6, v58, s30
	v_lshl_add_u64 v[10:11], v[12:13], 2, s[0:1]
	v_cndmask_b32_e32 v29, v4, v7, vcc
	v_ashrrev_i32_e32 v7, 31, v6
	v_lshl_add_u64 v[10:11], v[10:11], 0, v[8:9]
	v_lshl_add_u64 v[6:7], v[6:7], 2, s[0:1]
	;; [unrolled: 1-line block ×3, first 2 shown]
	global_load_dwordx4 v[6:9], v[10:11], off
	global_load_dwordx4 v[64:67], v[12:13], off
	v_sub_f32_e32 v10, v31, v34
	v_add_f32_e32 v10, v10, v32
	v_exp_f32_e32 v10, v10
	v_cvt_i32_f32_e32 v11, v34
	v_cmp_ngt_f32_e32 vcc, s3, v5
	s_mov_b32 s0, 0xc1a00000
	s_waitcnt vmcnt(1)
	ds_write_b128 v36, v[6:9]
	s_waitcnt vmcnt(0)
	ds_write_b128 v37, v[64:67]
	v_cndmask_b32_e32 v12, 0, v30, vcc
	v_cmp_nlt_f32_e32 vcc, s2, v5
	v_ldexp_f32 v5, v10, v11
	v_mul_f32_e32 v10, 0x3fb8aa3b, v2
	v_cndmask_b32_e32 v30, v4, v12, vcc
	v_fma_f32 v11, v2, s4, -v10
	v_rndne_f32_e32 v12, v10
	v_fmac_f32_e32 v11, 0x32a5705f, v2
	v_sub_f32_e32 v10, v10, v12
	v_add_f32_e32 v10, v10, v11
	v_exp_f32_e32 v10, v10
	v_cvt_i32_f32_e32 v11, v12
	v_cmp_ngt_f32_e32 vcc, s3, v3
	s_waitcnt lgkmcnt(0)
	s_barrier
	v_cndmask_b32_e32 v5, 0, v5, vcc
	v_cmp_nlt_f32_e32 vcc, s2, v3
	v_ldexp_f32 v3, v10, v11
	s_nop 0
	v_cndmask_b32_e32 v31, v4, v5, vcc
	v_mul_f32_e32 v5, 0x3fb8aa3b, v1
	v_fma_f32 v10, v1, s4, -v5
	v_rndne_f32_e32 v11, v5
	v_fmac_f32_e32 v10, 0x32a5705f, v1
	v_sub_f32_e32 v5, v5, v11
	v_add_f32_e32 v5, v5, v10
	v_cvt_i32_f32_e32 v10, v11
	v_sub_f32_e32 v11, v63, v20
	v_exp_f32_e32 v5, v5
	v_mul_f32_e32 v12, 0x3fb8aa3b, v11
	v_fma_f32 v13, v11, s4, -v12
	v_rndne_f32_e32 v34, v12
	v_fmac_f32_e32 v13, 0x32a5705f, v11
	v_sub_f32_e32 v12, v12, v34
	v_cmp_ngt_f32_e32 vcc, s3, v2
	v_add_f32_e32 v12, v12, v13
	v_exp_f32_e32 v12, v12
	v_cndmask_b32_e32 v3, 0, v3, vcc
	v_cmp_nlt_f32_e32 vcc, s2, v2
	v_ldexp_f32 v2, v5, v10
	v_sub_f32_e32 v5, v0, v20
	v_cvt_i32_f32_e32 v13, v34
	v_mul_f32_e32 v0, 0x3fb8aa3b, v5
	v_cndmask_b32_e32 v32, v4, v3, vcc
	v_fma_f32 v3, v5, s4, -v0
	v_rndne_f32_e32 v10, v0
	v_cmp_ngt_f32_e32 vcc, s3, v1
	v_fmac_f32_e32 v3, 0x32a5705f, v5
	v_sub_f32_e32 v0, v0, v10
	v_cndmask_b32_e32 v2, 0, v2, vcc
	v_add_f32_e32 v0, v0, v3
	v_cvt_i32_f32_e32 v3, v10
	v_ldexp_f32 v10, v12, v13
	v_cmp_ngt_f32_e32 vcc, s3, v11
	v_exp_f32_e32 v0, v0
	v_cvt_pk_f16_f32 v63, v29, v30
	v_cndmask_b32_e32 v10, 0, v10, vcc
	v_cmp_nlt_f32_e32 vcc, s2, v11
	s_mov_b32 s1, 0
	s_nop 0
	v_cndmask_b32_e32 v10, v4, v10, vcc
	v_cmp_le_f32_e32 vcc, s0, v11
	v_ldexp_f32 v11, v0, v3
	v_or_b32_e32 v0, 3, v60
	v_cndmask_b32_e32 v34, 0, v10, vcc
	v_cvt_f16_f32_e32 v10, v34
	v_cmp_nlt_f32_e32 vcc, s2, v1
	v_mul_u32_u24_e32 v0, 0xb0, v0
	v_add3_u32 v9, 0, v0, v59
	v_cndmask_b32_e32 v35, v4, v2, vcc
	v_or_b32_e32 v2, 2, v60
	v_mul_u32_u24_e32 v12, 0x10001, v10
	v_mul_u32_u24_e32 v2, 0xb0, v2
	v_and_b32_e32 v10, 0xfc, v60
	v_mul_u32_u24_e32 v10, 0xb0, v10
	v_add3_u32 v13, 0, v2, v59
	v_add3_u32 v8, 0, v10, v59
	s_mov_b32 s0, 0x5040100
	ds_read_u16 v6, v13
	ds_read_u16 v10, v13 offset:32
	ds_read_u16 v36, v13 offset:2816
	ds_read_u16 v37, v13 offset:2848
	ds_read_u16 v39, v13 offset:64
	ds_read_u16 v64, v13 offset:2880
	ds_read_u16 v65, v13 offset:96
	ds_read_u16 v66, v13 offset:128
	ds_read_u16 v7, v9
	ds_read_u16 v38, v9 offset:32
	ds_read_u16 v67, v9 offset:64
	;; [unrolled: 1-line block ×4, first 2 shown]
	v_pk_mul_f16 v1, v74, v12
	v_pk_mul_f16 v3, v73, v12
	s_waitcnt lgkmcnt(4)
	v_perm_b32 v7, v7, v6, s0
	ds_read_u16 v6, v8 offset:176
	ds_read_u16 v58, v8
	ds_read_u16 v70, v8 offset:32
	ds_read_u16 v71, v8 offset:208
	ds_read_u16 v73, v8 offset:64
	ds_read_u16 v74, v8 offset:240
	ds_read_u16 v75, v8 offset:96
	ds_read_u16 v76, v8 offset:128
	s_waitcnt lgkmcnt(6)
	v_perm_b32 v6, v6, v58, s0
	v_cvt_f32_f16_e32 v0, v1
	v_cvt_f32_f16_sdwa v1, v1 dst_sel:DWORD dst_unused:UNUSED_PAD src0_sel:WORD_1
	v_cvt_f32_f16_e32 v2, v3
	v_cvt_f32_f16_sdwa v3, v3 dst_sel:DWORD dst_unused:UNUSED_PAD src0_sel:WORD_1
	v_cvt_pk_f16_f32 v59, v17, v18
	v_cvt_pk_f16_f32 v58, v14, v15
	;; [unrolled: 1-line block ×3, first 2 shown]
	v_cmp_ngt_f32_e32 vcc, s3, v5
	v_mfma_f32_16x16x16_f16 v[0:3], v[6:7], v[58:59], v[0:3]
	ds_read_u16 v6, v9 offset:2816
	ds_read_u16 v62, v9 offset:5632
	;; [unrolled: 1-line block ×8, first 2 shown]
	s_waitcnt lgkmcnt(7)
	v_perm_b32 v7, v6, v36, s0
	ds_read_u16 v6, v8 offset:2816
	ds_read_u16 v36, v8 offset:2992
	;; [unrolled: 1-line block ×7, first 2 shown]
	v_cvt_f16_f32_e32 v0, v0
	v_cvt_f16_f32_e32 v1, v1
	;; [unrolled: 1-line block ×4, first 2 shown]
	s_waitcnt lgkmcnt(5)
	v_perm_b32 v6, v36, v6, s0
	v_cvt_f32_f16_e32 v0, v0
	v_cvt_f32_f16_e32 v1, v1
	;; [unrolled: 1-line block ×4, first 2 shown]
	v_cndmask_b32_e32 v11, 0, v11, vcc
	v_cmp_nlt_f32_e32 vcc, s2, v5
	v_mfma_f32_16x16x16_f16 v[0:3], v[6:7], v[60:61], v[0:3]
	s_nop 0
	v_cndmask_b32_e32 v88, v4, v11, vcc
	ds_read_u16 v4, v13 offset:5632
	ds_read_u16 v6, v13 offset:8448
	;; [unrolled: 1-line block ×7, first 2 shown]
	s_waitcnt lgkmcnt(6)
	v_perm_b32 v5, v62, v4, s0
	v_cvt_f16_f32_e32 v0, v0
	v_cvt_f16_f32_e32 v1, v1
	;; [unrolled: 1-line block ×4, first 2 shown]
	ds_read_u16 v4, v8 offset:5632
	ds_read_u16 v93, v8 offset:5664
	;; [unrolled: 1-line block ×13, first 2 shown]
	s_waitcnt lgkmcnt(7)
	v_perm_b32 v4, v7, v4, s0
	v_cvt_f32_f16_e32 v0, v0
	v_cvt_f32_f16_e32 v1, v1
	;; [unrolled: 1-line block ×4, first 2 shown]
	v_cvt_pk_f16_f32 v62, v25, v28
	v_pk_mul_f16 v7, v57, v12
	v_pk_mul_f16 v113, v56, v12
	v_mfma_f32_16x16x16_f16 v[0:3], v[4:5], v[62:63], v[0:3]
	ds_read_u16 v4, v9 offset:8448
	ds_read_u16 v103, v9 offset:8480
	;; [unrolled: 1-line block ×6, first 2 shown]
	s_waitcnt lgkmcnt(5)
	v_perm_b32 v5, v4, v6, s0
	ds_read_u16 v4, v8 offset:8624
	ds_read_u16 v108, v8 offset:8656
	;; [unrolled: 1-line block ×6, first 2 shown]
	v_cvt_f16_f32_e32 v0, v0
	v_cvt_f16_f32_e32 v1, v1
	;; [unrolled: 1-line block ×4, first 2 shown]
	s_waitcnt lgkmcnt(5)
	v_perm_b32 v4, v4, v11, s0
	v_cvt_f32_f16_e32 v0, v0
	v_cvt_f32_f16_e32 v1, v1
	;; [unrolled: 1-line block ×4, first 2 shown]
	v_cvt_pk_f16_f32 v57, v35, v88
	v_cvt_pk_f16_f32 v56, v31, v32
	v_perm_b32 v11, v38, v10, s0
	v_perm_b32 v10, v71, v70, s0
	v_mfma_f32_16x16x16_f16 v[0:3], v[4:5], v[56:57], v[0:3]
	v_cvt_f32_f16_e32 v4, v7
	v_cvt_f32_f16_sdwa v5, v7 dst_sel:DWORD dst_unused:UNUSED_PAD src0_sel:WORD_1
	v_cvt_f32_f16_e32 v6, v113
	v_cvt_f32_f16_sdwa v7, v113 dst_sel:DWORD dst_unused:UNUSED_PAD src0_sel:WORD_1
	ds_read_u16 v38, v8 offset:3024
	ds_read_u16 v70, v8 offset:3056
	;; [unrolled: 1-line block ×3, first 2 shown]
	v_mfma_f32_16x16x16_f16 v[4:7], v[10:11], v[58:59], v[4:7]
	v_perm_b32 v11, v77, v37, s0
	s_waitcnt lgkmcnt(2)
	v_perm_b32 v10, v38, v83, s0
	v_pk_mul_f16 v37, v55, v12
	s_nop 3
	v_cvt_f16_f32_e32 v4, v4
	v_cvt_f16_f32_e32 v5, v5
	;; [unrolled: 1-line block ×4, first 2 shown]
	v_cvt_f32_f16_e32 v4, v4
	v_cvt_f32_f16_e32 v5, v5
	;; [unrolled: 1-line block ×4, first 2 shown]
	v_pk_mul_f16 v54, v54, v12
	v_pk_mul_f16 v53, v53, v12
	v_mfma_f32_16x16x16_f16 v[4:7], v[10:11], v[60:61], v[4:7]
	v_perm_b32 v11, v78, v36, s0
	v_perm_b32 v10, v97, v93, s0
	ds_read_u16 v36, v13 offset:8480
	ds_read_u16 v77, v13 offset:8512
	;; [unrolled: 1-line block ×3, first 2 shown]
	s_nop 2
	v_cvt_f16_f32_e32 v4, v4
	v_cvt_f16_f32_e32 v5, v5
	;; [unrolled: 1-line block ×4, first 2 shown]
	v_cvt_f32_f16_e32 v4, v4
	v_cvt_f32_f16_e32 v5, v5
	;; [unrolled: 1-line block ×5, first 2 shown]
	s_movk_i32 s2, 0xb0
	v_mfma_f32_16x16x16_f16 v[4:7], v[10:11], v[62:63], v[4:7]
	s_waitcnt lgkmcnt(2)
	v_perm_b32 v11, v103, v36, s0
	v_perm_b32 v10, v108, v98, s0
	v_cvt_f32_f16_e32 v36, v37
	v_cvt_f32_f16_sdwa v37, v37 dst_sel:DWORD dst_unused:UNUSED_PAD src0_sel:WORD_1
	s_nop 2
	v_cvt_f16_f32_e32 v4, v4
	v_cvt_f16_f32_e32 v5, v5
	;; [unrolled: 1-line block ×4, first 2 shown]
	v_cvt_f32_f16_e32 v4, v4
	v_cvt_f32_f16_e32 v5, v5
	;; [unrolled: 1-line block ×4, first 2 shown]
	v_cmp_gt_u32_e32 vcc, 16, v47
	s_nop 0
	v_mfma_f32_16x16x16_f16 v[4:7], v[10:11], v[56:57], v[4:7]
	v_perm_b32 v11, v67, v39, s0
	v_perm_b32 v10, v74, v73, s0
	v_cvt_f32_f16_sdwa v39, v54 dst_sel:DWORD dst_unused:UNUSED_PAD src0_sel:WORD_1
	ds_read_u16 v54, v9 offset:5696
	ds_read_u16 v55, v9 offset:5728
	v_mfma_f32_16x16x16_f16 v[36:39], v[10:11], v[58:59], v[36:39]
	v_pk_mul_f16 v67, v52, v12
	s_nop 6
	v_cvt_f16_f32_e32 v10, v36
	v_cvt_f16_f32_e32 v11, v37
	;; [unrolled: 1-line block ×4, first 2 shown]
	v_cvt_f32_f16_e32 v36, v10
	v_cvt_f32_f16_e32 v37, v11
	v_perm_b32 v11, v79, v64, s0
	v_perm_b32 v10, v70, v84, s0
	v_cvt_f32_f16_e32 v38, v38
	v_cvt_f32_f16_e32 v39, v39
	s_nop 1
	v_mfma_f32_16x16x16_f16 v[36:39], v[10:11], v[60:61], v[36:39]
	s_nop 7
	v_cvt_f16_f32_e32 v10, v37
	v_cvt_f16_f32_e32 v11, v38
	;; [unrolled: 1-line block ×4, first 2 shown]
	v_cvt_f32_f16_e32 v37, v10
	v_cvt_f32_f16_e32 v38, v11
	s_waitcnt lgkmcnt(1)
	v_perm_b32 v11, v54, v89, s0
	v_perm_b32 v10, v99, v94, s0
	v_cvt_f32_f16_e32 v36, v9
	v_cvt_f32_f16_e32 v39, v39
	ds_read_u16 v9, v8 offset:8512
	ds_read_u16 v54, v8 offset:8544
	v_mfma_f32_16x16x16_f16 v[36:39], v[10:11], v[62:63], v[36:39]
	ds_read_u16 v64, v8 offset:272
	ds_read_u16 v13, v13 offset:2912
	s_waitcnt lgkmcnt(0)
	s_nop 4
	v_cvt_f16_f32_e32 v10, v36
	v_cvt_f16_f32_e32 v11, v37
	;; [unrolled: 1-line block ×4, first 2 shown]
	v_cvt_f32_f16_e32 v36, v10
	v_cvt_f32_f16_e32 v37, v11
	v_perm_b32 v11, v104, v77, s0
	v_perm_b32 v10, v109, v9, s0
	v_cvt_f32_f16_e32 v38, v38
	v_cvt_f32_f16_e32 v39, v39
	v_perm_b32 v52, v64, v75, s0
	s_barrier
	v_mfma_f32_16x16x16_f16 v[8:11], v[10:11], v[56:57], v[36:39]
	s_nop 2
	v_cvt_f32_f16_e32 v36, v53
	v_cvt_f32_f16_sdwa v37, v53 dst_sel:DWORD dst_unused:UNUSED_PAD src0_sel:WORD_1
	v_perm_b32 v53, v68, v65, s0
	v_cvt_f32_f16_e32 v38, v67
	v_cvt_f32_f16_sdwa v39, v67 dst_sel:DWORD dst_unused:UNUSED_PAD src0_sel:WORD_1
	s_barrier
	s_nop 0
	v_mfma_f32_16x16x16_f16 v[36:39], v[52:53], v[58:59], v[36:39]
	v_perm_b32 v53, v80, v13, s0
	v_perm_b32 v52, v71, v85, s0
	v_add_f32_e32 v13, v14, v15
	v_add_f32_e32 v13, v17, v13
	s_nop 3
	v_cvt_f16_f32_e32 v36, v36
	v_cvt_f16_f32_e32 v37, v37
	;; [unrolled: 1-line block ×4, first 2 shown]
	v_cvt_f32_f16_e32 v36, v36
	v_cvt_f32_f16_e32 v37, v37
	;; [unrolled: 1-line block ×4, first 2 shown]
	v_add_f32_e32 v13, v18, v13
	v_add_f32_e32 v13, v19, v13
	v_mfma_f32_16x16x16_f16 v[36:39], v[52:53], v[60:61], v[36:39]
	v_add_f32_e32 v13, v22, v13
	v_pk_mul_f16 v22, v50, v12
	v_perm_b32 v19, v82, v66, s0
	s_nop 4
	v_cvt_f16_f32_e32 v14, v36
	v_cvt_f16_f32_e32 v15, v37
	;; [unrolled: 1-line block ×4, first 2 shown]
	v_cvt_f32_f16_e32 v36, v14
	v_cvt_f32_f16_e32 v37, v15
	v_perm_b32 v15, v55, v90, s0
	v_perm_b32 v14, v100, v95, s0
	v_cvt_f32_f16_e32 v38, v17
	v_cvt_f32_f16_e32 v39, v39
	s_nop 1
	v_mfma_f32_16x16x16_f16 v[36:39], v[14:15], v[62:63], v[36:39]
	s_nop 7
	v_cvt_f16_f32_e32 v14, v36
	v_cvt_f16_f32_e32 v15, v37
	;; [unrolled: 1-line block ×4, first 2 shown]
	v_cvt_f32_f16_e32 v36, v14
	v_cvt_f32_f16_e32 v37, v15
	v_perm_b32 v15, v105, v78, s0
	v_perm_b32 v14, v110, v54, s0
	v_cvt_f32_f16_e32 v38, v17
	v_cvt_f32_f16_e32 v39, v18
	v_pk_mul_f16 v18, v51, v12
	v_add_f32_e32 v17, v23, v13
	v_mfma_f32_16x16x16_f16 v[12:15], v[14:15], v[56:57], v[36:39]
	v_add_f32_e32 v17, v24, v17
	v_add_f32_e32 v17, v25, v17
	s_nop 0
	v_cvt_f32_f16_e32 v36, v18
	v_cvt_f32_f16_sdwa v37, v18 dst_sel:DWORD dst_unused:UNUSED_PAD src0_sel:WORD_1
	v_perm_b32 v18, v87, v76, s0
	v_cvt_f32_f16_e32 v38, v22
	v_cvt_f32_f16_sdwa v39, v22 dst_sel:DWORD dst_unused:UNUSED_PAD src0_sel:WORD_1
	v_add_f32_e32 v17, v28, v17
	v_add_f32_e32 v17, v29, v17
	v_mfma_f32_16x16x16_f16 v[22:25], v[18:19], v[58:59], v[36:39]
	v_add_f32_e32 v17, v30, v17
	v_add_f32_e32 v17, v31, v17
	;; [unrolled: 1-line block ×4, first 2 shown]
	s_nop 3
	v_cvt_f16_f32_e32 v18, v22
	v_cvt_f16_f32_e32 v19, v23
	;; [unrolled: 1-line block ×4, first 2 shown]
	v_cvt_f32_f16_e32 v22, v18
	v_cvt_f32_f16_e32 v23, v19
	v_perm_b32 v19, v81, v92, s0
	v_perm_b32 v18, v96, v86, s0
	v_cvt_f32_f16_e32 v24, v24
	v_cvt_f32_f16_e32 v25, v25
	v_add_f32_e32 v28, v88, v17
	v_fmac_f32_e32 v28, v72, v34
	v_mfma_f32_16x16x16_f16 v[22:25], v[18:19], v[60:61], v[22:25]
	ds_bpermute_b32 v29, v16, v28
	s_nop 6
	v_cvt_f16_f32_e32 v18, v22
	v_cvt_f16_f32_e32 v19, v23
	;; [unrolled: 1-line block ×4, first 2 shown]
	v_cvt_f32_f16_e32 v22, v18
	v_cvt_f32_f16_e32 v23, v19
	v_perm_b32 v19, v107, v91, s0
	v_perm_b32 v18, v101, v102, s0
	v_cvt_f32_f16_e32 v24, v24
	v_cvt_f32_f16_e32 v25, v25
	s_nop 1
	v_mfma_f32_16x16x16_f16 v[22:25], v[18:19], v[62:63], v[22:25]
	s_nop 7
	v_cvt_f16_f32_e32 v18, v23
	v_cvt_f16_f32_e32 v19, v24
	;; [unrolled: 1-line block ×4, first 2 shown]
	v_cvt_f32_f16_e32 v23, v18
	v_cvt_f32_f16_e32 v24, v19
	v_perm_b32 v19, v106, v69, s0
	v_perm_b32 v18, v111, v112, s0
	v_cvt_f32_f16_e32 v22, v17
	v_cvt_f32_f16_e32 v25, v25
	s_nop 1
	v_mfma_f32_16x16x16_f16 v[16:19], v[18:19], v[56:57], v[22:25]
	s_waitcnt lgkmcnt(0)
	s_nop 1
	v_add_f32_e32 v22, v28, v29
	ds_bpermute_b32 v21, v21, v22
	s_and_saveexec_b64 s[4:5], vcc
	s_cbranch_execz .LBB9_293
; %bb.292:
	v_readlane_b32 s0, v181, 7
	s_add_i32 s0, s0, s22
	s_lshl_b32 s0, s0, 6
	s_lshl_b64 s[6:7], s[0:1], 3
	s_add_u32 s6, s26, s6
	v_or_b32_e32 v23, v41, v47
	s_addc_u32 s7, s27, s7
	v_lshlrev_b32_e32 v23, 3, v23
	s_waitcnt lgkmcnt(0)
	v_add_f32_e32 v21, v22, v21
	global_store_dwordx2 v23, v[20:21], s[6:7]
.LBB9_293:
	s_or_b64 exec, exec, s[4:5]
	s_load_dword s0, s[40:41], 0x0
	s_load_dword s3, s[40:41], 0x10
	v_cvt_pk_f16_f32 v2, v2, v3
	v_cvt_pk_f16_f32 v3, v4, v5
	;; [unrolled: 1-line block ×3, first 2 shown]
	v_or_b32_e32 v10, v41, v48
	s_waitcnt lgkmcnt(0)
	s_lshr_b32 s3, s3, 16
	s_cmp_lg_u32 s3, 0
	s_cselect_b64 s[4:5], -1, 0
	s_cmp_lg_u64 s[4:5], 0
	v_mul_u32_u24_e32 v10, 0xb0, v10
	s_addc_u32 s0, s0, 0
	v_cvt_pk_f16_f32 v0, v0, v1
	v_add3_u32 v10, 0, v10, v49
	s_lshl_b32 s0, s0, 7
	v_cvt_pk_f16_f32 v1, v6, v7
	v_cvt_pk_f16_f32 v5, v8, v9
	;; [unrolled: 1-line block ×6, first 2 shown]
	s_lshl_b64 s[4:5], s[0:1], 3
	ds_write2_b32 v10, v0, v2 offset1:1
	ds_write2_b32 v10, v3, v1 offset0:8 offset1:9
	ds_write2_b32 v10, v5, v4 offset0:16 offset1:17
	;; [unrolled: 1-line block ×4, first 2 shown]
	v_mad_u32_u24 v0, v27, s2, v33
	s_add_u32 s3, s26, s4
	s_mul_i32 s0, s22, 0xa00
	s_waitcnt lgkmcnt(0)
	s_barrier
	ds_read_b32 v3, v0
	v_add_u32_e32 v6, 0x80, v0
	s_addc_u32 s4, s27, s5
	s_lshl_b64 s[0:1], s[0:1], 3
	ds_read2st64_b32 v[0:1], v6 offset0:5 offset1:16
	s_add_u32 s0, s3, s0
	v_and_b32_e32 v2, 15, v27
	s_movk_i32 s3, 0x1ff0
	v_and_or_b32 v4, v40, s3, v2
	v_and_or_b32 v5, v42, s3, v2
	;; [unrolled: 1-line block ×3, first 2 shown]
	v_mad_u32_u24 v4, v4, s2, v33
	v_mad_u32_u24 v2, v2, s2, v33
	;; [unrolled: 1-line block ×3, first 2 shown]
	ds_read_b32 v7, v4
	ds_read_b32 v8, v5
	;; [unrolled: 1-line block ×3, first 2 shown]
	s_waitcnt lgkmcnt(4)
	v_cvt_f32_f16_e32 v2, v3
	v_cvt_f32_f16_sdwa v3, v3 dst_sel:DWORD dst_unused:UNUSED_PAD src0_sel:WORD_1
	s_waitcnt lgkmcnt(3)
	v_cvt_f32_f16_e32 v4, v0
	v_cvt_f32_f16_sdwa v5, v0 dst_sel:DWORD dst_unused:UNUSED_PAD src0_sel:WORD_1
	v_mul_u32_u24_e32 v10, 40, v27
	s_addc_u32 s1, s4, s1
	v_pk_add_f32 v[2:3], v[2:3], 0 op_sel_hi:[1,0]
	v_add_lshl_u32 v10, v10, v26, 3
	global_store_dwordx2 v10, v[2:3], s[0:1]
	v_pk_add_f32 v[2:3], v[4:5], 0 op_sel_hi:[1,0]
	global_store_dwordx2 v10, v[2:3], s[0:1] offset:2560
	s_waitcnt lgkmcnt(2)
	v_cvt_f32_f16_e32 v2, v7
	v_cvt_f32_f16_sdwa v3, v7 dst_sel:DWORD dst_unused:UNUSED_PAD src0_sel:WORD_1
	v_add_u32_e32 v4, 0x1400, v10
	v_cvt_f32_f16_e32 v0, v1
	v_cvt_f32_f16_sdwa v1, v1 dst_sel:DWORD dst_unused:UNUSED_PAD src0_sel:WORD_1
	v_pk_add_f32 v[2:3], v[2:3], 0 op_sel_hi:[1,0]
	global_store_dwordx2 v4, v[2:3], s[0:1]
	s_waitcnt lgkmcnt(1)
	v_cvt_f32_f16_e32 v2, v8
	v_cvt_f32_f16_sdwa v3, v8 dst_sel:DWORD dst_unused:UNUSED_PAD src0_sel:WORD_1
	ds_read2st64_b32 v[4:5], v6 offset0:27 offset1:38
	v_add_u32_e32 v7, 0x1e00, v10
	v_pk_add_f32 v[0:1], v[0:1], 0 op_sel_hi:[1,0]
	global_store_dwordx2 v7, v[0:1], s[0:1]
	v_add_u32_e32 v6, 0x2800, v10
	v_pk_add_f32 v[0:1], v[2:3], 0 op_sel_hi:[1,0]
	global_store_dwordx2 v6, v[0:1], s[0:1]
	s_waitcnt lgkmcnt(0)
	v_cvt_f32_f16_e32 v0, v4
	v_cvt_f32_f16_sdwa v1, v4 dst_sel:DWORD dst_unused:UNUSED_PAD src0_sel:WORD_1
	v_cvt_f32_f16_e32 v2, v9
	v_cvt_f32_f16_sdwa v3, v9 dst_sel:DWORD dst_unused:UNUSED_PAD src0_sel:WORD_1
	v_add_u32_e32 v4, 0x3200, v10
	v_pk_add_f32 v[0:1], v[0:1], 0 op_sel_hi:[1,0]
	global_store_dwordx2 v4, v[0:1], s[0:1]
	v_pk_add_f32 v[0:1], v[2:3], 0 op_sel_hi:[1,0]
	v_mad_u32_u24 v2, v45, s2, v46
	v_add_u32_e32 v4, 0x3c00, v10
	v_add_u32_e32 v2, 0x80, v2
	global_store_dwordx2 v4, v[0:1], s[0:1]
	v_cvt_f32_f16_e32 v0, v5
	v_cvt_f32_f16_sdwa v1, v5 dst_sel:DWORD dst_unused:UNUSED_PAD src0_sel:WORD_1
	ds_read2st64_b32 v[2:3], v2 offset1:22
	v_add_u32_e32 v4, 0x4600, v10
	v_mov_b32_e32 v5, 0
	v_pk_add_f32 v[0:1], v[0:1], 0 op_sel_hi:[1,0]
	global_store_dwordx2 v4, v[0:1], s[0:1]
	s_waitcnt lgkmcnt(0)
	v_cvt_f32_f16_e32 v0, v2
	v_cvt_f32_f16_sdwa v1, v2 dst_sel:DWORD dst_unused:UNUSED_PAD src0_sel:WORD_1
	v_cvt_f32_f16_e32 v2, v3
	v_cvt_f32_f16_sdwa v3, v3 dst_sel:DWORD dst_unused:UNUSED_PAD src0_sel:WORD_1
	v_mul_u32_u24_e32 v4, 40, v45
	v_or_b32_e32 v4, v4, v44
	v_lshl_add_u64 v[6:7], v[4:5], 3, s[0:1]
	v_pk_add_f32 v[0:1], v[0:1], 0 op_sel_hi:[1,0]
	v_add_u32_e32 v4, 0x500, v4
	global_store_dwordx2 v[6:7], v[0:1], off offset:256
	v_lshl_add_u64 v[0:1], v[4:5], 3, s[0:1]
	v_pk_add_f32 v[2:3], v[2:3], 0 op_sel_hi:[1,0]
	global_store_dwordx2 v[0:1], v[2:3], off offset:256
	s_endpgm
	.section	.rodata,"a",@progbits
	.p2align	6, 0x0
	.amdhsa_kernel _ZL18flash_attn_ext_f16ILi80ELi80ELi8ELi8ELb0ELb0EEvPKcS1_S1_S1_S1_PKiPfP15HIP_vector_typeIfLj2EEffffjfiS5_IjLj3EEiiiiiiiiiiiliiliiiiil
		.amdhsa_group_segment_fixed_size 0
		.amdhsa_private_segment_fixed_size 0
		.amdhsa_kernarg_size 464
		.amdhsa_user_sgpr_count 2
		.amdhsa_user_sgpr_dispatch_ptr 0
		.amdhsa_user_sgpr_queue_ptr 0
		.amdhsa_user_sgpr_kernarg_segment_ptr 1
		.amdhsa_user_sgpr_dispatch_id 0
		.amdhsa_user_sgpr_kernarg_preload_length 0
		.amdhsa_user_sgpr_kernarg_preload_offset 0
		.amdhsa_user_sgpr_private_segment_size 0
		.amdhsa_uses_dynamic_stack 0
		.amdhsa_enable_private_segment 0
		.amdhsa_system_sgpr_workgroup_id_x 1
		.amdhsa_system_sgpr_workgroup_id_y 0
		.amdhsa_system_sgpr_workgroup_id_z 0
		.amdhsa_system_sgpr_workgroup_info 0
		.amdhsa_system_vgpr_workitem_id 1
		.amdhsa_next_free_vgpr 182
		.amdhsa_next_free_sgpr 100
		.amdhsa_accum_offset 184
		.amdhsa_reserve_vcc 1
		.amdhsa_float_round_mode_32 0
		.amdhsa_float_round_mode_16_64 0
		.amdhsa_float_denorm_mode_32 3
		.amdhsa_float_denorm_mode_16_64 3
		.amdhsa_dx10_clamp 1
		.amdhsa_ieee_mode 1
		.amdhsa_fp16_overflow 0
		.amdhsa_tg_split 0
		.amdhsa_exception_fp_ieee_invalid_op 0
		.amdhsa_exception_fp_denorm_src 0
		.amdhsa_exception_fp_ieee_div_zero 0
		.amdhsa_exception_fp_ieee_overflow 0
		.amdhsa_exception_fp_ieee_underflow 0
		.amdhsa_exception_fp_ieee_inexact 0
		.amdhsa_exception_int_div_zero 0
	.end_amdhsa_kernel
	.section	.text._ZL18flash_attn_ext_f16ILi80ELi80ELi8ELi8ELb0ELb0EEvPKcS1_S1_S1_S1_PKiPfP15HIP_vector_typeIfLj2EEffffjfiS5_IjLj3EEiiiiiiiiiiiliiliiiiil,"axG",@progbits,_ZL18flash_attn_ext_f16ILi80ELi80ELi8ELi8ELb0ELb0EEvPKcS1_S1_S1_S1_PKiPfP15HIP_vector_typeIfLj2EEffffjfiS5_IjLj3EEiiiiiiiiiiiliiliiiiil,comdat
.Lfunc_end9:
	.size	_ZL18flash_attn_ext_f16ILi80ELi80ELi8ELi8ELb0ELb0EEvPKcS1_S1_S1_S1_PKiPfP15HIP_vector_typeIfLj2EEffffjfiS5_IjLj3EEiiiiiiiiiiiliiliiiiil, .Lfunc_end9-_ZL18flash_attn_ext_f16ILi80ELi80ELi8ELi8ELb0ELb0EEvPKcS1_S1_S1_S1_PKiPfP15HIP_vector_typeIfLj2EEffffjfiS5_IjLj3EEiiiiiiiiiiiliiliiiiil
                                        ; -- End function
	.set _ZL18flash_attn_ext_f16ILi80ELi80ELi8ELi8ELb0ELb0EEvPKcS1_S1_S1_S1_PKiPfP15HIP_vector_typeIfLj2EEffffjfiS5_IjLj3EEiiiiiiiiiiiliiliiiiil.num_vgpr, 182
	.set _ZL18flash_attn_ext_f16ILi80ELi80ELi8ELi8ELb0ELb0EEvPKcS1_S1_S1_S1_PKiPfP15HIP_vector_typeIfLj2EEffffjfiS5_IjLj3EEiiiiiiiiiiiliiliiiiil.num_agpr, 0
	.set _ZL18flash_attn_ext_f16ILi80ELi80ELi8ELi8ELb0ELb0EEvPKcS1_S1_S1_S1_PKiPfP15HIP_vector_typeIfLj2EEffffjfiS5_IjLj3EEiiiiiiiiiiiliiliiiiil.numbered_sgpr, 100
	.set _ZL18flash_attn_ext_f16ILi80ELi80ELi8ELi8ELb0ELb0EEvPKcS1_S1_S1_S1_PKiPfP15HIP_vector_typeIfLj2EEffffjfiS5_IjLj3EEiiiiiiiiiiiliiliiiiil.num_named_barrier, 0
	.set _ZL18flash_attn_ext_f16ILi80ELi80ELi8ELi8ELb0ELb0EEvPKcS1_S1_S1_S1_PKiPfP15HIP_vector_typeIfLj2EEffffjfiS5_IjLj3EEiiiiiiiiiiiliiliiiiil.private_seg_size, 0
	.set _ZL18flash_attn_ext_f16ILi80ELi80ELi8ELi8ELb0ELb0EEvPKcS1_S1_S1_S1_PKiPfP15HIP_vector_typeIfLj2EEffffjfiS5_IjLj3EEiiiiiiiiiiiliiliiiiil.uses_vcc, 1
	.set _ZL18flash_attn_ext_f16ILi80ELi80ELi8ELi8ELb0ELb0EEvPKcS1_S1_S1_S1_PKiPfP15HIP_vector_typeIfLj2EEffffjfiS5_IjLj3EEiiiiiiiiiiiliiliiiiil.uses_flat_scratch, 0
	.set _ZL18flash_attn_ext_f16ILi80ELi80ELi8ELi8ELb0ELb0EEvPKcS1_S1_S1_S1_PKiPfP15HIP_vector_typeIfLj2EEffffjfiS5_IjLj3EEiiiiiiiiiiiliiliiiiil.has_dyn_sized_stack, 0
	.set _ZL18flash_attn_ext_f16ILi80ELi80ELi8ELi8ELb0ELb0EEvPKcS1_S1_S1_S1_PKiPfP15HIP_vector_typeIfLj2EEffffjfiS5_IjLj3EEiiiiiiiiiiiliiliiiiil.has_recursion, 0
	.set _ZL18flash_attn_ext_f16ILi80ELi80ELi8ELi8ELb0ELb0EEvPKcS1_S1_S1_S1_PKiPfP15HIP_vector_typeIfLj2EEffffjfiS5_IjLj3EEiiiiiiiiiiiliiliiiiil.has_indirect_call, 0
	.section	.AMDGPU.csdata,"",@progbits
; Kernel info:
; codeLenInByte = 45512
; TotalNumSgprs: 106
; NumVgprs: 182
; NumAgprs: 0
; TotalNumVgprs: 182
; ScratchSize: 0
; MemoryBound: 0
; FloatMode: 240
; IeeeMode: 1
; LDSByteSize: 0 bytes/workgroup (compile time only)
; SGPRBlocks: 13
; VGPRBlocks: 22
; NumSGPRsForWavesPerEU: 106
; NumVGPRsForWavesPerEU: 182
; AccumOffset: 184
; Occupancy: 2
; WaveLimiterHint : 1
; COMPUTE_PGM_RSRC2:SCRATCH_EN: 0
; COMPUTE_PGM_RSRC2:USER_SGPR: 2
; COMPUTE_PGM_RSRC2:TRAP_HANDLER: 0
; COMPUTE_PGM_RSRC2:TGID_X_EN: 1
; COMPUTE_PGM_RSRC2:TGID_Y_EN: 0
; COMPUTE_PGM_RSRC2:TGID_Z_EN: 0
; COMPUTE_PGM_RSRC2:TIDIG_COMP_CNT: 1
; COMPUTE_PGM_RSRC3_GFX90A:ACCUM_OFFSET: 45
; COMPUTE_PGM_RSRC3_GFX90A:TG_SPLIT: 0
	.section	.text._ZL18flash_attn_ext_f16ILi80ELi80ELi8ELi8ELb1ELb0EEvPKcS1_S1_S1_S1_PKiPfP15HIP_vector_typeIfLj2EEffffjfiS5_IjLj3EEiiiiiiiiiiiliiliiiiil,"axG",@progbits,_ZL18flash_attn_ext_f16ILi80ELi80ELi8ELi8ELb1ELb0EEvPKcS1_S1_S1_S1_PKiPfP15HIP_vector_typeIfLj2EEffffjfiS5_IjLj3EEiiiiiiiiiiiliiliiiiil,comdat
	.globl	_ZL18flash_attn_ext_f16ILi80ELi80ELi8ELi8ELb1ELb0EEvPKcS1_S1_S1_S1_PKiPfP15HIP_vector_typeIfLj2EEffffjfiS5_IjLj3EEiiiiiiiiiiiliiliiiiil ; -- Begin function _ZL18flash_attn_ext_f16ILi80ELi80ELi8ELi8ELb1ELb0EEvPKcS1_S1_S1_S1_PKiPfP15HIP_vector_typeIfLj2EEffffjfiS5_IjLj3EEiiiiiiiiiiiliiliiiiil
	.p2align	8
	.type	_ZL18flash_attn_ext_f16ILi80ELi80ELi8ELi8ELb1ELb0EEvPKcS1_S1_S1_S1_PKiPfP15HIP_vector_typeIfLj2EEffffjfiS5_IjLj3EEiiiiiiiiiiiliiliiiiil,@function
_ZL18flash_attn_ext_f16ILi80ELi80ELi8ELi8ELb1ELb0EEvPKcS1_S1_S1_S1_PKiPfP15HIP_vector_typeIfLj2EEffffjfiS5_IjLj3EEiiiiiiiiiiiliiliiiiil: ; @_ZL18flash_attn_ext_f16ILi80ELi80ELi8ELi8ELb1ELb0EEvPKcS1_S1_S1_S1_PKiPfP15HIP_vector_typeIfLj2EEffffjfiS5_IjLj3EEiiiiiiiiiiiliiliiiiil
; %bb.0:
	s_add_u32 s8, s0, 0xd0
	s_addc_u32 s9, s1, 0
	s_getpc_b64 s[0:1]
	s_add_u32 s0, s0, _ZL14no_device_codePKciS0_iS0_@rel32@lo+4
	s_addc_u32 s1, s1, _ZL14no_device_codePKciS0_iS0_@rel32@hi+12
	v_mov_b32_e32 v0, 0x6cc
	s_mov_b32 s32, 0
	s_swappc_b64 s[30:31], s[0:1]
	.section	.rodata,"a",@progbits
	.p2align	6, 0x0
	.amdhsa_kernel _ZL18flash_attn_ext_f16ILi80ELi80ELi8ELi8ELb1ELb0EEvPKcS1_S1_S1_S1_PKiPfP15HIP_vector_typeIfLj2EEffffjfiS5_IjLj3EEiiiiiiiiiiiliiliiiiil
		.amdhsa_group_segment_fixed_size 0
		.amdhsa_private_segment_fixed_size 16
		.amdhsa_kernarg_size 464
		.amdhsa_user_sgpr_count 2
		.amdhsa_user_sgpr_dispatch_ptr 0
		.amdhsa_user_sgpr_queue_ptr 0
		.amdhsa_user_sgpr_kernarg_segment_ptr 1
		.amdhsa_user_sgpr_dispatch_id 0
		.amdhsa_user_sgpr_kernarg_preload_length 0
		.amdhsa_user_sgpr_kernarg_preload_offset 0
		.amdhsa_user_sgpr_private_segment_size 0
		.amdhsa_uses_dynamic_stack 0
		.amdhsa_enable_private_segment 1
		.amdhsa_system_sgpr_workgroup_id_x 1
		.amdhsa_system_sgpr_workgroup_id_y 0
		.amdhsa_system_sgpr_workgroup_id_z 0
		.amdhsa_system_sgpr_workgroup_info 0
		.amdhsa_system_vgpr_workitem_id 0
		.amdhsa_next_free_vgpr 50
		.amdhsa_next_free_sgpr 34
		.amdhsa_accum_offset 52
		.amdhsa_reserve_vcc 1
		.amdhsa_float_round_mode_32 0
		.amdhsa_float_round_mode_16_64 0
		.amdhsa_float_denorm_mode_32 3
		.amdhsa_float_denorm_mode_16_64 3
		.amdhsa_dx10_clamp 1
		.amdhsa_ieee_mode 1
		.amdhsa_fp16_overflow 0
		.amdhsa_tg_split 0
		.amdhsa_exception_fp_ieee_invalid_op 0
		.amdhsa_exception_fp_denorm_src 0
		.amdhsa_exception_fp_ieee_div_zero 0
		.amdhsa_exception_fp_ieee_overflow 0
		.amdhsa_exception_fp_ieee_underflow 0
		.amdhsa_exception_fp_ieee_inexact 0
		.amdhsa_exception_int_div_zero 0
	.end_amdhsa_kernel
	.section	.text._ZL18flash_attn_ext_f16ILi80ELi80ELi8ELi8ELb1ELb0EEvPKcS1_S1_S1_S1_PKiPfP15HIP_vector_typeIfLj2EEffffjfiS5_IjLj3EEiiiiiiiiiiiliiliiiiil,"axG",@progbits,_ZL18flash_attn_ext_f16ILi80ELi80ELi8ELi8ELb1ELb0EEvPKcS1_S1_S1_S1_PKiPfP15HIP_vector_typeIfLj2EEffffjfiS5_IjLj3EEiiiiiiiiiiiliiliiiiil,comdat
.Lfunc_end10:
	.size	_ZL18flash_attn_ext_f16ILi80ELi80ELi8ELi8ELb1ELb0EEvPKcS1_S1_S1_S1_PKiPfP15HIP_vector_typeIfLj2EEffffjfiS5_IjLj3EEiiiiiiiiiiiliiliiiiil, .Lfunc_end10-_ZL18flash_attn_ext_f16ILi80ELi80ELi8ELi8ELb1ELb0EEvPKcS1_S1_S1_S1_PKiPfP15HIP_vector_typeIfLj2EEffffjfiS5_IjLj3EEiiiiiiiiiiiliiliiiiil
                                        ; -- End function
	.set _ZL18flash_attn_ext_f16ILi80ELi80ELi8ELi8ELb1ELb0EEvPKcS1_S1_S1_S1_PKiPfP15HIP_vector_typeIfLj2EEffffjfiS5_IjLj3EEiiiiiiiiiiiliiliiiiil.num_vgpr, max(1, .L_ZL14no_device_codePKciS0_iS0_.num_vgpr)
	.set _ZL18flash_attn_ext_f16ILi80ELi80ELi8ELi8ELb1ELb0EEvPKcS1_S1_S1_S1_PKiPfP15HIP_vector_typeIfLj2EEffffjfiS5_IjLj3EEiiiiiiiiiiiliiliiiiil.num_agpr, max(0, .L_ZL14no_device_codePKciS0_iS0_.num_agpr)
	.set _ZL18flash_attn_ext_f16ILi80ELi80ELi8ELi8ELb1ELb0EEvPKcS1_S1_S1_S1_PKiPfP15HIP_vector_typeIfLj2EEffffjfiS5_IjLj3EEiiiiiiiiiiiliiliiiiil.numbered_sgpr, max(33, .L_ZL14no_device_codePKciS0_iS0_.numbered_sgpr)
	.set _ZL18flash_attn_ext_f16ILi80ELi80ELi8ELi8ELb1ELb0EEvPKcS1_S1_S1_S1_PKiPfP15HIP_vector_typeIfLj2EEffffjfiS5_IjLj3EEiiiiiiiiiiiliiliiiiil.num_named_barrier, max(0, .L_ZL14no_device_codePKciS0_iS0_.num_named_barrier)
	.set _ZL18flash_attn_ext_f16ILi80ELi80ELi8ELi8ELb1ELb0EEvPKcS1_S1_S1_S1_PKiPfP15HIP_vector_typeIfLj2EEffffjfiS5_IjLj3EEiiiiiiiiiiiliiliiiiil.private_seg_size, 0+max(.L_ZL14no_device_codePKciS0_iS0_.private_seg_size)
	.set _ZL18flash_attn_ext_f16ILi80ELi80ELi8ELi8ELb1ELb0EEvPKcS1_S1_S1_S1_PKiPfP15HIP_vector_typeIfLj2EEffffjfiS5_IjLj3EEiiiiiiiiiiiliiliiiiil.uses_vcc, or(1, .L_ZL14no_device_codePKciS0_iS0_.uses_vcc)
	.set _ZL18flash_attn_ext_f16ILi80ELi80ELi8ELi8ELb1ELb0EEvPKcS1_S1_S1_S1_PKiPfP15HIP_vector_typeIfLj2EEffffjfiS5_IjLj3EEiiiiiiiiiiiliiliiiiil.uses_flat_scratch, or(0, .L_ZL14no_device_codePKciS0_iS0_.uses_flat_scratch)
	.set _ZL18flash_attn_ext_f16ILi80ELi80ELi8ELi8ELb1ELb0EEvPKcS1_S1_S1_S1_PKiPfP15HIP_vector_typeIfLj2EEffffjfiS5_IjLj3EEiiiiiiiiiiiliiliiiiil.has_dyn_sized_stack, or(0, .L_ZL14no_device_codePKciS0_iS0_.has_dyn_sized_stack)
	.set _ZL18flash_attn_ext_f16ILi80ELi80ELi8ELi8ELb1ELb0EEvPKcS1_S1_S1_S1_PKiPfP15HIP_vector_typeIfLj2EEffffjfiS5_IjLj3EEiiiiiiiiiiiliiliiiiil.has_recursion, or(0, .L_ZL14no_device_codePKciS0_iS0_.has_recursion)
	.set _ZL18flash_attn_ext_f16ILi80ELi80ELi8ELi8ELb1ELb0EEvPKcS1_S1_S1_S1_PKiPfP15HIP_vector_typeIfLj2EEffffjfiS5_IjLj3EEiiiiiiiiiiiliiliiiiil.has_indirect_call, or(0, .L_ZL14no_device_codePKciS0_iS0_.has_indirect_call)
	.section	.AMDGPU.csdata,"",@progbits
; Kernel info:
; codeLenInByte = 48
; TotalNumSgprs: 40
; NumVgprs: 50
; NumAgprs: 0
; TotalNumVgprs: 50
; ScratchSize: 16
; MemoryBound: 0
; FloatMode: 240
; IeeeMode: 1
; LDSByteSize: 0 bytes/workgroup (compile time only)
; SGPRBlocks: 4
; VGPRBlocks: 6
; NumSGPRsForWavesPerEU: 40
; NumVGPRsForWavesPerEU: 50
; AccumOffset: 52
; Occupancy: 8
; WaveLimiterHint : 1
; COMPUTE_PGM_RSRC2:SCRATCH_EN: 1
; COMPUTE_PGM_RSRC2:USER_SGPR: 2
; COMPUTE_PGM_RSRC2:TRAP_HANDLER: 0
; COMPUTE_PGM_RSRC2:TGID_X_EN: 1
; COMPUTE_PGM_RSRC2:TGID_Y_EN: 0
; COMPUTE_PGM_RSRC2:TGID_Z_EN: 0
; COMPUTE_PGM_RSRC2:TIDIG_COMP_CNT: 0
; COMPUTE_PGM_RSRC3_GFX90A:ACCUM_OFFSET: 12
; COMPUTE_PGM_RSRC3_GFX90A:TG_SPLIT: 0
	.section	.text._ZL33flash_attn_stream_k_fixup_uniformILi80ELi8ELi8EEvPfPK15HIP_vector_typeIfLj2EEiiiiiiS1_IjLj3EES5_S5_,"axG",@progbits,_ZL33flash_attn_stream_k_fixup_uniformILi80ELi8ELi8EEvPfPK15HIP_vector_typeIfLj2EEiiiiiiS1_IjLj3EES5_S5_,comdat
	.globl	_ZL33flash_attn_stream_k_fixup_uniformILi80ELi8ELi8EEvPfPK15HIP_vector_typeIfLj2EEiiiiiiS1_IjLj3EES5_S5_ ; -- Begin function _ZL33flash_attn_stream_k_fixup_uniformILi80ELi8ELi8EEvPfPK15HIP_vector_typeIfLj2EEiiiiiiS1_IjLj3EES5_S5_
	.p2align	8
	.type	_ZL33flash_attn_stream_k_fixup_uniformILi80ELi8ELi8EEvPfPK15HIP_vector_typeIfLj2EEiiiiiiS1_IjLj3EES5_S5_,@function
_ZL33flash_attn_stream_k_fixup_uniformILi80ELi8ELi8EEvPfPK15HIP_vector_typeIfLj2EEiiiiiiS1_IjLj3EES5_S5_: ; @_ZL33flash_attn_stream_k_fixup_uniformILi80ELi8ELi8EEvPfPK15HIP_vector_typeIfLj2EEiiiiiiS1_IjLj3EES5_S5_
; %bb.0:
	s_load_dwordx8 s[8:15], s[0:1], 0x1c
	s_load_dwordx2 s[6:7], s[0:1], 0x10
	s_load_dwordx4 s[16:19], s[0:1], 0x3c
	s_waitcnt lgkmcnt(0)
	s_mul_hi_u32 s5, s11, s2
	s_add_i32 s5, s2, s5
	s_lshr_b32 s5, s5, s12
	s_mul_i32 s11, s5, s13
	s_sub_i32 s12, s2, s11
	s_mul_hi_u32 s11, s12, s14
	s_add_i32 s11, s12, s11
	s_lshr_b32 s11, s11, s15
	s_mul_i32 s13, s11, s16
	s_sub_i32 s12, s12, s13
	;; [unrolled: 5-line block ×3, first 2 shown]
	s_lshl_b32 s12, s16, 3
	s_lshl_b32 s17, s13, 3
	s_add_i32 s12, s12, s3
	s_cmp_lt_i32 s12, s6
	s_cselect_b64 s[12:13], -1, 0
	s_add_i32 s17, s17, s4
	s_cmp_lt_i32 s17, s9
	s_cselect_b64 s[14:15], -1, 0
	s_and_b64 s[12:13], s[12:13], s[14:15]
	s_andn2_b64 vcc, exec, s[12:13]
	s_cbranch_vccnz .LBB11_6
; %bb.1:
	s_load_dwordx4 s[12:15], s[0:1], 0x0
	s_mul_i32 s0, s5, s6
	s_mul_i32 s11, s11, s9
	s_add_i32 s0, s0, s3
	s_mul_i32 s0, s0, s7
	s_add_i32 s5, s17, s11
	;; [unrolled: 2-line block ×3, first 2 shown]
	s_mulk_i32 s1, 0x280
	s_mulk_i32 s0, 0x50
	s_add_i32 s0, s0, s1
	v_add_u32_e32 v4, s0, v0
	s_waitcnt lgkmcnt(0)
	v_mov_b32_e32 v2, s12
	v_mov_b32_e32 v3, s13
	v_ashrrev_i32_e32 v5, 31, v4
	v_lshl_add_u64 v[2:3], v[4:5], 2, v[2:3]
	global_load_dword v5, v[2:3], off
	s_mul_i32 s5, s10, s2
	s_lshl_b32 s11, s3, 3
	s_add_i32 s9, s5, s10
	s_add_i32 s0, s11, s4
	s_lshl_b32 s1, s9, 6
	s_add_i32 s0, s0, s1
	s_sub_i32 s0, s0, 64
	s_ashr_i32 s1, s0, 31
	s_lshl_b64 s[0:1], s[0:1], 3
	s_add_u32 s0, s14, s0
	s_addc_u32 s1, s15, s1
	s_load_dword s12, s[0:1], 0x4
	s_add_i32 s6, s9, -2
	s_cmp_lt_i32 s6, s5
	s_cbranch_scc1 .LBB11_4
; %bb.2:
	s_lshl_b32 s6, s8, 8
	s_ashr_i32 s7, s6, 31
	s_lshl_b64 s[6:7], s[6:7], 2
	s_add_u32 s6, s14, s6
	s_addc_u32 s7, s15, s7
	s_add_i32 s2, s2, 1
	s_load_dword s0, s[0:1], 0x0
	s_mul_i32 s1, s10, s2
	s_lshl_b32 s2, s1, 6
	s_add_i32 s2, s4, s2
	s_mulk_i32 s3, 0x280
	s_mulk_i32 s4, 0x50
	s_lshl_b32 s8, s8, 6
	s_mulk_i32 s1, 0x1400
	s_add_i32 s3, s4, s3
	s_add_i32 s2, s2, s8
	;; [unrolled: 1-line block ×4, first 2 shown]
	v_add_u32_e32 v0, s3, v0
	s_add_i32 s9, s9, -1
	s_addk_i32 s2, 0xff80
	v_add_u32_e32 v0, 0xffffd800, v0
	s_waitcnt lgkmcnt(0)
	v_mov_b32_e32 v7, s0
	v_mov_b32_e32 v4, s12
	s_mov_b32 s4, 0x3fb8aa3b
	s_mov_b32 s8, 0xc2ce8ed0
	;; [unrolled: 1-line block ×3, first 2 shown]
	v_mov_b32_e32 v6, 0x7f800000
	s_mov_b32 s11, 0xc1a00000
.LBB11_3:                               ; =>This Inner Loop Header: Depth=1
	v_ashrrev_i32_e32 v1, 31, v0
	v_lshl_add_u64 v[8:9], v[0:1], 2, s[6:7]
	global_load_dword v9, v[8:9], off
	s_ashr_i32 s3, s2, 31
	s_lshl_b64 s[0:1], s[2:3], 3
	s_add_u32 s0, s14, s0
	s_addc_u32 s1, s15, s1
	s_load_dwordx2 s[0:1], s[0:1], 0x0
	v_max_f32_e32 v1, v7, v7
	s_add_i32 s9, s9, -1
	s_sub_i32 s2, s2, 64
	v_add_u32_e32 v0, 0xffffec00, v0
	s_waitcnt lgkmcnt(0)
	v_max_f32_e64 v10, s0, s0
	v_max_f32_e32 v1, v1, v10
	v_sub_f32_e32 v11, s0, v1
	v_sub_f32_e32 v10, v7, v1
	v_mul_f32_e32 v12, 0x3fb8aa3b, v11
	v_mov_b32_e32 v7, v1
	v_mul_f32_e32 v1, 0x3fb8aa3b, v10
	v_fma_f32 v15, v11, s4, -v12
	v_rndne_f32_e32 v16, v12
	v_fma_f32 v13, v10, s4, -v1
	v_rndne_f32_e32 v14, v1
	v_fmac_f32_e32 v15, 0x32a5705f, v11
	v_sub_f32_e32 v12, v12, v16
	v_fmac_f32_e32 v13, 0x32a5705f, v10
	v_sub_f32_e32 v1, v1, v14
	v_add_f32_e32 v12, v12, v15
	v_cvt_i32_f32_e32 v16, v16
	v_add_f32_e32 v1, v1, v13
	v_exp_f32_e32 v12, v12
	v_cvt_i32_f32_e32 v14, v14
	v_exp_f32_e32 v1, v1
	v_cmp_ngt_f32_e32 vcc, s8, v11
	v_ldexp_f32 v12, v12, v16
	v_mov_b32_e32 v8, s1
	v_ldexp_f32 v1, v1, v14
	v_cmp_ngt_f32_e64 s[0:1], s8, v10
	v_cndmask_b32_e32 v12, 0, v12, vcc
	v_cmp_nlt_f32_e32 vcc, s10, v11
	v_cndmask_b32_e64 v1, 0, v1, s[0:1]
	v_cmp_nlt_f32_e64 s[0:1], s10, v10
	v_cndmask_b32_e32 v12, v6, v12, vcc
	v_cmp_le_f32_e32 vcc, s11, v11
	v_cndmask_b32_e64 v1, v6, v1, s[0:1]
	v_cmp_le_f32_e64 s[0:1], s11, v10
	v_cndmask_b32_e32 v12, 0, v12, vcc
	s_cmp_le_i32 s9, s5
	v_cndmask_b32_e64 v10, 0, v1, s[0:1]
	s_waitcnt vmcnt(0)
	v_pk_mul_f32 v[8:9], v[8:9], v[12:13] op_sel_hi:[1,0]
	s_nop 0
	v_pk_fma_f32 v[4:5], v[4:5], v[10:11], v[8:9] op_sel_hi:[1,0,1]
	s_cbranch_scc0 .LBB11_3
	s_branch .LBB11_5
.LBB11_4:
	s_waitcnt lgkmcnt(0)
	v_mov_b32_e32 v4, s12
.LBB11_5:
	s_waitcnt vmcnt(0)
	v_div_scale_f32 v0, s[0:1], v4, v4, v5
	v_rcp_f32_e32 v1, v0
	v_div_scale_f32 v6, vcc, v5, v4, v5
	v_fma_f32 v7, -v0, v1, 1.0
	v_fmac_f32_e32 v1, v7, v1
	v_mul_f32_e32 v7, v6, v1
	v_fma_f32 v8, -v0, v7, v6
	v_fmac_f32_e32 v7, v8, v1
	v_fma_f32 v0, -v0, v7, v6
	v_div_fmas_f32 v0, v0, v1, v7
	v_div_fixup_f32 v0, v0, v4, v5
	global_store_dword v[2:3], v0, off
.LBB11_6:
	s_endpgm
	.section	.rodata,"a",@progbits
	.p2align	6, 0x0
	.amdhsa_kernel _ZL33flash_attn_stream_k_fixup_uniformILi80ELi8ELi8EEvPfPK15HIP_vector_typeIfLj2EEiiiiiiS1_IjLj3EES5_S5_
		.amdhsa_group_segment_fixed_size 0
		.amdhsa_private_segment_fixed_size 0
		.amdhsa_kernarg_size 76
		.amdhsa_user_sgpr_count 2
		.amdhsa_user_sgpr_dispatch_ptr 0
		.amdhsa_user_sgpr_queue_ptr 0
		.amdhsa_user_sgpr_kernarg_segment_ptr 1
		.amdhsa_user_sgpr_dispatch_id 0
		.amdhsa_user_sgpr_kernarg_preload_length 0
		.amdhsa_user_sgpr_kernarg_preload_offset 0
		.amdhsa_user_sgpr_private_segment_size 0
		.amdhsa_uses_dynamic_stack 0
		.amdhsa_enable_private_segment 0
		.amdhsa_system_sgpr_workgroup_id_x 1
		.amdhsa_system_sgpr_workgroup_id_y 1
		.amdhsa_system_sgpr_workgroup_id_z 1
		.amdhsa_system_sgpr_workgroup_info 0
		.amdhsa_system_vgpr_workitem_id 0
		.amdhsa_next_free_vgpr 17
		.amdhsa_next_free_sgpr 20
		.amdhsa_accum_offset 20
		.amdhsa_reserve_vcc 1
		.amdhsa_float_round_mode_32 0
		.amdhsa_float_round_mode_16_64 0
		.amdhsa_float_denorm_mode_32 3
		.amdhsa_float_denorm_mode_16_64 3
		.amdhsa_dx10_clamp 1
		.amdhsa_ieee_mode 1
		.amdhsa_fp16_overflow 0
		.amdhsa_tg_split 0
		.amdhsa_exception_fp_ieee_invalid_op 0
		.amdhsa_exception_fp_denorm_src 0
		.amdhsa_exception_fp_ieee_div_zero 0
		.amdhsa_exception_fp_ieee_overflow 0
		.amdhsa_exception_fp_ieee_underflow 0
		.amdhsa_exception_fp_ieee_inexact 0
		.amdhsa_exception_int_div_zero 0
	.end_amdhsa_kernel
	.section	.text._ZL33flash_attn_stream_k_fixup_uniformILi80ELi8ELi8EEvPfPK15HIP_vector_typeIfLj2EEiiiiiiS1_IjLj3EES5_S5_,"axG",@progbits,_ZL33flash_attn_stream_k_fixup_uniformILi80ELi8ELi8EEvPfPK15HIP_vector_typeIfLj2EEiiiiiiS1_IjLj3EES5_S5_,comdat
.Lfunc_end11:
	.size	_ZL33flash_attn_stream_k_fixup_uniformILi80ELi8ELi8EEvPfPK15HIP_vector_typeIfLj2EEiiiiiiS1_IjLj3EES5_S5_, .Lfunc_end11-_ZL33flash_attn_stream_k_fixup_uniformILi80ELi8ELi8EEvPfPK15HIP_vector_typeIfLj2EEiiiiiiS1_IjLj3EES5_S5_
                                        ; -- End function
	.set _ZL33flash_attn_stream_k_fixup_uniformILi80ELi8ELi8EEvPfPK15HIP_vector_typeIfLj2EEiiiiiiS1_IjLj3EES5_S5_.num_vgpr, 17
	.set _ZL33flash_attn_stream_k_fixup_uniformILi80ELi8ELi8EEvPfPK15HIP_vector_typeIfLj2EEiiiiiiS1_IjLj3EES5_S5_.num_agpr, 0
	.set _ZL33flash_attn_stream_k_fixup_uniformILi80ELi8ELi8EEvPfPK15HIP_vector_typeIfLj2EEiiiiiiS1_IjLj3EES5_S5_.numbered_sgpr, 20
	.set _ZL33flash_attn_stream_k_fixup_uniformILi80ELi8ELi8EEvPfPK15HIP_vector_typeIfLj2EEiiiiiiS1_IjLj3EES5_S5_.num_named_barrier, 0
	.set _ZL33flash_attn_stream_k_fixup_uniformILi80ELi8ELi8EEvPfPK15HIP_vector_typeIfLj2EEiiiiiiS1_IjLj3EES5_S5_.private_seg_size, 0
	.set _ZL33flash_attn_stream_k_fixup_uniformILi80ELi8ELi8EEvPfPK15HIP_vector_typeIfLj2EEiiiiiiS1_IjLj3EES5_S5_.uses_vcc, 1
	.set _ZL33flash_attn_stream_k_fixup_uniformILi80ELi8ELi8EEvPfPK15HIP_vector_typeIfLj2EEiiiiiiS1_IjLj3EES5_S5_.uses_flat_scratch, 0
	.set _ZL33flash_attn_stream_k_fixup_uniformILi80ELi8ELi8EEvPfPK15HIP_vector_typeIfLj2EEiiiiiiS1_IjLj3EES5_S5_.has_dyn_sized_stack, 0
	.set _ZL33flash_attn_stream_k_fixup_uniformILi80ELi8ELi8EEvPfPK15HIP_vector_typeIfLj2EEiiiiiiS1_IjLj3EES5_S5_.has_recursion, 0
	.set _ZL33flash_attn_stream_k_fixup_uniformILi80ELi8ELi8EEvPfPK15HIP_vector_typeIfLj2EEiiiiiiS1_IjLj3EES5_S5_.has_indirect_call, 0
	.section	.AMDGPU.csdata,"",@progbits
; Kernel info:
; codeLenInByte = 832
; TotalNumSgprs: 26
; NumVgprs: 17
; NumAgprs: 0
; TotalNumVgprs: 17
; ScratchSize: 0
; MemoryBound: 0
; FloatMode: 240
; IeeeMode: 1
; LDSByteSize: 0 bytes/workgroup (compile time only)
; SGPRBlocks: 3
; VGPRBlocks: 2
; NumSGPRsForWavesPerEU: 26
; NumVGPRsForWavesPerEU: 17
; AccumOffset: 20
; Occupancy: 8
; WaveLimiterHint : 0
; COMPUTE_PGM_RSRC2:SCRATCH_EN: 0
; COMPUTE_PGM_RSRC2:USER_SGPR: 2
; COMPUTE_PGM_RSRC2:TRAP_HANDLER: 0
; COMPUTE_PGM_RSRC2:TGID_X_EN: 1
; COMPUTE_PGM_RSRC2:TGID_Y_EN: 1
; COMPUTE_PGM_RSRC2:TGID_Z_EN: 1
; COMPUTE_PGM_RSRC2:TIDIG_COMP_CNT: 0
; COMPUTE_PGM_RSRC3_GFX90A:ACCUM_OFFSET: 4
; COMPUTE_PGM_RSRC3_GFX90A:TG_SPLIT: 0
	.section	.text._ZL33flash_attn_stream_k_fixup_generalILi80ELi8ELi8EEvPfPK15HIP_vector_typeIfLj2EEiiiiS1_IjLj3EES5_S5_S5_,"axG",@progbits,_ZL33flash_attn_stream_k_fixup_generalILi80ELi8ELi8EEvPfPK15HIP_vector_typeIfLj2EEiiiiS1_IjLj3EES5_S5_S5_,comdat
	.globl	_ZL33flash_attn_stream_k_fixup_generalILi80ELi8ELi8EEvPfPK15HIP_vector_typeIfLj2EEiiiiS1_IjLj3EES5_S5_S5_ ; -- Begin function _ZL33flash_attn_stream_k_fixup_generalILi80ELi8ELi8EEvPfPK15HIP_vector_typeIfLj2EEiiiiS1_IjLj3EES5_S5_S5_
	.p2align	8
	.type	_ZL33flash_attn_stream_k_fixup_generalILi80ELi8ELi8EEvPfPK15HIP_vector_typeIfLj2EEiiiiS1_IjLj3EES5_S5_S5_,@function
_ZL33flash_attn_stream_k_fixup_generalILi80ELi8ELi8EEvPfPK15HIP_vector_typeIfLj2EEiiiiS1_IjLj3EES5_S5_S5_: ; @_ZL33flash_attn_stream_k_fixup_generalILi80ELi8ELi8EEvPfPK15HIP_vector_typeIfLj2EEiiiiS1_IjLj3EES5_S5_S5_
; %bb.0:
	s_load_dwordx4 s[8:11], s[0:1], 0x10
	s_load_dword s22, s[0:1], 0x50
	s_mov_b32 s12, 0
	s_waitcnt lgkmcnt(0)
	s_mul_hi_i32 s13, s11, s2
	s_cmp_lg_u64 s[12:13], 0
	s_mul_i32 s5, s11, s2
	s_cbranch_scc0 .LBB12_20
; %bb.1:
	s_add_u32 s6, s22, 0
	s_addc_u32 s7, 0, 0
	s_xor_b64 s[6:7], s[6:7], 0
	v_cvt_f32_u32_e32 v1, s6
	v_cvt_f32_u32_e32 v2, s7
	s_sub_u32 s12, 0, s6
	s_subb_u32 s18, 0, s7
	v_fmamk_f32 v1, v2, 0x4f800000, v1
	v_rcp_f32_e32 v1, v1
	s_nop 0
	v_mul_f32_e32 v1, 0x5f7ffffc, v1
	v_mul_f32_e32 v2, 0x2f800000, v1
	v_trunc_f32_e32 v2, v2
	v_fmamk_f32 v1, v2, 0xcf800000, v1
	v_cvt_u32_f32_e32 v2, v2
	v_cvt_u32_f32_e32 v1, v1
	v_readfirstlane_b32 s19, v2
	v_readfirstlane_b32 s14, v1
	s_mul_i32 s15, s12, s19
	s_mul_hi_u32 s21, s12, s14
	s_mul_i32 s20, s18, s14
	s_add_i32 s15, s21, s15
	s_add_i32 s15, s15, s20
	s_mul_i32 s23, s12, s14
	s_mul_i32 s21, s14, s15
	s_mul_hi_u32 s24, s14, s23
	s_mul_hi_u32 s20, s14, s15
	s_add_u32 s21, s24, s21
	s_addc_u32 s20, 0, s20
	s_mul_hi_u32 s25, s19, s23
	s_mul_i32 s23, s19, s23
	s_add_u32 s21, s21, s23
	s_mul_hi_u32 s24, s19, s15
	s_addc_u32 s20, s20, s25
	s_addc_u32 s21, s24, 0
	s_mul_i32 s15, s19, s15
	s_add_u32 s15, s20, s15
	s_addc_u32 s20, 0, s21
	s_add_u32 s21, s14, s15
	s_cselect_b64 s[14:15], -1, 0
	s_cmp_lg_u64 s[14:15], 0
	s_addc_u32 s19, s19, s20
	s_mul_i32 s14, s12, s19
	s_mul_hi_u32 s15, s12, s21
	s_add_i32 s14, s15, s14
	s_mul_i32 s18, s18, s21
	s_add_i32 s14, s14, s18
	s_mul_i32 s12, s12, s21
	s_mul_hi_u32 s18, s19, s12
	s_mul_i32 s20, s19, s12
	s_mul_i32 s24, s21, s14
	s_mul_hi_u32 s12, s21, s12
	s_mul_hi_u32 s23, s21, s14
	s_add_u32 s12, s12, s24
	s_addc_u32 s23, 0, s23
	s_add_u32 s12, s12, s20
	s_mul_hi_u32 s15, s19, s14
	s_addc_u32 s12, s23, s18
	s_addc_u32 s15, s15, 0
	s_mul_i32 s14, s19, s14
	s_add_u32 s12, s12, s14
	s_addc_u32 s18, 0, s15
	s_add_u32 s20, s21, s12
	s_cselect_b64 s[14:15], -1, 0
	s_cmp_lg_u64 s[14:15], 0
	s_addc_u32 s18, s19, s18
	s_ashr_i32 s14, s13, 31
	s_add_u32 s12, s5, s14
	s_mov_b32 s15, s14
	s_addc_u32 s13, s13, s14
	s_xor_b64 s[12:13], s[12:13], s[14:15]
	s_mul_i32 s21, s12, s18
	s_mul_hi_u32 s23, s12, s20
	s_mul_hi_u32 s19, s12, s18
	s_add_u32 s21, s23, s21
	s_addc_u32 s19, 0, s19
	s_mul_hi_u32 s24, s13, s20
	s_mul_i32 s20, s13, s20
	s_add_u32 s20, s21, s20
	s_mul_hi_u32 s23, s13, s18
	s_addc_u32 s19, s19, s24
	s_addc_u32 s20, s23, 0
	s_mul_i32 s18, s13, s18
	s_add_u32 s23, s19, s18
	s_addc_u32 s24, 0, s20
	s_mul_i32 s18, s6, s24
	s_mul_hi_u32 s19, s6, s23
	s_add_i32 s18, s19, s18
	s_mul_i32 s19, s7, s23
	s_add_i32 s25, s18, s19
	s_sub_i32 s20, s13, s25
	s_mul_i32 s18, s6, s23
	s_sub_u32 s12, s12, s18
	s_cselect_b64 s[18:19], -1, 0
	s_cmp_lg_u64 s[18:19], 0
	s_subb_u32 s26, s20, s7
	s_sub_u32 s27, s12, s6
	s_cselect_b64 s[20:21], -1, 0
	s_cmp_lg_u64 s[20:21], 0
	s_subb_u32 s20, s26, 0
	s_cmp_ge_u32 s20, s7
	s_cselect_b32 s21, -1, 0
	s_cmp_ge_u32 s27, s6
	s_cselect_b32 s26, -1, 0
	s_cmp_eq_u32 s20, s7
	s_cselect_b32 s20, s26, s21
	s_add_u32 s21, s23, 1
	s_addc_u32 s26, s24, 0
	s_add_u32 s27, s23, 2
	s_addc_u32 s28, s24, 0
	s_cmp_lg_u32 s20, 0
	s_cselect_b32 s20, s27, s21
	s_cselect_b32 s21, s28, s26
	s_cmp_lg_u64 s[18:19], 0
	s_subb_u32 s13, s13, s25
	s_cmp_ge_u32 s13, s7
	s_cselect_b32 s18, -1, 0
	s_cmp_ge_u32 s12, s6
	s_cselect_b32 s6, -1, 0
	s_cmp_eq_u32 s13, s7
	s_cselect_b32 s6, s6, s18
	s_cmp_lg_u32 s6, 0
	s_cselect_b32 s7, s21, s24
	s_cselect_b32 s6, s20, s23
	s_xor_b64 s[12:13], s[14:15], 0
	s_xor_b64 s[6:7], s[6:7], s[12:13]
	s_sub_u32 s6, s6, s12
	s_load_dwordx4 s[12:15], s[0:1], 0x44
	s_cbranch_execnz .LBB12_3
.LBB12_2:
	v_cvt_f32_u32_e32 v1, s22
	s_sub_i32 s6, 0, s22
	v_rcp_iflag_f32_e32 v1, v1
	s_nop 0
	v_mul_f32_e32 v1, 0x4f7ffffe, v1
	v_cvt_u32_f32_e32 v1, v1
	s_nop 0
	v_readfirstlane_b32 s7, v1
	s_mul_i32 s6, s6, s7
	s_mul_hi_u32 s6, s7, s6
	s_add_i32 s7, s7, s6
	s_mul_hi_u32 s6, s5, s7
	s_waitcnt lgkmcnt(0)
	s_mul_i32 s15, s6, s22
	s_sub_i32 s5, s5, s15
	s_add_i32 s7, s6, 1
	s_sub_i32 s15, s5, s22
	s_cmp_ge_u32 s5, s22
	s_cselect_b32 s6, s7, s6
	s_cselect_b32 s5, s15, s5
	s_add_i32 s7, s6, 1
	s_cmp_ge_u32 s5, s22
	s_cselect_b32 s6, s7, s6
.LBB12_3:
	s_add_i32 s5, s2, 1
	s_mul_hi_i32 s21, s11, s5
	s_mov_b32 s20, 0
	s_cmp_lg_u64 s[20:21], 0
	s_mul_i32 s5, s11, s5
	s_cbranch_scc0 .LBB12_21
; %bb.4:
	s_add_u32 s16, s22, 0
	s_addc_u32 s17, 0, 0
	s_xor_b64 s[18:19], s[16:17], 0
	v_cvt_f32_u32_e32 v1, s18
	v_cvt_f32_u32_e32 v2, s19
	s_sub_u32 s7, 0, s18
	s_waitcnt lgkmcnt(0)
	s_subb_u32 s15, 0, s19
	v_fmamk_f32 v1, v2, 0x4f800000, v1
	v_rcp_f32_e32 v1, v1
	s_nop 0
	v_mul_f32_e32 v1, 0x5f7ffffc, v1
	v_mul_f32_e32 v2, 0x2f800000, v1
	v_trunc_f32_e32 v2, v2
	v_fmamk_f32 v1, v2, 0xcf800000, v1
	v_cvt_u32_f32_e32 v2, v2
	v_cvt_u32_f32_e32 v1, v1
	v_readfirstlane_b32 s20, v2
	v_readfirstlane_b32 s23, v1
	s_mul_i32 s24, s7, s20
	s_mul_hi_u32 s26, s7, s23
	s_mul_i32 s25, s15, s23
	s_add_i32 s24, s26, s24
	s_add_i32 s24, s24, s25
	s_mul_i32 s27, s7, s23
	s_mul_i32 s26, s23, s24
	s_mul_hi_u32 s28, s23, s27
	s_mul_hi_u32 s25, s23, s24
	s_add_u32 s26, s28, s26
	s_addc_u32 s25, 0, s25
	s_mul_hi_u32 s29, s20, s27
	s_mul_i32 s27, s20, s27
	s_add_u32 s26, s26, s27
	s_mul_hi_u32 s28, s20, s24
	s_addc_u32 s25, s25, s29
	s_addc_u32 s26, s28, 0
	s_mul_i32 s24, s20, s24
	s_add_u32 s24, s25, s24
	s_addc_u32 s26, 0, s26
	s_add_u32 s23, s23, s24
	s_cselect_b64 s[24:25], -1, 0
	s_cmp_lg_u64 s[24:25], 0
	s_addc_u32 s20, s20, s26
	s_mul_i32 s24, s7, s20
	s_mul_hi_u32 s25, s7, s23
	s_add_i32 s24, s25, s24
	s_mul_i32 s15, s15, s23
	s_add_i32 s24, s24, s15
	s_mul_i32 s7, s7, s23
	s_mul_hi_u32 s25, s20, s7
	s_mul_i32 s26, s20, s7
	s_mul_i32 s28, s23, s24
	s_mul_hi_u32 s7, s23, s7
	s_mul_hi_u32 s27, s23, s24
	s_add_u32 s7, s7, s28
	s_addc_u32 s27, 0, s27
	s_add_u32 s7, s7, s26
	s_mul_hi_u32 s15, s20, s24
	s_addc_u32 s7, s27, s25
	s_addc_u32 s15, s15, 0
	s_mul_i32 s24, s20, s24
	s_add_u32 s7, s7, s24
	s_addc_u32 s15, 0, s15
	s_add_u32 s7, s23, s7
	s_cselect_b64 s[24:25], -1, 0
	s_cmp_lg_u64 s[24:25], 0
	s_addc_u32 s15, s20, s15
	s_ashr_i32 s24, s21, 31
	s_add_u32 s20, s5, s24
	s_mov_b32 s25, s24
	s_addc_u32 s21, s21, s24
	s_xor_b64 s[20:21], s[20:21], s[24:25]
	s_mul_i32 s26, s20, s15
	s_mul_hi_u32 s27, s20, s7
	s_mul_hi_u32 s23, s20, s15
	s_add_u32 s26, s27, s26
	s_addc_u32 s23, 0, s23
	s_mul_hi_u32 s28, s21, s7
	s_mul_i32 s7, s21, s7
	s_add_u32 s7, s26, s7
	s_mul_hi_u32 s27, s21, s15
	s_addc_u32 s7, s23, s28
	s_addc_u32 s23, s27, 0
	s_mul_i32 s15, s21, s15
	s_add_u32 s7, s7, s15
	s_addc_u32 s15, 0, s23
	s_mul_i32 s23, s18, s15
	s_mul_hi_u32 s26, s18, s7
	s_add_i32 s23, s26, s23
	s_mul_i32 s26, s19, s7
	s_add_i32 s23, s23, s26
	s_sub_i32 s28, s21, s23
	s_mul_i32 s26, s18, s7
	s_sub_u32 s20, s20, s26
	s_cselect_b64 s[26:27], -1, 0
	s_cmp_lg_u64 s[26:27], 0
	s_subb_u32 s30, s28, s19
	s_sub_u32 s31, s20, s18
	s_cselect_b64 s[28:29], -1, 0
	s_cmp_lg_u64 s[28:29], 0
	s_subb_u32 s28, s30, 0
	s_cmp_ge_u32 s28, s19
	s_cselect_b32 s29, -1, 0
	s_cmp_ge_u32 s31, s18
	s_cselect_b32 s30, -1, 0
	s_cmp_eq_u32 s28, s19
	s_cselect_b32 s28, s30, s29
	s_add_u32 s29, s7, 1
	s_addc_u32 s30, s15, 0
	s_add_u32 s31, s7, 2
	s_addc_u32 s33, s15, 0
	s_cmp_lg_u32 s28, 0
	s_cselect_b32 s28, s31, s29
	s_cselect_b32 s29, s33, s30
	s_cmp_lg_u64 s[26:27], 0
	s_subb_u32 s21, s21, s23
	s_cmp_ge_u32 s21, s19
	s_cselect_b32 s23, -1, 0
	s_cmp_ge_u32 s20, s18
	s_cselect_b32 s18, -1, 0
	s_cmp_eq_u32 s21, s19
	s_cselect_b32 s18, s18, s23
	s_cmp_lg_u32 s18, 0
	s_cselect_b32 s19, s29, s15
	s_cselect_b32 s18, s28, s7
	s_xor_b64 s[20:21], s[24:25], 0
	s_xor_b64 s[18:19], s[18:19], s[20:21]
	s_sub_u32 s18, s18, s20
	s_cbranch_execnz .LBB12_6
.LBB12_5:
	v_cvt_f32_u32_e32 v1, s22
	s_sub_i32 s7, 0, s22
	v_rcp_iflag_f32_e32 v1, v1
	s_nop 0
	v_mul_f32_e32 v1, 0x4f7ffffe, v1
	v_cvt_u32_f32_e32 v1, v1
	s_waitcnt lgkmcnt(0)
	v_readfirstlane_b32 s15, v1
	s_mul_i32 s7, s7, s15
	s_mul_hi_u32 s7, s15, s7
	s_add_i32 s15, s15, s7
	s_mul_hi_u32 s7, s5, s15
	s_mul_i32 s16, s7, s22
	s_sub_i32 s5, s5, s16
	s_add_i32 s15, s7, 1
	s_sub_i32 s16, s5, s22
	s_cmp_ge_u32 s5, s22
	s_cselect_b32 s7, s15, s7
	s_cselect_b32 s5, s16, s5
	s_add_i32 s15, s7, 1
	s_cmp_ge_u32 s5, s22
	s_cselect_b32 s18, s15, s7
.LBB12_6:
	s_cmp_eq_u32 s6, s18
	s_waitcnt lgkmcnt(0)
	s_mul_hi_u32 s5, s6, s12
	s_cselect_b64 s[16:17], -1, 0
	s_add_i32 s5, s5, s6
	s_lshr_b32 s7, s5, s13
	s_mul_i32 s5, s7, s14
	s_cmp_eq_u32 s5, s6
	s_mul_hi_u32 s5, s18, s12
	s_cselect_b64 s[20:21], -1, 0
	s_add_i32 s5, s5, s18
	s_lshr_b32 s5, s5, s13
	s_cmp_eq_u32 s7, s5
	s_mul_i32 s5, s5, s14
	s_cselect_b64 s[24:25], -1, 0
	s_cmp_lg_u32 s5, s18
	s_cselect_b64 s[18:19], -1, 0
	s_and_b64 s[18:19], s[24:25], s[18:19]
	s_or_b64 s[16:17], s[16:17], s[20:21]
	s_or_b64 s[16:17], s[16:17], s[18:19]
	s_and_b64 vcc, exec, s[16:17]
	s_cbranch_vccnz .LBB12_23
; %bb.7:
	s_load_dwordx8 s[24:31], s[0:1], 0x20
	s_load_dword s5, s[0:1], 0x40
	s_waitcnt lgkmcnt(0)
	s_mul_hi_u32 s15, s6, s24
	s_add_i32 s15, s15, s6
	s_lshr_b32 s20, s15, s25
	s_mul_i32 s15, s20, s26
	s_sub_i32 s15, s6, s15
	s_mul_hi_u32 s16, s15, s27
	s_add_i32 s16, s15, s16
	s_lshr_b32 s21, s16, s28
	s_mul_i32 s16, s21, s29
	s_sub_i32 s15, s15, s16
	;; [unrolled: 5-line block ×3, first 2 shown]
	s_mul_hi_u32 s15, s5, s12
	s_add_i32 s5, s5, s15
	s_lshr_b32 s23, s5, s13
	s_lshl_b32 s5, s23, 3
	s_lshl_b32 s24, s16, 3
	s_add_i32 s5, s5, s3
	s_cmp_lt_i32 s5, s8
	s_cselect_b64 s[16:17], -1, 0
	s_add_i32 s24, s24, s4
	s_cmp_lt_i32 s24, s10
	s_cselect_b64 s[18:19], -1, 0
	s_and_b64 s[16:17], s[16:17], s[18:19]
	s_andn2_b64 vcc, exec, s[16:17]
	s_cbranch_vccnz .LBB12_23
; %bb.8:
	s_load_dwordx4 s[16:19], s[0:1], 0x0
	s_mov_b32 s0, 0
	s_lshl_b32 s15, s3, 3
	s_lshl_b32 s26, s22, 8
	s_mov_b32 s27, s0
	s_add_i32 s15, s15, s4
	s_lshl_b64 s[4:5], s[26:27], 2
	s_waitcnt lgkmcnt(0)
	s_add_u32 s4, s18, s4
	s_mul_i32 s1, s20, s8
	s_addc_u32 s5, s19, s5
	s_mul_i32 s21, s21, s10
	s_add_i32 s1, s1, s3
	s_mul_i32 s1, s1, s9
	s_add_i32 s3, s24, s21
	;; [unrolled: 2-line block ×3, first 2 shown]
	s_mulk_i32 s8, 0x280
	s_mulk_i32 s1, 0x50
	s_add_i32 s8, s8, s1
	v_add_u32_e32 v4, s8, v0
	v_mov_b32_e32 v2, s16
	v_mov_b32_e32 v3, s17
	v_ashrrev_i32_e32 v5, 31, v4
	v_lshl_add_u64 v[2:3], v[4:5], 2, v[2:3]
	global_load_dword v1, v[2:3], off
	v_cvt_f32_u32_e32 v4, s22
	s_lshl_b32 s1, s2, 6
	s_add_i32 s8, s15, s1
	s_ashr_i32 s9, s8, 31
	s_lshl_b64 s[8:9], s[8:9], 3
	v_rcp_iflag_f32_e32 v4, v4
	s_add_u32 s8, s18, s8
	s_addc_u32 s9, s19, s9
	s_load_dwordx2 s[8:9], s[8:9], 0x0
	v_mul_f32_e32 v4, 0x4f7ffffe, v4
	v_cvt_u32_f32_e32 v7, v4
	s_mul_i32 s1, s15, 0x50
	s_add_i32 s21, s2, -1
	v_add_u32_e32 v6, s1, v0
	s_waitcnt lgkmcnt(0)
	v_mov_b32_e32 v0, s9
	v_mov_b32_e32 v9, s8
	s_mov_b32 s10, 0x3fb8aa3b
	s_mov_b32 s20, 0xc2ce8ed0
	;; [unrolled: 1-line block ×4, first 2 shown]
	v_mov_b32_e32 v8, 0x7f800000
	s_mul_hi_i32 s1, s21, s11
	s_cmp_lg_u64 s[0:1], 0
	s_mul_i32 s16, s21, s11
	s_cbranch_scc0 .LBB12_19
.LBB12_9:
	s_add_u32 s2, s22, 0
	s_addc_u32 s3, 0, 0
	s_xor_b64 s[2:3], s[2:3], 0
	v_cvt_f32_u32_e32 v4, s2
	v_cvt_f32_u32_e32 v5, s3
	s_sub_u32 s17, 0, s2
	s_subb_u32 s25, 0, s3
	v_fmac_f32_e32 v4, 0x4f800000, v5
	v_rcp_f32_e32 v4, v4
	s_nop 0
	v_mul_f32_e32 v4, 0x5f7ffffc, v4
	v_mul_f32_e32 v5, 0x2f800000, v4
	v_trunc_f32_e32 v5, v5
	v_fmac_f32_e32 v4, 0xcf800000, v5
	v_cvt_u32_f32_e32 v5, v5
	v_cvt_u32_f32_e32 v4, v4
	v_readfirstlane_b32 s26, v5
	v_readfirstlane_b32 s8, v4
	s_mul_i32 s9, s17, s26
	s_mul_hi_u32 s28, s17, s8
	s_mul_i32 s27, s25, s8
	s_add_i32 s9, s28, s9
	s_mul_i32 s29, s17, s8
	s_add_i32 s9, s9, s27
	s_mul_i32 s28, s8, s9
	s_mul_hi_u32 s30, s8, s29
	s_mul_hi_u32 s27, s8, s9
	s_add_u32 s28, s30, s28
	s_addc_u32 s27, 0, s27
	s_mul_hi_u32 s31, s26, s29
	s_mul_i32 s29, s26, s29
	s_add_u32 s28, s28, s29
	s_mul_hi_u32 s30, s26, s9
	s_addc_u32 s27, s27, s31
	s_addc_u32 s28, s30, 0
	s_mul_i32 s9, s26, s9
	s_add_u32 s9, s27, s9
	s_addc_u32 s27, 0, s28
	s_add_u32 s28, s8, s9
	s_cselect_b64 s[8:9], -1, 0
	s_cmp_lg_u64 s[8:9], 0
	s_addc_u32 s26, s26, s27
	s_mul_i32 s8, s17, s26
	s_mul_hi_u32 s9, s17, s28
	s_add_i32 s8, s9, s8
	s_mul_i32 s25, s25, s28
	s_add_i32 s8, s8, s25
	s_mul_i32 s17, s17, s28
	s_mul_hi_u32 s25, s26, s17
	s_mul_i32 s27, s26, s17
	s_mul_i32 s30, s28, s8
	s_mul_hi_u32 s17, s28, s17
	s_mul_hi_u32 s29, s28, s8
	s_add_u32 s17, s17, s30
	s_addc_u32 s29, 0, s29
	s_add_u32 s17, s17, s27
	s_mul_hi_u32 s9, s26, s8
	s_addc_u32 s17, s29, s25
	s_addc_u32 s9, s9, 0
	s_mul_i32 s8, s26, s8
	s_add_u32 s8, s17, s8
	s_addc_u32 s17, 0, s9
	s_add_u32 s25, s28, s8
	s_cselect_b64 s[8:9], -1, 0
	s_cmp_lg_u64 s[8:9], 0
	s_addc_u32 s17, s26, s17
	s_ashr_i32 s8, s1, 31
	s_add_u32 s26, s16, s8
	s_mov_b32 s9, s8
	s_addc_u32 s27, s1, s8
	s_xor_b64 s[26:27], s[26:27], s[8:9]
	s_mul_i32 s28, s26, s17
	s_mul_hi_u32 s29, s26, s25
	s_mul_hi_u32 s1, s26, s17
	s_add_u32 s28, s29, s28
	s_addc_u32 s1, 0, s1
	s_mul_hi_u32 s30, s27, s25
	s_mul_i32 s25, s27, s25
	s_add_u32 s25, s28, s25
	s_mul_hi_u32 s29, s27, s17
	s_addc_u32 s1, s1, s30
	s_addc_u32 s25, s29, 0
	s_mul_i32 s17, s27, s17
	s_add_u32 s1, s1, s17
	s_addc_u32 s17, 0, s25
	s_mul_i32 s25, s2, s17
	s_mul_hi_u32 s28, s2, s1
	s_add_i32 s25, s28, s25
	s_mul_i32 s28, s3, s1
	s_add_i32 s25, s25, s28
	s_sub_i32 s30, s27, s25
	s_mul_i32 s28, s2, s1
	s_sub_u32 s26, s26, s28
	s_cselect_b64 s[28:29], -1, 0
	s_cmp_lg_u64 s[28:29], 0
	s_subb_u32 s33, s30, s3
	s_sub_u32 s34, s26, s2
	s_cselect_b64 s[30:31], -1, 0
	s_cmp_lg_u64 s[30:31], 0
	s_subb_u32 s30, s33, 0
	s_cmp_ge_u32 s30, s3
	s_cselect_b32 s31, -1, 0
	s_cmp_ge_u32 s34, s2
	s_cselect_b32 s33, -1, 0
	s_cmp_eq_u32 s30, s3
	s_cselect_b32 s30, s33, s31
	s_add_u32 s31, s1, 1
	s_addc_u32 s33, s17, 0
	s_add_u32 s34, s1, 2
	s_addc_u32 s35, s17, 0
	s_cmp_lg_u32 s30, 0
	s_cselect_b32 s30, s34, s31
	s_cselect_b32 s31, s35, s33
	s_cmp_lg_u64 s[28:29], 0
	s_subb_u32 s25, s27, s25
	s_cmp_ge_u32 s25, s3
	s_cselect_b32 s27, -1, 0
	s_cmp_ge_u32 s26, s2
	s_cselect_b32 s2, -1, 0
	s_cmp_eq_u32 s25, s3
	s_cselect_b32 s2, s2, s27
	s_cmp_lg_u32 s2, 0
	s_cselect_b32 s3, s31, s17
	s_cselect_b32 s2, s30, s1
	s_xor_b64 s[8:9], s[8:9], 0
	s_xor_b64 s[2:3], s[2:3], s[8:9]
	s_sub_u32 s8, s2, s8
	s_cbranch_execnz .LBB12_11
.LBB12_10:
	s_sub_i32 s1, 0, s22
	v_readfirstlane_b32 s2, v7
	s_mul_i32 s1, s1, s2
	s_mul_hi_u32 s1, s2, s1
	s_add_i32 s2, s2, s1
	s_mul_hi_u32 s1, s16, s2
	s_mul_i32 s3, s1, s22
	s_sub_i32 s3, s16, s3
	s_add_i32 s2, s1, 1
	s_sub_i32 s8, s3, s22
	s_cmp_ge_u32 s3, s22
	s_cselect_b32 s1, s2, s1
	s_cselect_b32 s3, s8, s3
	s_add_i32 s2, s1, 1
	s_cmp_ge_u32 s3, s22
	s_cselect_b32 s8, s2, s1
.LBB12_11:
	s_cmp_lg_u32 s6, s8
	s_cbranch_scc0 .LBB12_15
; %bb.12:
	s_add_i32 s1, s21, s22
	s_lshl_b32 s1, s1, 6
	s_add_i32 s2, s1, s15
	s_mov_b32 s3, s0
	s_lshl_b64 s[2:3], s[2:3], 3
	s_add_u32 s16, s18, s2
	s_mul_hi_u32 s1, s8, s12
	s_addc_u32 s17, s19, s3
	s_add_i32 s1, s1, s8
	s_lshr_b32 s1, s1, s13
	s_mul_i32 s2, s1, s14
	s_cmp_eq_u32 s2, s8
	s_cselect_b64 s[2:3], -1, 0
	s_cmp_lt_u32 s1, s7
	s_cselect_b64 s[26:27], -1, 0
	s_or_b64 s[26:27], s[26:27], s[2:3]
	s_mov_b64 s[2:3], -1
	s_and_b64 vcc, exec, s[26:27]
	s_mov_b32 s1, s21
	s_mov_b32 s25, s6
	s_cbranch_vccnz .LBB12_14
; %bb.13:
	s_add_i32 s1, s21, -1
	s_mov_b64 s[2:3], 0
	s_mov_b32 s25, s8
.LBB12_14:
	s_mul_i32 s8, s21, 0x1400
	v_add_u32_e32 v4, s8, v6
	v_ashrrev_i32_e32 v5, 31, v4
	v_lshl_add_u64 v[4:5], v[4:5], 2, s[4:5]
	global_load_dword v5, v[4:5], off
	s_load_dwordx2 s[8:9], s[16:17], 0x0
	v_max_f32_e32 v4, v9, v9
	s_waitcnt lgkmcnt(0)
	v_max_f32_e64 v10, s8, s8
	v_max_f32_e32 v10, v4, v10
	v_sub_f32_e32 v11, v9, v10
	v_sub_f32_e32 v13, s8, v10
	v_mul_f32_e32 v4, 0x3fb8aa3b, v11
	v_mul_f32_e32 v12, 0x3fb8aa3b, v13
	v_fma_f32 v14, v11, s10, -v4
	v_rndne_f32_e32 v15, v4
	v_fma_f32 v16, v13, s10, -v12
	v_rndne_f32_e32 v17, v12
	v_fmac_f32_e32 v14, 0x32a5705f, v11
	v_sub_f32_e32 v4, v4, v15
	v_fmac_f32_e32 v16, 0x32a5705f, v13
	v_sub_f32_e32 v12, v12, v17
	v_add_f32_e32 v4, v4, v14
	v_cvt_i32_f32_e32 v15, v15
	v_add_f32_e32 v12, v12, v16
	v_exp_f32_e32 v14, v4
	v_cvt_i32_f32_e32 v17, v17
	v_exp_f32_e32 v12, v12
	v_cmp_ngt_f32_e32 vcc, s20, v11
	v_ldexp_f32 v14, v14, v15
	v_mov_b32_e32 v4, s9
	v_ldexp_f32 v12, v12, v17
	v_cndmask_b32_e32 v14, 0, v14, vcc
	v_cmp_ngt_f32_e32 vcc, s20, v13
	s_nop 1
	v_cndmask_b32_e32 v12, 0, v12, vcc
	v_cmp_nlt_f32_e32 vcc, s23, v11
	s_nop 1
	v_cndmask_b32_e32 v14, v8, v14, vcc
	v_cmp_nlt_f32_e32 vcc, s23, v13
	s_nop 1
	v_cndmask_b32_e32 v15, v8, v12, vcc
	v_cmp_le_f32_e32 vcc, s24, v11
	s_nop 1
	v_cndmask_b32_e32 v12, 0, v14, vcc
	v_cmp_le_f32_e32 vcc, s24, v13
	s_nop 1
	v_cndmask_b32_e32 v14, 0, v15, vcc
	s_waitcnt vmcnt(0)
	v_pk_mul_f32 v[4:5], v[4:5], v[14:15] op_sel_hi:[1,0]
	s_nop 0
	v_pk_fma_f32 v[4:5], v[0:1], v[12:13], v[4:5] op_sel_hi:[1,0,1]
	s_cbranch_execz .LBB12_16
	s_branch .LBB12_17
.LBB12_15:
                                        ; implicit-def: $vgpr4_vgpr5
                                        ; implicit-def: $sgpr2_sgpr3
                                        ; implicit-def: $vgpr10
                                        ; implicit-def: $sgpr1
                                        ; implicit-def: $sgpr25
.LBB12_16:
	s_add_i32 s1, s21, -1
	s_mov_b64 s[2:3], 0
	s_mov_b32 s25, s6
	v_mov_b32_e32 v10, v9
	s_waitcnt vmcnt(0)
	v_mov_b64_e32 v[4:5], v[0:1]
.LBB12_17:
	s_andn2_b64 vcc, exec, s[2:3]
	s_cbranch_vccz .LBB12_22
; %bb.18:
	s_mov_b32 s6, s25
	s_mov_b32 s21, s1
	v_mov_b32_e32 v9, v10
	s_waitcnt vmcnt(0)
	v_mov_b64_e32 v[0:1], v[4:5]
	s_mul_hi_i32 s1, s21, s11
	s_cmp_lg_u64 s[0:1], 0
	s_mul_i32 s16, s21, s11
	s_cbranch_scc1 .LBB12_9
.LBB12_19:
                                        ; implicit-def: $sgpr8_sgpr9
	s_branch .LBB12_10
.LBB12_20:
                                        ; implicit-def: $sgpr6_sgpr7
	s_load_dwordx4 s[12:15], s[0:1], 0x44
	s_branch .LBB12_2
.LBB12_21:
                                        ; implicit-def: $sgpr18_sgpr19
	s_branch .LBB12_5
.LBB12_22:
	v_div_scale_f32 v0, s[0:1], v4, v4, v5
	s_waitcnt vmcnt(0)
	v_rcp_f32_e32 v1, v0
	v_div_scale_f32 v6, vcc, v5, v4, v5
	v_fma_f32 v7, -v0, v1, 1.0
	v_fmac_f32_e32 v1, v7, v1
	v_mul_f32_e32 v7, v6, v1
	v_fma_f32 v8, -v0, v7, v6
	v_fmac_f32_e32 v7, v8, v1
	v_fma_f32 v0, -v0, v7, v6
	v_div_fmas_f32 v0, v0, v1, v7
	v_div_fixup_f32 v0, v0, v4, v5
	global_store_dword v[2:3], v0, off
.LBB12_23:
	s_endpgm
	.section	.rodata,"a",@progbits
	.p2align	6, 0x0
	.amdhsa_kernel _ZL33flash_attn_stream_k_fixup_generalILi80ELi8ELi8EEvPfPK15HIP_vector_typeIfLj2EEiiiiS1_IjLj3EES5_S5_S5_
		.amdhsa_group_segment_fixed_size 0
		.amdhsa_private_segment_fixed_size 0
		.amdhsa_kernarg_size 336
		.amdhsa_user_sgpr_count 2
		.amdhsa_user_sgpr_dispatch_ptr 0
		.amdhsa_user_sgpr_queue_ptr 0
		.amdhsa_user_sgpr_kernarg_segment_ptr 1
		.amdhsa_user_sgpr_dispatch_id 0
		.amdhsa_user_sgpr_kernarg_preload_length 0
		.amdhsa_user_sgpr_kernarg_preload_offset 0
		.amdhsa_user_sgpr_private_segment_size 0
		.amdhsa_uses_dynamic_stack 0
		.amdhsa_enable_private_segment 0
		.amdhsa_system_sgpr_workgroup_id_x 1
		.amdhsa_system_sgpr_workgroup_id_y 1
		.amdhsa_system_sgpr_workgroup_id_z 1
		.amdhsa_system_sgpr_workgroup_info 0
		.amdhsa_system_vgpr_workitem_id 0
		.amdhsa_next_free_vgpr 18
		.amdhsa_next_free_sgpr 36
		.amdhsa_accum_offset 20
		.amdhsa_reserve_vcc 1
		.amdhsa_float_round_mode_32 0
		.amdhsa_float_round_mode_16_64 0
		.amdhsa_float_denorm_mode_32 3
		.amdhsa_float_denorm_mode_16_64 3
		.amdhsa_dx10_clamp 1
		.amdhsa_ieee_mode 1
		.amdhsa_fp16_overflow 0
		.amdhsa_tg_split 0
		.amdhsa_exception_fp_ieee_invalid_op 0
		.amdhsa_exception_fp_denorm_src 0
		.amdhsa_exception_fp_ieee_div_zero 0
		.amdhsa_exception_fp_ieee_overflow 0
		.amdhsa_exception_fp_ieee_underflow 0
		.amdhsa_exception_fp_ieee_inexact 0
		.amdhsa_exception_int_div_zero 0
	.end_amdhsa_kernel
	.section	.text._ZL33flash_attn_stream_k_fixup_generalILi80ELi8ELi8EEvPfPK15HIP_vector_typeIfLj2EEiiiiS1_IjLj3EES5_S5_S5_,"axG",@progbits,_ZL33flash_attn_stream_k_fixup_generalILi80ELi8ELi8EEvPfPK15HIP_vector_typeIfLj2EEiiiiS1_IjLj3EES5_S5_S5_,comdat
.Lfunc_end12:
	.size	_ZL33flash_attn_stream_k_fixup_generalILi80ELi8ELi8EEvPfPK15HIP_vector_typeIfLj2EEiiiiS1_IjLj3EES5_S5_S5_, .Lfunc_end12-_ZL33flash_attn_stream_k_fixup_generalILi80ELi8ELi8EEvPfPK15HIP_vector_typeIfLj2EEiiiiS1_IjLj3EES5_S5_S5_
                                        ; -- End function
	.set _ZL33flash_attn_stream_k_fixup_generalILi80ELi8ELi8EEvPfPK15HIP_vector_typeIfLj2EEiiiiS1_IjLj3EES5_S5_S5_.num_vgpr, 18
	.set _ZL33flash_attn_stream_k_fixup_generalILi80ELi8ELi8EEvPfPK15HIP_vector_typeIfLj2EEiiiiS1_IjLj3EES5_S5_S5_.num_agpr, 0
	.set _ZL33flash_attn_stream_k_fixup_generalILi80ELi8ELi8EEvPfPK15HIP_vector_typeIfLj2EEiiiiS1_IjLj3EES5_S5_S5_.numbered_sgpr, 36
	.set _ZL33flash_attn_stream_k_fixup_generalILi80ELi8ELi8EEvPfPK15HIP_vector_typeIfLj2EEiiiiS1_IjLj3EES5_S5_S5_.num_named_barrier, 0
	.set _ZL33flash_attn_stream_k_fixup_generalILi80ELi8ELi8EEvPfPK15HIP_vector_typeIfLj2EEiiiiS1_IjLj3EES5_S5_S5_.private_seg_size, 0
	.set _ZL33flash_attn_stream_k_fixup_generalILi80ELi8ELi8EEvPfPK15HIP_vector_typeIfLj2EEiiiiS1_IjLj3EES5_S5_S5_.uses_vcc, 1
	.set _ZL33flash_attn_stream_k_fixup_generalILi80ELi8ELi8EEvPfPK15HIP_vector_typeIfLj2EEiiiiS1_IjLj3EES5_S5_S5_.uses_flat_scratch, 0
	.set _ZL33flash_attn_stream_k_fixup_generalILi80ELi8ELi8EEvPfPK15HIP_vector_typeIfLj2EEiiiiS1_IjLj3EES5_S5_S5_.has_dyn_sized_stack, 0
	.set _ZL33flash_attn_stream_k_fixup_generalILi80ELi8ELi8EEvPfPK15HIP_vector_typeIfLj2EEiiiiS1_IjLj3EES5_S5_S5_.has_recursion, 0
	.set _ZL33flash_attn_stream_k_fixup_generalILi80ELi8ELi8EEvPfPK15HIP_vector_typeIfLj2EEiiiiS1_IjLj3EES5_S5_S5_.has_indirect_call, 0
	.section	.AMDGPU.csdata,"",@progbits
; Kernel info:
; codeLenInByte = 2944
; TotalNumSgprs: 42
; NumVgprs: 18
; NumAgprs: 0
; TotalNumVgprs: 18
; ScratchSize: 0
; MemoryBound: 0
; FloatMode: 240
; IeeeMode: 1
; LDSByteSize: 0 bytes/workgroup (compile time only)
; SGPRBlocks: 5
; VGPRBlocks: 2
; NumSGPRsForWavesPerEU: 42
; NumVGPRsForWavesPerEU: 18
; AccumOffset: 20
; Occupancy: 8
; WaveLimiterHint : 0
; COMPUTE_PGM_RSRC2:SCRATCH_EN: 0
; COMPUTE_PGM_RSRC2:USER_SGPR: 2
; COMPUTE_PGM_RSRC2:TRAP_HANDLER: 0
; COMPUTE_PGM_RSRC2:TGID_X_EN: 1
; COMPUTE_PGM_RSRC2:TGID_Y_EN: 1
; COMPUTE_PGM_RSRC2:TGID_Z_EN: 1
; COMPUTE_PGM_RSRC2:TIDIG_COMP_CNT: 0
; COMPUTE_PGM_RSRC3_GFX90A:ACCUM_OFFSET: 4
; COMPUTE_PGM_RSRC3_GFX90A:TG_SPLIT: 0
	.section	.text._ZL26flash_attn_combine_resultsILi80EEvPKfPK15HIP_vector_typeIfLj2EEPfi,"axG",@progbits,_ZL26flash_attn_combine_resultsILi80EEvPKfPK15HIP_vector_typeIfLj2EEPfi,comdat
	.globl	_ZL26flash_attn_combine_resultsILi80EEvPKfPK15HIP_vector_typeIfLj2EEPfi ; -- Begin function _ZL26flash_attn_combine_resultsILi80EEvPKfPK15HIP_vector_typeIfLj2EEPfi
	.p2align	8
	.type	_ZL26flash_attn_combine_resultsILi80EEvPKfPK15HIP_vector_typeIfLj2EEPfi,@function
_ZL26flash_attn_combine_resultsILi80EEvPKfPK15HIP_vector_typeIfLj2EEPfi: ; @_ZL26flash_attn_combine_resultsILi80EEvPKfPK15HIP_vector_typeIfLj2EEPfi
; %bb.0:
	s_load_dwordx2 s[6:7], s[0:1], 0x20
	s_load_dword s23, s[0:1], 0x18
	s_load_dwordx4 s[16:19], s[0:1], 0x0
	s_load_dwordx2 s[14:15], s[0:1], 0x10
	s_waitcnt lgkmcnt(0)
	s_mul_i32 s0, s6, s4
	s_add_i32 s0, s0, s2
	s_mul_i32 s22, s0, s7
	s_add_i32 s22, s22, s3
	s_lshl_b32 s12, s23, 1
	s_mul_i32 s2, s22, s23
	v_cmp_gt_i32_e32 vcc, s12, v0
	s_and_saveexec_b64 s[0:1], vcc
	s_cbranch_execz .LBB13_13
; %bb.1:
	v_xad_u32 v1, v0, -1, s12
	s_movk_i32 s4, 0x4f
	s_ashr_i32 s3, s2, 31
	v_cmp_lt_u32_e32 vcc, s4, v1
	s_mov_b64 s[6:7], -1
	v_mov_b32_e32 v2, v0
	s_and_saveexec_b64 s[4:5], vcc
	s_cbranch_execz .LBB13_10
; %bb.2:
	s_mov_b32 s6, 0xcccccccd
	v_mul_hi_u32 v1, v1, s6
	v_lshrrev_b32_e32 v6, 6, v1
	s_lshl_b64 s[6:7], s[2:3], 3
	v_add_u32_e32 v2, -1, v6
	s_add_u32 s6, s18, s6
	v_add_u32_e32 v1, 0x50, v0
	v_lshrrev_b32_e32 v3, 1, v2
	s_addc_u32 s7, s19, s7
	v_add_u32_e32 v7, 1, v3
	v_cmp_lt_u32_e32 vcc, 13, v2
	v_mov_b32_e32 v4, 0
	v_mov_b64_e32 v[2:3], v[0:1]
	s_and_saveexec_b64 s[8:9], vcc
	s_cbranch_execz .LBB13_6
; %bb.3:
	v_and_b32_e32 v8, -8, v7
	s_mov_b32 s13, 0
	v_lshl_add_u32 v9, v0, 2, 0
	s_mov_b64 s[10:11], 0
	v_mov_b32_e32 v5, 0
	v_mov_b64_e32 v[2:3], v[0:1]
.LBB13_4:                               ; =>This Inner Loop Header: Depth=1
	v_mov_b32_e32 v4, v2
	v_lshl_add_u64 v[24:25], v[4:5], 2, s[6:7]
	v_mov_b32_e32 v4, v3
	v_add_u32_e32 v10, 0xa0, v3
	v_mov_b32_e32 v11, v5
	v_lshl_add_u64 v[26:27], v[4:5], 2, s[6:7]
	v_add_u32_e32 v4, 0xa0, v2
	v_lshl_add_u64 v[10:11], v[10:11], 2, s[6:7]
	global_load_dword v1, v[24:25], off
	v_lshl_add_u64 v[24:25], v[4:5], 2, s[6:7]
	v_add_u32_e32 v4, 0x140, v2
	global_load_dword v28, v[26:27], off
	global_load_dword v29, v[24:25], off
	;; [unrolled: 1-line block ×3, first 2 shown]
	v_lshl_add_u64 v[10:11], v[4:5], 2, s[6:7]
	v_add_u32_e32 v4, 0x1e0, v2
	v_add_u32_e32 v12, 0x140, v3
	v_mov_b32_e32 v13, v5
	v_add_u32_e32 v14, 0x1e0, v3
	v_mov_b32_e32 v15, v5
	v_lshl_add_u64 v[24:25], v[4:5], 2, s[6:7]
	v_add_u32_e32 v4, 0x280, v2
	v_lshl_add_u64 v[12:13], v[12:13], 2, s[6:7]
	v_lshl_add_u64 v[14:15], v[14:15], 2, s[6:7]
	global_load_dword v26, v[10:11], off
	global_load_dword v27, v[12:13], off
	;; [unrolled: 1-line block ×4, first 2 shown]
	v_lshl_add_u64 v[10:11], v[4:5], 2, s[6:7]
	v_add_u32_e32 v4, 0x320, v2
	v_add_u32_e32 v16, 0x280, v3
	v_mov_b32_e32 v17, v5
	v_add_u32_e32 v18, 0x320, v3
	v_mov_b32_e32 v19, v5
	v_lshl_add_u64 v[12:13], v[4:5], 2, s[6:7]
	v_add_u32_e32 v4, 0x3c0, v2
	v_add_u32_e32 v20, 0x3c0, v3
	v_mov_b32_e32 v21, v5
	v_add_u32_e32 v22, 0x460, v3
	v_mov_b32_e32 v23, v5
	v_lshl_add_u64 v[16:17], v[16:17], 2, s[6:7]
	v_lshl_add_u64 v[18:19], v[18:19], 2, s[6:7]
	global_load_dword v14, v[10:11], off
	global_load_dword v15, v[16:17], off
	;; [unrolled: 1-line block ×4, first 2 shown]
	v_lshl_add_u64 v[10:11], v[4:5], 2, s[6:7]
	v_add_u32_e32 v4, 0x460, v2
	v_lshl_add_u64 v[20:21], v[20:21], 2, s[6:7]
	v_lshl_add_u64 v[22:23], v[22:23], 2, s[6:7]
	;; [unrolled: 1-line block ×3, first 2 shown]
	global_load_dword v16, v[10:11], off
	global_load_dword v17, v[20:21], off
	;; [unrolled: 1-line block ×4, first 2 shown]
	v_add_u32_e32 v8, -8, v8
	s_add_i32 s13, s13, 16
	v_cmp_eq_u32_e32 vcc, 0, v8
	v_add_u32_e32 v10, 0x400, v9
	v_add_u32_e32 v11, 0x600, v9
	;; [unrolled: 1-line block ×7, first 2 shown]
	v_mov_b32_e32 v4, s13
	s_or_b64 s[10:11], vcc, s[10:11]
	v_add_u32_e32 v2, 0x500, v2
	s_waitcnt vmcnt(14)
	ds_write2_b32 v9, v1, v28 offset1:80
	s_waitcnt vmcnt(12)
	ds_write2_b32 v9, v29, v30 offset0:160 offset1:240
	v_add_u32_e32 v9, 0x1400, v9
	s_waitcnt vmcnt(10)
	ds_write2_b32 v10, v26, v27 offset0:64 offset1:144
	s_waitcnt vmcnt(8)
	ds_write2_b32 v11, v31, v32 offset0:96 offset1:176
	;; [unrolled: 2-line block ×6, first 2 shown]
	s_andn2_b64 exec, exec, s[10:11]
	s_cbranch_execnz .LBB13_4
; %bb.5:
	s_or_b64 exec, exec, s[10:11]
.LBB13_6:
	s_or_b64 exec, exec, s[8:9]
	v_and_b32_e32 v1, 7, v7
	v_cmp_ne_u32_e32 vcc, 0, v1
	s_and_saveexec_b64 s[8:9], vcc
	s_cbranch_execz .LBB13_9
; %bb.7:
	s_movk_i32 s10, 0x140
	v_mul_lo_u32 v4, v4, s10
	v_lshlrev_b32_e32 v5, 2, v0
	v_add3_u32 v7, v4, v5, 0
	s_mov_b64 s[10:11], 0
	v_mov_b32_e32 v5, 0
.LBB13_8:                               ; =>This Inner Loop Header: Depth=1
	v_mov_b32_e32 v4, v2
	v_lshl_add_u64 v[8:9], v[4:5], 2, s[6:7]
	v_mov_b32_e32 v4, v3
	v_lshl_add_u64 v[10:11], v[4:5], 2, s[6:7]
	global_load_dword v4, v[8:9], off
	global_load_dword v12, v[10:11], off
	v_add_u32_e32 v1, -1, v1
	v_cmp_eq_u32_e32 vcc, 0, v1
	v_add_u32_e32 v2, 0xa0, v2
	v_add_u32_e32 v3, 0xa0, v3
	s_or_b64 s[10:11], vcc, s[10:11]
	s_waitcnt vmcnt(0)
	ds_write2_b32 v7, v4, v12 offset1:80
	v_add_u32_e32 v7, 0x280, v7
	s_andn2_b64 exec, exec, s[10:11]
	s_cbranch_execnz .LBB13_8
.LBB13_9:
	s_or_b64 exec, exec, s[8:9]
	v_add_u32_e32 v1, 1, v6
	v_and_b32_e32 v4, 0x7fffffe, v1
	s_movk_i32 s6, 0x50
	v_mad_u64_u32 v[2:3], s[6:7], v4, s6, v[0:1]
	v_cmp_ne_u32_e32 vcc, v1, v4
	s_orn2_b64 s[6:7], vcc, exec
.LBB13_10:
	s_or_b64 exec, exec, s[4:5]
	s_and_b64 exec, exec, s[6:7]
	s_cbranch_execz .LBB13_13
; %bb.11:
	s_lshl_b64 s[4:5], s[2:3], 3
	s_add_u32 s4, s18, s4
	v_mov_b32_e32 v3, 0
	s_addc_u32 s5, s19, s5
	v_lshl_add_u64 v[4:5], v[2:3], 2, s[4:5]
	v_lshl_add_u32 v1, v2, 2, 0
	s_mov_b64 s[4:5], 0
	s_mov_b64 s[6:7], 0x140
.LBB13_12:                              ; =>This Inner Loop Header: Depth=1
	global_load_dword v3, v[4:5], off
	v_add_u32_e32 v2, 0x50, v2
	v_cmp_le_i32_e32 vcc, s12, v2
	v_lshl_add_u64 v[4:5], v[4:5], 0, s[6:7]
	s_or_b64 s[4:5], vcc, s[4:5]
	s_waitcnt vmcnt(0)
	ds_write_b32 v1, v3
	v_add_u32_e32 v1, 0x140, v1
	s_andn2_b64 exec, exec, s[4:5]
	s_cbranch_execnz .LBB13_12
.LBB13_13:
	s_or_b64 exec, exec, s[0:1]
	v_mov_b32_e32 v1, 0
	s_waitcnt lgkmcnt(0)
	s_barrier
	ds_read_b32 v1, v1
	s_cmp_lt_i32 s23, 2
	s_cbranch_scc1 .LBB13_21
; %bb.14:
	s_cmp_eq_u32 s23, 2
	s_cbranch_scc1 .LBB13_18
; %bb.15:
	s_add_i32 s3, s23, -1
	s_and_b32 s4, s3, -2
	s_add_i32 s6, 0, 8
	s_mov_b32 s5, 2
	s_waitcnt lgkmcnt(0)
	v_mov_b32_e32 v4, v1
.LBB13_16:                              ; =>This Inner Loop Header: Depth=1
	v_mov_b32_e32 v2, v1
	v_mov_b32_e32 v1, s6
	;; [unrolled: 1-line block ×3, first 2 shown]
	ds_read2_b32 v[4:5], v1 offset1:2
	s_cmp_lg_u32 s4, s5
	s_cselect_b64 s[8:9], -1, 0
	v_max_f32_e32 v1, v3, v3
	v_max_f32_e32 v6, v2, v2
	s_waitcnt lgkmcnt(0)
	v_cmp_u_f32_e32 vcc, v5, v5
	v_max_f32_e32 v7, v5, v5
	v_max_f32_e32 v8, v4, v4
	v_cndmask_b32_e64 v5, 0, 1, vcc
	v_cmp_u_f32_e32 vcc, v4, v4
	v_readfirstlane_b32 s0, v5
	s_lshl_b32 s0, s0, 1
	v_cndmask_b32_e64 v9, 0, 1, vcc
	v_max_f32_e32 v4, v1, v7
	v_readfirstlane_b32 s1, v9
	s_or_b32 s0, s1, s0
	s_and_b32 s7, s0, 3
	s_cmp_lg_u32 s7, 0
	s_cselect_b64 s[0:1], -1, 0
	s_cmp_eq_u32 s7, 0
	s_cselect_b64 s[10:11], -1, 0
	s_and_b64 s[8:9], s[10:11], s[8:9]
	v_max_f32_e32 v1, v6, v8
	s_add_i32 s5, s5, 2
	s_add_i32 s6, s6, 16
	s_and_b64 vcc, exec, s[8:9]
	s_cbranch_vccnz .LBB13_16
; %bb.17:
	s_add_i32 s5, s5, -4
	s_and_b64 s[6:7], s[0:1], exec
	s_cselect_b32 s5, s5, s3
	s_or_b32 s5, s5, 1
	v_cndmask_b32_e64 v1, v1, v2, s[0:1]
	v_cndmask_b32_e64 v2, v4, v3, s[0:1]
	s_cmp_lg_u32 s3, s4
	v_max_f32_e32 v2, v2, v2
	v_max_f32_e32 v1, v1, v1
	s_cselect_b64 s[6:7], -1, 0
	v_max_f32_e32 v1, v1, v2
	s_or_b64 s[0:1], s[6:7], s[0:1]
	s_and_b64 vcc, exec, s[0:1]
	s_cbranch_vccnz .LBB13_19
	s_branch .LBB13_21
.LBB13_18:
	s_mov_b32 s5, 1
	s_cbranch_execz .LBB13_21
.LBB13_19:
	s_lshl_b32 s1, s5, 3
	s_sub_i32 s0, s23, s5
	s_add_i32 s1, s1, 0
.LBB13_20:                              ; =>This Inner Loop Header: Depth=1
	v_mov_b32_e32 v2, s1
	ds_read_b32 v2, v2
	s_waitcnt lgkmcnt(1)
	v_max_f32_e32 v1, v1, v1
	s_add_i32 s0, s0, -1
	s_add_i32 s1, s1, 8
	s_cmp_eq_u32 s0, 0
	s_waitcnt lgkmcnt(0)
	v_max_f32_e32 v2, v2, v2
	v_max_f32_e32 v1, v1, v2
	s_cbranch_scc0 .LBB13_20
.LBB13_21:
	s_cmp_lt_i32 s23, 1
	s_cbranch_scc1 .LBB13_26
; %bb.22:
	s_mul_i32 s18, s2, 0x50
	s_ashr_i32 s19, s18, 31
	s_cmp_lt_u32 s23, 8
	s_cbranch_scc1 .LBB13_27
; %bb.23:
	s_lshl_b64 s[0:1], s[18:19], 2
	s_add_u32 s20, s16, s0
	v_mov_b32_e32 v7, 0
	s_addc_u32 s21, s17, s1
	s_and_b32 s24, s23, 0x7ffffff8
	v_add_u32_e32 v4, 0x140, v0
	s_mov_b32 s25, 0
	s_mov_b32 s26, 0x3fb8aa3b
	;; [unrolled: 1-line block ×4, first 2 shown]
	v_mov_b32_e32 v8, 0x7f800000
	s_mov_b32 s29, 0
	v_mov_b32_e32 v2, v7
	v_mov_b32_e32 v3, v7
.LBB13_24:                              ; =>This Inner Loop Header: Depth=1
	v_add_u32_e32 v6, 0xfffffec0, v4
	v_mov_b32_e32 v9, s25
	v_lshl_add_u64 v[26:27], v[6:7], 2, s[20:21]
	v_add_u32_e32 v6, 0xffffff10, v4
	ds_read2_b64 v[10:13], v9 offset1:1
	ds_read2_b64 v[14:17], v9 offset0:2 offset1:3
	ds_read2_b64 v[18:21], v9 offset0:4 offset1:5
	ds_read2_b64 v[22:25], v9 offset0:6 offset1:7
	v_lshl_add_u64 v[30:31], v[6:7], 2, s[20:21]
	v_add_u32_e32 v6, 0xffffff60, v4
	global_load_dword v33, v[26:27], off
	global_load_dword v35, v[30:31], off
	v_lshl_add_u64 v[26:27], v[6:7], 2, s[20:21]
	v_add_u32_e32 v6, 0xffffffb0, v4
	v_mov_b32_e32 v5, v7
	v_lshl_add_u64 v[30:31], v[6:7], 2, s[20:21]
	v_add_u32_e32 v6, 0x50, v4
	v_lshl_add_u64 v[28:29], v[4:5], 2, s[20:21]
	global_load_dword v37, v[26:27], off
	global_load_dword v39, v[30:31], off
	global_load_dword v41, v[28:29], off
	v_lshl_add_u64 v[26:27], v[6:7], 2, s[20:21]
	v_add_u32_e32 v6, 0xa0, v4
	s_waitcnt lgkmcnt(3)
	v_mov_b32_e32 v32, v11
	v_sub_f32_e32 v9, v12, v1
	v_mov_b32_e32 v34, v13
	global_load_dword v11, v[26:27], off
	v_lshl_add_u64 v[12:13], v[6:7], 2, s[20:21]
	v_add_u32_e32 v6, 0xf0, v4
	s_waitcnt lgkmcnt(2)
	v_mov_b32_e32 v36, v15
	global_load_dword v15, v[12:13], off
	v_lshl_add_u64 v[12:13], v[6:7], 2, s[20:21]
	v_mov_b32_e32 v38, v17
	global_load_dword v17, v[12:13], off
	v_sub_f32_e32 v5, v10, v1
	s_waitcnt lgkmcnt(1)
	v_mov_b32_e32 v40, v19
	v_sub_f32_e32 v19, v20, v1
	s_waitcnt lgkmcnt(0)
	v_sub_f32_e32 v20, v22, v1
	v_mul_f32_e32 v22, 0x3fb8aa3b, v5
	v_sub_f32_e32 v28, v14, v1
	v_sub_f32_e32 v29, v16, v1
	v_mov_b32_e32 v14, v23
	v_mul_f32_e32 v23, 0x3fb8aa3b, v9
	v_fma_f32 v6, v5, s26, -v22
	v_rndne_f32_e32 v42, v22
	v_sub_f32_e32 v18, v18, v1
	v_mov_b32_e32 v10, v21
	v_sub_f32_e32 v21, v24, v1
	v_mov_b32_e32 v16, v25
	v_mul_f32_e32 v24, 0x3fb8aa3b, v28
	v_mul_f32_e32 v25, 0x3fb8aa3b, v29
	v_fma_f32 v43, v9, s26, -v23
	v_rndne_f32_e32 v44, v23
	v_fmac_f32_e32 v6, 0x32a5705f, v5
	v_sub_f32_e32 v12, v22, v42
	v_mul_f32_e32 v26, 0x3fb8aa3b, v18
	v_mul_f32_e32 v27, 0x3fb8aa3b, v19
	;; [unrolled: 1-line block ×3, first 2 shown]
	v_fma_f32 v45, v28, s26, -v24
	v_rndne_f32_e32 v46, v24
	v_fma_f32 v47, v29, s26, -v25
	v_rndne_f32_e32 v48, v25
	v_fmac_f32_e32 v43, 0x32a5705f, v9
	v_sub_f32_e32 v22, v23, v44
	v_add_f32_e32 v6, v12, v6
	v_fma_f32 v49, v18, s26, -v26
	v_rndne_f32_e32 v50, v26
	v_fma_f32 v51, v19, s26, -v27
	v_rndne_f32_e32 v52, v27
	;; [unrolled: 2-line block ×3, first 2 shown]
	v_cvt_i32_f32_e32 v13, v42
	v_fmac_f32_e32 v45, 0x32a5705f, v28
	v_sub_f32_e32 v24, v24, v46
	v_fmac_f32_e32 v47, 0x32a5705f, v29
	v_sub_f32_e32 v25, v25, v48
	v_add_f32_e32 v12, v22, v43
	v_exp_f32_e32 v6, v6
	v_cvt_i32_f32_e32 v23, v44
	v_fmac_f32_e32 v49, 0x32a5705f, v18
	v_sub_f32_e32 v26, v26, v50
	v_fmac_f32_e32 v51, 0x32a5705f, v19
	v_sub_f32_e32 v27, v27, v52
	;; [unrolled: 2-line block ×3, first 2 shown]
	v_add_f32_e32 v22, v24, v45
	v_add_f32_e32 v24, v25, v47
	v_exp_f32_e32 v12, v12
	v_mul_f32_e32 v31, 0x3fb8aa3b, v21
	v_cvt_i32_f32_e32 v42, v46
	v_cvt_i32_f32_e32 v44, v48
	v_add_f32_e32 v25, v26, v49
	v_add_f32_e32 v26, v27, v51
	;; [unrolled: 1-line block ×3, first 2 shown]
	v_exp_f32_e32 v22, v22
	v_exp_f32_e32 v24, v24
	v_fma_f32 v55, v21, s26, -v31
	v_rndne_f32_e32 v56, v31
	v_cvt_i32_f32_e32 v46, v50
	v_cvt_i32_f32_e32 v48, v52
	;; [unrolled: 1-line block ×3, first 2 shown]
	v_exp_f32_e32 v25, v25
	v_exp_f32_e32 v26, v26
	;; [unrolled: 1-line block ×3, first 2 shown]
	v_fmac_f32_e32 v55, 0x32a5705f, v21
	v_sub_f32_e32 v31, v31, v56
	v_ldexp_f32 v6, v6, v13
	v_cmp_ngt_f32_e64 s[12:13], s27, v5
	v_add_f32_e32 v30, v31, v55
	v_ldexp_f32 v12, v12, v23
	v_cmp_ngt_f32_e32 vcc, s27, v9
	v_cndmask_b32_e64 v6, 0, v6, s[12:13]
	v_cmp_nlt_f32_e64 s[12:13], s28, v5
	v_cvt_i32_f32_e32 v52, v56
	v_exp_f32_e32 v30, v30
	v_ldexp_f32 v13, v22, v42
	v_cmp_ngt_f32_e64 s[0:1], s27, v28
	v_ldexp_f32 v22, v24, v44
	v_cmp_ngt_f32_e64 s[2:3], s27, v29
	v_cndmask_b32_e32 v12, 0, v12, vcc
	v_cmp_nlt_f32_e32 vcc, s28, v9
	v_cndmask_b32_e64 v6, v8, v6, s[12:13]
	v_ldexp_f32 v23, v25, v46
	v_cmp_ngt_f32_e64 s[4:5], s27, v18
	v_ldexp_f32 v24, v26, v48
	v_cmp_ngt_f32_e64 s[6:7], s27, v19
	v_ldexp_f32 v25, v27, v50
	v_cmp_ngt_f32_e64 s[8:9], s27, v20
	v_cndmask_b32_e64 v9, 0, v13, s[0:1]
	v_cmp_nlt_f32_e64 s[0:1], s28, v28
	v_cndmask_b32_e64 v13, 0, v22, s[2:3]
	v_cndmask_b32_e32 v12, v8, v12, vcc
	s_waitcnt vmcnt(7)
	v_pk_fma_f32 v[2:3], v[6:7], v[32:33], v[2:3] op_sel_hi:[0,1,1]
	v_cmp_nlt_f32_e64 s[2:3], s28, v29
	v_cndmask_b32_e64 v22, 0, v23, s[4:5]
	v_cmp_nlt_f32_e64 s[4:5], s28, v18
	v_cndmask_b32_e64 v23, 0, v24, s[6:7]
	;; [unrolled: 2-line block ×3, first 2 shown]
	v_cndmask_b32_e64 v18, v8, v9, s[0:1]
	s_waitcnt vmcnt(6)
	v_pk_fma_f32 v[2:3], v[12:13], v[34:35], v[2:3] op_sel_hi:[0,1,1]
	v_cmp_nlt_f32_e64 s[8:9], s28, v20
	v_cndmask_b32_e64 v20, v8, v13, s[2:3]
	s_waitcnt vmcnt(5)
	v_pk_fma_f32 v[2:3], v[18:19], v[36:37], v[2:3] op_sel_hi:[0,1,1]
	v_ldexp_f32 v26, v30, v52
	v_cmp_ngt_f32_e64 s[10:11], s27, v21
	v_cndmask_b32_e64 v22, v8, v22, s[4:5]
	s_waitcnt vmcnt(4)
	v_pk_fma_f32 v[2:3], v[20:21], v[38:39], v[2:3] op_sel_hi:[0,1,1]
	v_cndmask_b32_e64 v25, 0, v26, s[10:11]
	v_cndmask_b32_e64 v24, v8, v23, s[6:7]
	s_waitcnt vmcnt(3)
	v_pk_fma_f32 v[2:3], v[22:23], v[40:41], v[2:3] op_sel_hi:[0,1,1]
	v_cmp_nlt_f32_e64 s[10:11], s28, v21
	v_cndmask_b32_e64 v26, v8, v19, s[8:9]
	s_waitcnt vmcnt(2)
	v_pk_fma_f32 v[2:3], v[24:25], v[10:11], v[2:3] op_sel_hi:[0,1,1]
	s_add_i32 s29, s29, 8
	s_add_i32 s25, s25, 64
	v_cndmask_b32_e64 v28, v8, v25, s[10:11]
	s_waitcnt vmcnt(1)
	v_pk_fma_f32 v[2:3], v[26:27], v[14:15], v[2:3] op_sel_hi:[0,1,1]
	s_cmp_eq_u32 s24, s29
	v_add_u32_e32 v4, 0x280, v4
	s_waitcnt vmcnt(0)
	v_pk_fma_f32 v[2:3], v[28:29], v[16:17], v[2:3] op_sel_hi:[0,1,1]
	s_cbranch_scc0 .LBB13_24
; %bb.25:
	s_and_b32 s2, s23, 7
	s_cmp_eq_u32 s2, 0
	s_cbranch_scc0 .LBB13_28
	s_branch .LBB13_30
.LBB13_26:
	s_waitcnt lgkmcnt(0)
	v_mov_b32_e32 v1, 0x7fc00000
	s_branch .LBB13_31
.LBB13_27:
	v_mov_b32_e32 v2, 0
	s_mov_b32 s24, 0
	v_mov_b32_e32 v3, v2
	s_and_b32 s2, s23, 7
	s_cmp_eq_u32 s2, 0
	s_cbranch_scc1 .LBB13_30
.LBB13_28:
	s_lshl_b64 s[0:1], s[18:19], 2
	s_mul_i32 s3, s24, 0x50
	s_add_u32 s0, s16, s0
	v_add_u32_e32 v4, s3, v0
	v_mov_b32_e32 v5, 0
	s_addc_u32 s1, s17, s1
	v_lshl_add_u64 v[4:5], v[4:5], 2, s[0:1]
	s_lshl_b32 s0, s24, 3
	s_add_i32 s3, s0, 0
	s_mov_b32 s4, 0x3fb8aa3b
	s_mov_b32 s5, 0xc2ce8ed0
	;; [unrolled: 1-line block ×3, first 2 shown]
	v_mov_b32_e32 v6, 0x7f800000
	s_mov_b64 s[0:1], 0x140
.LBB13_29:                              ; =>This Inner Loop Header: Depth=1
	global_load_dword v9, v[4:5], off
	v_mov_b32_e32 v7, s3
	ds_read_b64 v[10:11], v7
	s_add_i32 s3, s3, 8
	s_add_i32 s2, s2, -1
	v_lshl_add_u64 v[4:5], v[4:5], 0, s[0:1]
	s_cmp_lg_u32 s2, 0
	s_waitcnt lgkmcnt(0)
	v_sub_f32_e32 v7, v10, v1
	v_mul_f32_e32 v8, 0x3fb8aa3b, v7
	v_fma_f32 v10, v7, s4, -v8
	v_rndne_f32_e32 v12, v8
	v_fmac_f32_e32 v10, 0x32a5705f, v7
	v_sub_f32_e32 v8, v8, v12
	v_add_f32_e32 v8, v8, v10
	v_cvt_i32_f32_e32 v12, v12
	v_exp_f32_e32 v10, v8
	v_cmp_ngt_f32_e32 vcc, s5, v7
	v_mov_b32_e32 v8, v11
	v_ldexp_f32 v10, v10, v12
	v_cndmask_b32_e32 v10, 0, v10, vcc
	v_cmp_nlt_f32_e32 vcc, s6, v7
	s_nop 1
	v_cndmask_b32_e32 v10, v6, v10, vcc
	s_waitcnt vmcnt(0)
	v_pk_fma_f32 v[2:3], v[10:11], v[8:9], v[2:3] op_sel_hi:[0,1,1]
	s_cbranch_scc1 .LBB13_29
.LBB13_30:
	s_waitcnt lgkmcnt(0)
	v_div_scale_f32 v1, s[0:1], v2, v2, v3
	v_rcp_f32_e32 v4, v1
	v_div_scale_f32 v5, vcc, v3, v2, v3
	v_fma_f32 v6, -v1, v4, 1.0
	v_fmac_f32_e32 v4, v6, v4
	v_mul_f32_e32 v6, v5, v4
	v_fma_f32 v7, -v1, v6, v5
	v_fmac_f32_e32 v6, v7, v4
	v_fma_f32 v1, -v1, v6, v5
	v_div_fmas_f32 v1, v1, v4, v6
	v_div_fixup_f32 v1, v1, v2, v3
.LBB13_31:
	s_mul_i32 s0, s22, 0x50
	s_ashr_i32 s1, s0, 31
	s_lshl_b64 s[0:1], s[0:1], 2
	s_add_u32 s0, s14, s0
	s_addc_u32 s1, s15, s1
	v_lshlrev_b32_e32 v0, 2, v0
	global_store_dword v0, v1, s[0:1]
	s_endpgm
	.section	.rodata,"a",@progbits
	.p2align	6, 0x0
	.amdhsa_kernel _ZL26flash_attn_combine_resultsILi80EEvPKfPK15HIP_vector_typeIfLj2EEPfi
		.amdhsa_group_segment_fixed_size 0
		.amdhsa_private_segment_fixed_size 0
		.amdhsa_kernarg_size 288
		.amdhsa_user_sgpr_count 2
		.amdhsa_user_sgpr_dispatch_ptr 0
		.amdhsa_user_sgpr_queue_ptr 0
		.amdhsa_user_sgpr_kernarg_segment_ptr 1
		.amdhsa_user_sgpr_dispatch_id 0
		.amdhsa_user_sgpr_kernarg_preload_length 0
		.amdhsa_user_sgpr_kernarg_preload_offset 0
		.amdhsa_user_sgpr_private_segment_size 0
		.amdhsa_uses_dynamic_stack 0
		.amdhsa_enable_private_segment 0
		.amdhsa_system_sgpr_workgroup_id_x 1
		.amdhsa_system_sgpr_workgroup_id_y 1
		.amdhsa_system_sgpr_workgroup_id_z 1
		.amdhsa_system_sgpr_workgroup_info 0
		.amdhsa_system_vgpr_workitem_id 0
		.amdhsa_next_free_vgpr 57
		.amdhsa_next_free_sgpr 30
		.amdhsa_accum_offset 60
		.amdhsa_reserve_vcc 1
		.amdhsa_float_round_mode_32 0
		.amdhsa_float_round_mode_16_64 0
		.amdhsa_float_denorm_mode_32 3
		.amdhsa_float_denorm_mode_16_64 3
		.amdhsa_dx10_clamp 1
		.amdhsa_ieee_mode 1
		.amdhsa_fp16_overflow 0
		.amdhsa_tg_split 0
		.amdhsa_exception_fp_ieee_invalid_op 0
		.amdhsa_exception_fp_denorm_src 0
		.amdhsa_exception_fp_ieee_div_zero 0
		.amdhsa_exception_fp_ieee_overflow 0
		.amdhsa_exception_fp_ieee_underflow 0
		.amdhsa_exception_fp_ieee_inexact 0
		.amdhsa_exception_int_div_zero 0
	.end_amdhsa_kernel
	.section	.text._ZL26flash_attn_combine_resultsILi80EEvPKfPK15HIP_vector_typeIfLj2EEPfi,"axG",@progbits,_ZL26flash_attn_combine_resultsILi80EEvPKfPK15HIP_vector_typeIfLj2EEPfi,comdat
.Lfunc_end13:
	.size	_ZL26flash_attn_combine_resultsILi80EEvPKfPK15HIP_vector_typeIfLj2EEPfi, .Lfunc_end13-_ZL26flash_attn_combine_resultsILi80EEvPKfPK15HIP_vector_typeIfLj2EEPfi
                                        ; -- End function
	.set _ZL26flash_attn_combine_resultsILi80EEvPKfPK15HIP_vector_typeIfLj2EEPfi.num_vgpr, 57
	.set _ZL26flash_attn_combine_resultsILi80EEvPKfPK15HIP_vector_typeIfLj2EEPfi.num_agpr, 0
	.set _ZL26flash_attn_combine_resultsILi80EEvPKfPK15HIP_vector_typeIfLj2EEPfi.numbered_sgpr, 30
	.set _ZL26flash_attn_combine_resultsILi80EEvPKfPK15HIP_vector_typeIfLj2EEPfi.num_named_barrier, 0
	.set _ZL26flash_attn_combine_resultsILi80EEvPKfPK15HIP_vector_typeIfLj2EEPfi.private_seg_size, 0
	.set _ZL26flash_attn_combine_resultsILi80EEvPKfPK15HIP_vector_typeIfLj2EEPfi.uses_vcc, 1
	.set _ZL26flash_attn_combine_resultsILi80EEvPKfPK15HIP_vector_typeIfLj2EEPfi.uses_flat_scratch, 0
	.set _ZL26flash_attn_combine_resultsILi80EEvPKfPK15HIP_vector_typeIfLj2EEPfi.has_dyn_sized_stack, 0
	.set _ZL26flash_attn_combine_resultsILi80EEvPKfPK15HIP_vector_typeIfLj2EEPfi.has_recursion, 0
	.set _ZL26flash_attn_combine_resultsILi80EEvPKfPK15HIP_vector_typeIfLj2EEPfi.has_indirect_call, 0
	.section	.AMDGPU.csdata,"",@progbits
; Kernel info:
; codeLenInByte = 3032
; TotalNumSgprs: 36
; NumVgprs: 57
; NumAgprs: 0
; TotalNumVgprs: 57
; ScratchSize: 0
; MemoryBound: 0
; FloatMode: 240
; IeeeMode: 1
; LDSByteSize: 0 bytes/workgroup (compile time only)
; SGPRBlocks: 4
; VGPRBlocks: 7
; NumSGPRsForWavesPerEU: 36
; NumVGPRsForWavesPerEU: 57
; AccumOffset: 60
; Occupancy: 8
; WaveLimiterHint : 0
; COMPUTE_PGM_RSRC2:SCRATCH_EN: 0
; COMPUTE_PGM_RSRC2:USER_SGPR: 2
; COMPUTE_PGM_RSRC2:TRAP_HANDLER: 0
; COMPUTE_PGM_RSRC2:TGID_X_EN: 1
; COMPUTE_PGM_RSRC2:TGID_Y_EN: 1
; COMPUTE_PGM_RSRC2:TGID_Z_EN: 1
; COMPUTE_PGM_RSRC2:TIDIG_COMP_CNT: 0
; COMPUTE_PGM_RSRC3_GFX90A:ACCUM_OFFSET: 14
; COMPUTE_PGM_RSRC3_GFX90A:TG_SPLIT: 0
	.section	.text._ZL18flash_attn_ext_f16ILi96ELi96ELi8ELi8ELb0ELb0EEvPKcS1_S1_S1_S1_PKiPfP15HIP_vector_typeIfLj2EEffffjfiS5_IjLj3EEiiiiiiiiiiiliiliiiiil,"axG",@progbits,_ZL18flash_attn_ext_f16ILi96ELi96ELi8ELi8ELb0ELb0EEvPKcS1_S1_S1_S1_PKiPfP15HIP_vector_typeIfLj2EEffffjfiS5_IjLj3EEiiiiiiiiiiiliiliiiiil,comdat
	.globl	_ZL18flash_attn_ext_f16ILi96ELi96ELi8ELi8ELb0ELb0EEvPKcS1_S1_S1_S1_PKiPfP15HIP_vector_typeIfLj2EEffffjfiS5_IjLj3EEiiiiiiiiiiiliiliiiiil ; -- Begin function _ZL18flash_attn_ext_f16ILi96ELi96ELi8ELi8ELb0ELb0EEvPKcS1_S1_S1_S1_PKiPfP15HIP_vector_typeIfLj2EEffffjfiS5_IjLj3EEiiiiiiiiiiiliiliiiiil
	.p2align	8
	.type	_ZL18flash_attn_ext_f16ILi96ELi96ELi8ELi8ELb0ELb0EEvPKcS1_S1_S1_S1_PKiPfP15HIP_vector_typeIfLj2EEffffjfiS5_IjLj3EEiiiiiiiiiiiliiliiiiil,@function
_ZL18flash_attn_ext_f16ILi96ELi96ELi8ELi8ELb0ELb0EEvPKcS1_S1_S1_S1_PKiPfP15HIP_vector_typeIfLj2EEffffjfiS5_IjLj3EEiiiiiiiiiiiliiliiiiil: ; @_ZL18flash_attn_ext_f16ILi96ELi96ELi8ELi8ELb0ELb0EEvPKcS1_S1_S1_S1_PKiPfP15HIP_vector_typeIfLj2EEffffjfiS5_IjLj3EEiiiiiiiiiiiliiliiiiil
; %bb.0:
	s_mov_b32 s28, s2
	s_load_dwordx2 s[2:3], s[0:1], 0x80
	s_load_dwordx4 s[8:11], s[0:1], 0x64
                                        ; implicit-def: $vgpr230 : SGPR spill to VGPR lane
	s_load_dword s29, s[0:1], 0xd0
	s_mov_b32 s6, 0
	s_waitcnt lgkmcnt(0)
	s_abs_i32 s4, s3
	v_cvt_f32_u32_e32 v1, s4
	s_sub_i32 s12, 0, s4
	s_abs_i32 s7, s9
	s_xor_b32 s5, s9, s3
	v_rcp_iflag_f32_e32 v1, v1
	s_ashr_i32 s5, s5, 31
	v_mul_f32_e32 v1, 0x4f7ffffe, v1
	v_cvt_u32_f32_e32 v1, v1
	s_nop 0
	v_readfirstlane_b32 s13, v1
	s_mul_i32 s12, s12, s13
	s_mul_hi_u32 s12, s13, s12
	s_add_i32 s13, s13, s12
	s_mul_hi_u32 s12, s7, s13
	s_mul_i32 s13, s12, s4
	s_sub_i32 s7, s7, s13
	s_add_i32 s14, s12, 1
	s_sub_i32 s13, s7, s4
	s_cmp_ge_u32 s7, s4
	s_cselect_b32 s12, s14, s12
	s_cselect_b32 s7, s13, s7
	s_add_i32 s13, s12, 1
	s_cmp_ge_u32 s7, s4
	s_cselect_b32 s4, s13, s12
	s_add_i32 s2, s2, 63
	s_xor_b32 s4, s4, s5
	s_ashr_i32 s7, s2, 31
	s_sub_i32 s33, s4, s5
	s_lshr_b32 s4, s7, 26
	s_add_i32 s2, s2, s4
	s_ashr_i32 s98, s2, 6
	s_add_i32 s2, s8, 7
	s_lshr_b32 s5, s2, 3
	s_add_i32 s2, s33, 7
	s_ashr_i32 s4, s2, 31
	s_lshr_b32 s4, s4, 29
	s_add_i32 s2, s2, s4
	s_ashr_i32 s2, s2, 3
	s_mul_i32 s95, s5, s98
	s_mul_i32 s96, s95, s2
	;; [unrolled: 1-line block ×4, first 2 shown]
	s_ashr_i32 s3, s2, 31
	v_writelane_b32 v230, s5, 0
	s_mul_i32 s4, s3, s28
	s_mul_hi_u32 s5, s2, s28
	s_add_i32 s7, s5, s4
	s_add_u32 s4, s0, 0xd0
	s_addc_u32 s5, s1, 0
	v_writelane_b32 v230, s4, 1
	s_cmp_lg_u64 s[6:7], 0
	s_mul_i32 s6, s2, s28
	v_writelane_b32 v230, s5, 2
	s_cbranch_scc0 .LBB14_5
; %bb.1:
	s_add_u32 s4, s29, 0
	s_addc_u32 s5, 0, 0
	s_xor_b64 s[12:13], s[4:5], 0
	v_cvt_f32_u32_e32 v1, s12
	v_cvt_f32_u32_e32 v2, s13
	s_sub_u32 s10, 0, s12
	s_subb_u32 s16, 0, s13
	v_fmamk_f32 v1, v2, 0x4f800000, v1
	v_rcp_f32_e32 v1, v1
	s_nop 0
	v_mul_f32_e32 v1, 0x5f7ffffc, v1
	v_mul_f32_e32 v2, 0x2f800000, v1
	v_trunc_f32_e32 v2, v2
	v_fmamk_f32 v1, v2, 0xcf800000, v1
	v_cvt_u32_f32_e32 v2, v2
	v_cvt_u32_f32_e32 v1, v1
	v_readfirstlane_b32 s17, v2
	v_readfirstlane_b32 s14, v1
	s_mul_i32 s15, s10, s17
	s_mul_hi_u32 s19, s10, s14
	s_mul_i32 s18, s16, s14
	s_add_i32 s15, s19, s15
	s_add_i32 s15, s15, s18
	s_mul_i32 s20, s10, s14
	s_mul_i32 s19, s14, s15
	s_mul_hi_u32 s21, s14, s20
	s_mul_hi_u32 s18, s14, s15
	s_add_u32 s19, s21, s19
	s_addc_u32 s18, 0, s18
	s_mul_hi_u32 s22, s17, s20
	s_mul_i32 s20, s17, s20
	s_add_u32 s19, s19, s20
	s_mul_hi_u32 s21, s17, s15
	s_addc_u32 s18, s18, s22
	s_addc_u32 s19, s21, 0
	s_mul_i32 s15, s17, s15
	s_add_u32 s15, s18, s15
	s_addc_u32 s18, 0, s19
	s_add_u32 s19, s14, s15
	s_cselect_b64 s[14:15], -1, 0
	s_cmp_lg_u64 s[14:15], 0
	s_addc_u32 s17, s17, s18
	s_mul_i32 s14, s10, s17
	s_mul_hi_u32 s15, s10, s19
	s_add_i32 s14, s15, s14
	s_mul_i32 s16, s16, s19
	s_add_i32 s14, s14, s16
	s_mul_i32 s10, s10, s19
	s_mul_hi_u32 s16, s17, s10
	s_mul_i32 s18, s17, s10
	s_mul_i32 s21, s19, s14
	s_mul_hi_u32 s10, s19, s10
	s_mul_hi_u32 s20, s19, s14
	s_add_u32 s10, s10, s21
	s_addc_u32 s20, 0, s20
	s_add_u32 s10, s10, s18
	s_mul_hi_u32 s15, s17, s14
	s_addc_u32 s10, s20, s16
	s_addc_u32 s15, s15, 0
	s_mul_i32 s14, s17, s14
	s_add_u32 s10, s10, s14
	s_addc_u32 s16, 0, s15
	s_add_u32 s10, s19, s10
	s_cselect_b64 s[14:15], -1, 0
	s_cmp_lg_u64 s[14:15], 0
	s_addc_u32 s18, s17, s16
	s_ashr_i32 s14, s7, 31
	s_add_u32 s16, s6, s14
	s_mov_b32 s15, s14
	s_addc_u32 s17, s7, s14
	s_xor_b64 s[16:17], s[16:17], s[14:15]
	s_mul_i32 s19, s16, s18
	s_mul_hi_u32 s20, s16, s10
	s_mul_hi_u32 s7, s16, s18
	s_add_u32 s19, s20, s19
	s_addc_u32 s7, 0, s7
	s_mul_hi_u32 s21, s17, s10
	s_mul_i32 s10, s17, s10
	s_add_u32 s10, s19, s10
	s_mul_hi_u32 s20, s17, s18
	s_addc_u32 s7, s7, s21
	s_addc_u32 s10, s20, 0
	s_mul_i32 s18, s17, s18
	s_add_u32 s7, s7, s18
	s_addc_u32 s10, 0, s10
	s_mul_i32 s18, s12, s10
	s_mul_hi_u32 s19, s12, s7
	s_add_i32 s18, s19, s18
	s_mul_i32 s19, s13, s7
	s_add_i32 s22, s18, s19
	s_sub_i32 s20, s17, s22
	s_mul_i32 s18, s12, s7
	s_sub_u32 s16, s16, s18
	s_cselect_b64 s[18:19], -1, 0
	s_cmp_lg_u64 s[18:19], 0
	s_subb_u32 s23, s20, s13
	s_sub_u32 s24, s16, s12
	s_cselect_b64 s[20:21], -1, 0
	s_cmp_lg_u64 s[20:21], 0
	s_subb_u32 s20, s23, 0
	s_cmp_ge_u32 s20, s13
	s_cselect_b32 s21, -1, 0
	s_cmp_ge_u32 s24, s12
	s_cselect_b32 s23, -1, 0
	s_cmp_eq_u32 s20, s13
	s_cselect_b32 s20, s23, s21
	s_add_u32 s21, s7, 1
	s_addc_u32 s23, s10, 0
	s_add_u32 s24, s7, 2
	s_addc_u32 s25, s10, 0
	s_cmp_lg_u32 s20, 0
	s_cselect_b32 s20, s24, s21
	s_cselect_b32 s21, s25, s23
	s_cmp_lg_u64 s[18:19], 0
	s_subb_u32 s17, s17, s22
	s_cmp_ge_u32 s17, s13
	s_cselect_b32 s18, -1, 0
	s_cmp_ge_u32 s16, s12
	s_cselect_b32 s12, -1, 0
	s_cmp_eq_u32 s17, s13
	s_cselect_b32 s12, s12, s18
	s_cmp_lg_u32 s12, 0
	s_cselect_b32 s13, s21, s10
	s_cselect_b32 s12, s20, s7
	s_xor_b64 s[14:15], s[14:15], 0
	s_xor_b64 s[12:13], s[12:13], s[14:15]
	s_sub_u32 s26, s12, s14
	s_load_dwordx2 s[24:25], s[0:1], 0x74
	v_cvt_f32_u32_e32 v1, s29
	s_cbranch_execnz .LBB14_3
.LBB14_2:
	v_rcp_iflag_f32_e32 v2, v1
	s_sub_i32 s4, 0, s29
	v_mul_f32_e32 v2, 0x4f7ffffe, v2
	v_cvt_u32_f32_e32 v2, v2
	s_nop 0
	v_readfirstlane_b32 s5, v2
	s_mul_i32 s4, s4, s5
	s_mul_hi_u32 s4, s5, s4
	s_add_i32 s5, s5, s4
	s_mul_hi_u32 s4, s6, s5
	s_mul_i32 s7, s4, s29
	s_sub_i32 s6, s6, s7
	s_add_i32 s5, s4, 1
	s_sub_i32 s7, s6, s29
	s_cmp_ge_u32 s6, s29
	s_cselect_b32 s4, s5, s4
	s_cselect_b32 s6, s7, s6
	s_add_i32 s5, s4, 1
	s_cmp_ge_u32 s6, s29
	s_cselect_b32 s26, s5, s4
.LBB14_3:
	s_add_i32 s4, s28, 1
	s_mul_i32 s3, s3, s4
	s_mul_hi_u32 s5, s2, s4
	s_add_i32 s13, s5, s3
	s_mov_b32 s12, 0
	s_cmp_lg_u64 s[12:13], 0
	s_mul_i32 s2, s2, s4
	s_cbranch_scc0 .LBB14_6
; %bb.4:
	s_add_u32 s4, s29, 0
	s_addc_u32 s5, 0, 0
	s_xor_b64 s[6:7], s[4:5], 0
	v_cvt_f32_u32_e32 v2, s6
	v_cvt_f32_u32_e32 v3, s7
	s_sub_u32 s3, 0, s6
	s_subb_u32 s10, 0, s7
	s_mov_b64 s[4:5], 0
	v_fmamk_f32 v2, v3, 0x4f800000, v2
	v_rcp_f32_e32 v2, v2
	s_nop 0
	v_mul_f32_e32 v2, 0x5f7ffffc, v2
	v_mul_f32_e32 v3, 0x2f800000, v2
	v_trunc_f32_e32 v3, v3
	v_fmamk_f32 v2, v3, 0xcf800000, v2
	v_cvt_u32_f32_e32 v3, v3
	v_cvt_u32_f32_e32 v2, v2
	v_readfirstlane_b32 s12, v3
	v_readfirstlane_b32 s14, v2
	s_mul_i32 s15, s3, s12
	s_mul_hi_u32 s17, s3, s14
	s_mul_i32 s16, s10, s14
	s_add_i32 s15, s17, s15
	s_add_i32 s15, s15, s16
	s_mul_i32 s18, s3, s14
	s_mul_i32 s17, s14, s15
	s_mul_hi_u32 s19, s14, s18
	s_mul_hi_u32 s16, s14, s15
	s_add_u32 s17, s19, s17
	s_addc_u32 s16, 0, s16
	s_mul_hi_u32 s20, s12, s18
	s_mul_i32 s18, s12, s18
	s_add_u32 s17, s17, s18
	s_mul_hi_u32 s19, s12, s15
	s_addc_u32 s16, s16, s20
	s_addc_u32 s17, s19, 0
	s_mul_i32 s15, s12, s15
	s_add_u32 s15, s16, s15
	s_addc_u32 s16, 0, s17
	s_add_u32 s17, s14, s15
	s_cselect_b64 s[14:15], -1, 0
	s_cmp_lg_u64 s[14:15], 0
	s_addc_u32 s12, s12, s16
	s_mul_i32 s14, s3, s12
	s_mul_hi_u32 s15, s3, s17
	s_add_i32 s14, s15, s14
	s_mul_i32 s10, s10, s17
	s_add_i32 s14, s14, s10
	s_mul_i32 s3, s3, s17
	s_mul_hi_u32 s15, s12, s3
	s_mul_i32 s16, s12, s3
	s_mul_i32 s19, s17, s14
	s_mul_hi_u32 s3, s17, s3
	s_mul_hi_u32 s18, s17, s14
	s_add_u32 s3, s3, s19
	s_addc_u32 s18, 0, s18
	s_add_u32 s3, s3, s16
	s_mul_hi_u32 s10, s12, s14
	s_addc_u32 s3, s18, s15
	s_addc_u32 s10, s10, 0
	s_mul_i32 s14, s12, s14
	s_add_u32 s3, s3, s14
	s_addc_u32 s10, 0, s10
	s_add_u32 s3, s17, s3
	s_cselect_b64 s[14:15], -1, 0
	s_cmp_lg_u64 s[14:15], 0
	s_addc_u32 s10, s12, s10
	s_ashr_i32 s14, s13, 31
	s_add_u32 s12, s2, s14
	s_mov_b32 s15, s14
	s_addc_u32 s13, s13, s14
	s_xor_b64 s[12:13], s[12:13], s[14:15]
	s_mul_i32 s17, s12, s10
	s_mul_hi_u32 s18, s12, s3
	s_mul_hi_u32 s16, s12, s10
	s_add_u32 s17, s18, s17
	s_addc_u32 s16, 0, s16
	s_mul_hi_u32 s19, s13, s3
	s_mul_i32 s3, s13, s3
	s_add_u32 s3, s17, s3
	s_mul_hi_u32 s18, s13, s10
	s_addc_u32 s3, s16, s19
	s_addc_u32 s16, s18, 0
	s_mul_i32 s10, s13, s10
	s_add_u32 s3, s3, s10
	s_addc_u32 s10, 0, s16
	s_mul_i32 s16, s6, s10
	s_mul_hi_u32 s17, s6, s3
	s_add_i32 s16, s17, s16
	s_mul_i32 s17, s7, s3
	s_add_i32 s20, s16, s17
	s_sub_i32 s18, s13, s20
	s_mul_i32 s16, s6, s3
	s_sub_u32 s12, s12, s16
	s_cselect_b64 s[16:17], -1, 0
	s_cmp_lg_u64 s[16:17], 0
	s_subb_u32 s21, s18, s7
	s_sub_u32 s22, s12, s6
	s_cselect_b64 s[18:19], -1, 0
	s_cmp_lg_u64 s[18:19], 0
	s_subb_u32 s18, s21, 0
	s_cmp_ge_u32 s18, s7
	s_cselect_b32 s19, -1, 0
	s_cmp_ge_u32 s22, s6
	s_cselect_b32 s21, -1, 0
	s_cmp_eq_u32 s18, s7
	s_cselect_b32 s18, s21, s19
	s_add_u32 s19, s3, 1
	s_addc_u32 s21, s10, 0
	s_add_u32 s22, s3, 2
	s_addc_u32 s23, s10, 0
	s_cmp_lg_u32 s18, 0
	s_cselect_b32 s18, s22, s19
	s_cselect_b32 s19, s23, s21
	s_cmp_lg_u64 s[16:17], 0
	s_subb_u32 s13, s13, s20
	s_cmp_ge_u32 s13, s7
	s_cselect_b32 s16, -1, 0
	s_cmp_ge_u32 s12, s6
	s_cselect_b32 s6, -1, 0
	s_cmp_eq_u32 s13, s7
	s_cselect_b32 s6, s6, s16
	s_cmp_lg_u32 s6, 0
	s_cselect_b32 s7, s19, s10
	s_cselect_b32 s6, s18, s3
	s_xor_b64 s[12:13], s[14:15], 0
	s_xor_b64 s[6:7], s[6:7], s[12:13]
	s_sub_u32 s30, s6, s12
	s_branch .LBB14_7
.LBB14_5:
                                        ; implicit-def: $sgpr26_sgpr27
	s_load_dwordx2 s[24:25], s[0:1], 0x74
	v_cvt_f32_u32_e32 v1, s29
	s_branch .LBB14_2
.LBB14_6:
	s_mov_b64 s[4:5], -1
                                        ; implicit-def: $sgpr30_sgpr31
.LBB14_7:
	s_load_dwordx2 s[16:17], s[0:1], 0x5c
	s_andn2_b64 vcc, exec, s[4:5]
	v_writelane_b32 v230, s28, 3
	s_cbranch_vccnz .LBB14_9
; %bb.8:
	v_rcp_iflag_f32_e32 v1, v1
	s_sub_i32 s3, 0, s29
	v_mul_f32_e32 v1, 0x4f7ffffe, v1
	v_cvt_u32_f32_e32 v1, v1
	s_nop 0
	v_readfirstlane_b32 s4, v1
	s_mul_i32 s3, s3, s4
	s_mul_hi_u32 s3, s4, s3
	s_add_i32 s4, s4, s3
	s_mul_hi_u32 s3, s2, s4
	s_mul_i32 s5, s3, s29
	s_sub_i32 s2, s2, s5
	s_add_i32 s4, s3, 1
	s_sub_i32 s5, s2, s29
	s_cmp_ge_u32 s2, s29
	s_cselect_b32 s3, s4, s3
	s_cselect_b32 s2, s5, s2
	s_add_i32 s4, s3, 1
	s_cmp_ge_u32 s2, s29
	s_cselect_b32 s30, s4, s3
.LBB14_9:
	s_abs_i32 s99, s98
	v_cvt_f32_u32_e32 v1, s99
	s_load_dwordx16 s[36:51], s[0:1], 0x0
	s_load_dword s6, s[0:1], 0x40
	s_load_dwordx2 s[22:23], s[0:1], 0x8c
	s_load_dwordx4 s[12:15], s[0:1], 0x98
	s_load_dwordx2 s[18:19], s[0:1], 0xa8
	s_load_dwordx2 s[34:35], s[0:1], 0xb8
	s_load_dwordx2 s[20:21], s[0:1], 0xc8
	s_waitcnt lgkmcnt(0)
	s_ashr_i32 s54, s22, 2
	s_sub_i32 s2, 0, s99
	v_rcp_iflag_f32_e32 v1, v1
	s_abs_i32 s1, s26
	s_ashr_i32 s27, s11, 3
	s_ashr_i32 s7, s24, 3
	v_mul_f32_e32 v1, 0x4f7ffffe, v1
	v_cvt_u32_f32_e32 v1, v1
	s_ashr_i32 s10, s35, 1
	s_ashr_i32 s56, s14, 2
	;; [unrolled: 1-line block ×3, first 2 shown]
	v_readfirstlane_b32 s22, v1
	s_mul_i32 s2, s2, s22
	s_mul_hi_u32 s2, s22, s2
	s_add_i32 s22, s22, s2
	s_mul_hi_u32 s2, s1, s22
	s_mul_i32 s2, s2, s99
	s_sub_i32 s1, s1, s2
	s_ashr_i32 s14, s98, 31
	s_sub_i32 s2, s1, s99
	s_cmp_ge_u32 s1, s99
	s_cselect_b32 s1, s2, s1
	s_sub_i32 s2, s1, s99
	s_cmp_ge_u32 s1, s99
	s_cselect_b32 s1, s2, s1
	s_xor_b32 s1, s1, s0
	s_sub_i32 s70, s1, s0
	s_sub_i32 s0, s30, s26
	s_add_i32 s2, s0, s70
	s_min_i32 s35, s98, s2
	s_cmp_gt_i32 s30, s26
	s_cselect_b64 s[4:5], -1, 0
	s_cmp_le_i32 s30, s26
	s_cselect_b64 s[0:1], -1, 0
	s_cmp_gt_i32 s98, s2
	v_cvt_f16_f32_e32 v1, s6
	v_writelane_b32 v230, s29, 4
	s_cselect_b64 s[2:3], -1, 0
	s_or_b64 s[0:1], s[2:3], s[0:1]
	v_bfe_u32 v2, v0, 5, 5
	v_bfe_u32 v39, v0, 10, 10
	v_writelane_b32 v230, s7, 5
	s_mov_b32 s29, 0
	s_and_b64 vcc, exec, s[0:1]
	v_lshl_add_u32 v41, v39, 1, v2
	v_and_b32_e32 v40, 31, v0
	v_writelane_b32 v230, s34, 6
	s_nop 1
	v_writelane_b32 v230, s35, 7
	s_cbranch_vccnz .LBB14_252
; %bb.10:
	s_cmp_eq_u64 s[44:45], 0
	s_cselect_b64 s[58:59], -1, 0
	s_cmp_lg_u64 s[46:47], 0
	s_cselect_b64 s[0:1], -1, 0
	v_writelane_b32 v230, s0, 8
	s_mov_b32 s3, s29
	v_bfe_u32 v5, v0, 3, 7
	v_writelane_b32 v230, s1, 9
	s_ashr_i32 s11, s10, 31
	v_readlane_b32 s2, v230, 3
	s_lshl_b32 s28, s2, 6
	s_ashr_i32 s55, s54, 31
	v_writelane_b32 v230, s2, 10
	s_ashr_i32 s57, s56, 31
	v_bfe_u32 v2, v0, 4, 6
	v_writelane_b32 v230, s3, 11
	s_lshl_b64 s[2:3], s[28:29], 3
	v_and_b32_e32 v38, 15, v0
	s_movk_i32 s0, 0xd00
	v_lshlrev_b32_e32 v6, 2, v5
	s_add_u32 s2, s50, s2
	v_lshl_add_u32 v4, v39, 2, v2
	v_mad_u32_u24 v2, v39, s0, 0
	v_mul_u32_u24_e32 v3, 0xd0, v38
	v_and_b32_e32 v7, 0x78, v6
	s_addc_u32 s3, s51, s3
	s_abs_i32 s29, s97
	v_add3_u32 v43, v2, v3, v7
	v_add_u32_e32 v79, 0, v7
	v_cvt_f32_u32_e32 v7, s29
	v_and_b32_e32 v3, 0x3ff, v0
	v_lshlrev_b32_e32 v8, 1, v3
	v_and_b32_e32 v42, 62, v8
	v_lshlrev_b32_e32 v8, 4, v39
	v_bfe_u32 v9, v0, 2, 8
	v_lshlrev_b32_e32 v10, 2, v3
	v_rcp_iflag_f32_e32 v7, v7
	s_movk_i32 s5, 0xd0
	v_mul_u32_u24_e32 v2, 0x90, v41
	v_add_u32_e32 v9, v8, v9
	v_and_b32_e32 v48, 12, v10
	v_lshlrev_b32_e32 v15, 1, v42
	v_mul_lo_u32 v46, s54, v9
	v_lshl_add_u32 v11, v39, 3, v5
	v_and_b32_e32 v50, 28, v10
	v_and_or_b32 v10, v0, 8, v8
	v_mul_lo_u32 v56, s56, v9
	v_add3_u32 v69, 0, v2, v15
	v_mad_u32_u24 v2, v9, s5, 0
	v_lshlrev_b32_e32 v9, 2, v48
	s_movk_i32 s1, 0x80
	s_movk_i32 s0, 0x90
	v_mul_u32_u24_e32 v12, 0xd0, v11
	v_lshrrev_b32_e32 v10, 3, v10
	v_add3_u32 v75, v2, v9, s1
	v_lshlrev_b32_e32 v2, 2, v50
	s_abs_i32 s28, s96
	v_lshrrev_b32_e32 v13, 1, v0
	v_lshlrev_b32_e32 v5, 1, v5
	v_add3_u32 v77, 0, v12, v2
	v_mad_u32_u24 v2, v10, s0, 0
	v_cvt_f32_u32_e32 v10, s28
	v_mul_f32_e32 v7, 0x4f7ffffe, v7
	v_mul_lo_u32 v52, s54, v11
	v_and_b32_e32 v13, 0x78, v13
	v_mul_lo_u32 v58, s56, v11
	v_and_b32_e32 v11, 60, v5
	v_or_b32_e32 v14, 2, v5
	v_or_b32_e32 v5, 3, v5
	;; [unrolled: 1-line block ×3, first 2 shown]
	v_lshl_add_u32 v122, v38, 1, 0
	v_cmp_gt_u32_e64 s[0:1], 16, v3
	v_or_b32_e32 v3, v8, v3
	v_cvt_u32_f32_e32 v7, v7
	v_mov_b32_e32 v45, 0
	v_mul_u32_u24_e32 v51, 0xd0, v5
	v_add_u32_e32 v120, v2, v13
	v_add_u32_e32 v121, v2, v6
	v_mad_u32_u24 v125, v5, s5, v122
	v_add_u32_e32 v2, 8, v41
	v_add_u32_e32 v5, 24, v41
	;; [unrolled: 1-line block ×3, first 2 shown]
	v_lshlrev_b32_e32 v44, 3, v3
	s_abs_i32 s52, s95
	v_mad_u32_u24 v123, v11, s5, v122
	v_lshrrev_b32_e32 v126, 3, v2
	v_add_u32_e32 v2, 16, v41
	v_lshrrev_b32_e32 v128, 3, v5
	v_add_u32_e32 v5, 32, v41
	;; [unrolled: 2-line block ×3, first 2 shown]
	v_lshl_add_u64 v[62:63], s[2:3], 0, v[44:45]
	v_and_b32_e32 v9, 15, v41
	s_movk_i32 s2, 0x7f0
	v_cvt_f32_u32_e32 v11, s52
	v_lshrrev_b32_e32 v127, 3, v2
	v_lshrrev_b32_e32 v129, 3, v5
	;; [unrolled: 1-line block ×3, first 2 shown]
	v_and_or_b32 v2, v2, s2, v9
	v_and_or_b32 v5, v5, s2, v9
	;; [unrolled: 1-line block ×3, first 2 shown]
	v_rcp_iflag_f32_e32 v9, v10
	s_sub_i32 s2, 0, s29
	v_mul_lo_u32 v10, s2, v7
	v_mul_hi_u32 v10, v7, v10
	s_abs_i32 s53, s34
	v_add_u32_e32 v132, v7, v10
	v_rcp_iflag_f32_e32 v10, v11
	v_cvt_f32_u32_e32 v11, s53
	v_mul_f32_e32 v9, 0x4f7ffffe, v9
	v_cvt_u32_f32_e32 v9, v9
	s_sub_i32 s2, 0, s28
	v_rcp_iflag_f32_e32 v11, v11
	v_mul_f32_e32 v10, 0x4f7ffffe, v10
	v_mul_lo_u32 v7, s2, v9
	v_mul_hi_u32 v7, v9, v7
	v_cvt_u32_f32_e32 v10, v10
	v_add_u32_e32 v133, v9, v7
	v_mul_f32_e32 v9, 0x4f7ffffe, v11
	v_cvt_u32_f32_e32 v9, v9
	s_sub_i32 s2, 0, s52
	v_mul_lo_u32 v7, s2, v10
	v_mul_hi_u32 v7, v10, v7
	s_sub_i32 s2, 0, s53
	v_add_u32_e32 v134, v10, v7
	v_mul_lo_u32 v7, s2, v9
	v_mul_hi_u32 v7, v9, v7
	v_add_u32_e32 v135, v9, v7
	v_and_b32_e32 v7, 3, v0
	v_lshlrev_b32_e32 v44, 4, v7
	v_add_u32_e32 v7, 56, v41
	v_lshrrev_b32_e32 v136, 3, v7
	s_movk_i32 s2, 0xff0
	v_add_u32_e32 v7, 16, v4
	v_and_b32_e32 v9, 15, v4
	v_add_u32_e32 v10, 32, v4
	v_add_u32_e32 v11, 48, v4
	v_lshrrev_b32_e32 v137, 3, v7
	v_and_or_b32 v7, v7, s2, v9
	v_lshrrev_b32_e32 v138, 3, v10
	v_and_or_b32 v10, v10, s2, v9
	v_and_or_b32 v9, v11, s2, v9
	v_lshrrev_b32_e32 v139, 3, v11
	v_or_b32_e32 v8, v8, v38
	v_mul_u32_u24_e32 v11, 0xd0, v2
	v_mad_u32_u24 v141, v2, s5, 0
	v_mad_u32_u24 v144, v7, s5, 0
	;; [unrolled: 1-line block ×4, first 2 shown]
	v_lshlrev_b32_e32 v2, 2, v38
	v_mad_u32_u24 v148, v4, s5, 0
	v_mad_u32_u24 v154, v41, s5, 0
	v_ashrrev_i32_e32 v57, 31, v56
	v_mul_u32_u24_e32 v140, 0xd0, v8
	v_mul_u32_u24_e32 v8, 0xd0, v3
	v_mad_u32_u24 v142, v5, s5, 0
	v_mad_u32_u24 v143, v6, s5, 0
	v_add_u32_e32 v147, 0, v2
	v_add_u32_e32 v149, v148, v2
	;; [unrolled: 1-line block ×5, first 2 shown]
	v_lshlrev_b32_e32 v2, 2, v40
	v_mov_b32_e32 v3, v45
	v_add_u32_e32 v156, 0x680, v154
	v_add_u32_e32 v159, 0x1380, v154
	;; [unrolled: 1-line block ×13, first 2 shown]
	v_lshl_add_u64 v[64:65], s[42:43], 0, v[2:3]
	v_lshl_add_u64 v[2:3], v[56:57], 2, v[44:45]
	v_ashrrev_i32_e32 v47, 31, v46
	v_lshl_add_u64 v[2:3], s[40:41], 0, v[2:3]
	s_mov_b64 s[64:65], 0x80
	v_lshl_add_u64 v[66:67], v[2:3], 0, s[64:65]
	v_lshl_add_u64 v[2:3], v[46:47], 2, v[44:45]
	v_lshl_add_u32 v54, s54, 5, v52
	v_lshl_add_u32 v60, s56, 5, v58
	s_lshl_b64 s[2:3], s[10:11], 1
	v_lshl_add_u64 v[2:3], s[38:39], 0, v[2:3]
	v_and_b32_e32 v74, 7, v4
	s_mov_b32 s4, 0x10001
	v_ashrrev_i32_e32 v53, 31, v52
	v_ashrrev_i32_e32 v55, 31, v54
	;; [unrolled: 1-line block ×4, first 2 shown]
	v_mul_u32_u24_e32 v12, 0xd0, v5
	v_mul_u32_u24_e32 v5, 0xd0, v6
	;; [unrolled: 1-line block ×5, first 2 shown]
	v_writelane_b32 v230, s2, 12
	v_and_b32_e32 v68, 7, v0
	v_lshl_add_u64 v[72:73], v[2:3], 0, s[64:65]
	v_mul_lo_u32 v2, v74, s7
	v_mbcnt_lo_u32_b32 v187, -1, 0
	v_and_b32_e32 v78, 7, v41
	v_mul_u32_u24_e32 v49, 0xd0, v14
	v_mad_u32_u24 v124, v14, s5, v122
	s_ashr_i32 s62, s97, 31
	s_ashr_i32 s63, s96, 31
	;; [unrolled: 1-line block ×3, first 2 shown]
	v_writelane_b32 v230, s3, 13
	s_lshl_b64 s[66:67], s[56:57], 8
	v_lshlrev_b32_e32 v70, 4, v68
	v_mov_b32_e32 v71, v45
	s_lshl_b64 s[68:69], s[54:55], 8
	s_mov_b32 s11, 0x3fb8aa3b
	s_mov_b32 s3, 0xc2ce8ed0
	;; [unrolled: 1-line block ×5, first 2 shown]
	v_add_u32_e32 v167, v153, v11
	v_add_u32_e32 v168, v153, v12
	;; [unrolled: 1-line block ×7, first 2 shown]
	v_mul_lo_u32 v174, v1, s4
	v_add_u32_e32 v175, 0x1a00, v77
	v_mad_u32_u24 v176, v38, s5, v79
	v_add_u32_e32 v177, 32, v120
	v_add_u32_e32 v178, 64, v120
	v_add_u32_e32 v179, 0x60, v120
	v_lshrrev_b32_e32 v180, 3, v41
	v_mul_u32_u24_e32 v181, 0xd0, v41
	v_lshrrev_b32_e32 v182, 3, v4
	v_mul_u32_u24_e32 v183, 0xd0, v4
	v_add3_u32 v76, v2, v38, 32
	v_add_u32_e32 v184, 0xd00, v149
	v_add_u32_e32 v185, 0x1a00, v149
	;; [unrolled: 1-line block ×3, first 2 shown]
	v_mbcnt_hi_u32_b32 v188, -1, v187
	v_mov_b32_e32 v189, 0x7f800000
	v_mad_u64_u32 v[80:81], s[4:5], v78, s7, v[40:41]
	v_lshl_add_u64 v[82:83], v[58:59], 2, s[40:41]
	v_lshl_add_u64 v[84:85], v[60:61], 2, s[40:41]
	;; [unrolled: 1-line block ×4, first 2 shown]
	s_branch .LBB14_12
.LBB14_11:                              ;   in Loop: Header=BB14_12 Depth=1
	s_or_b64 exec, exec, s[4:5]
	s_add_i32 s4, s26, s98
	s_abs_i32 s6, s4
	s_mul_hi_u32 s7, s6, s22
	s_mul_i32 s7, s7, s99
	s_sub_i32 s6, s6, s7
	s_ashr_i32 s5, s4, 31
	s_sub_i32 s7, s6, s99
	s_cmp_ge_u32 s6, s99
	s_cselect_b32 s6, s7, s6
	s_sub_i32 s7, s6, s99
	s_cmp_ge_u32 s6, s99
	s_cselect_b32 s6, s7, s6
	s_xor_b32 s6, s6, s5
	s_sub_i32 s5, s5, s6
	s_add_i32 s26, s4, s5
	s_sub_i32 s6, s30, s26
	s_min_i32 s35, s98, s6
	s_cmp_gt_i32 s30, s26
	s_cselect_b64 s[4:5], -1, 0
	s_cmp_le_i32 s98, s6
	s_cselect_b64 s[6:7], -1, 0
	s_and_b64 s[6:7], s[6:7], s[4:5]
	s_mov_b32 s70, 0
	s_and_b64 vcc, exec, s[6:7]
	s_cbranch_vccz .LBB14_252
.LBB14_12:                              ; =>This Loop Header: Depth=1
                                        ;     Child Loop BB14_67 Depth 2
                                        ;     Child Loop BB14_185 Depth 2
	s_abs_i32 s5, s26
	v_mul_hi_u32 v2, s5, v132
	v_mul_lo_u32 v3, v2, s29
	v_sub_u32_e32 v3, s5, v3
	v_add_u32_e32 v4, 1, v2
	v_subrev_u32_e32 v5, s29, v3
	v_cmp_le_u32_e32 vcc, s29, v3
	s_ashr_i32 s4, s26, 31
	s_xor_b32 s4, s4, s62
	v_cndmask_b32_e32 v2, v2, v4, vcc
	v_cndmask_b32_e32 v3, v3, v5, vcc
	v_add_u32_e32 v4, 1, v2
	v_cmp_le_u32_e32 vcc, s29, v3
	s_nop 1
	v_cndmask_b32_e32 v2, v2, v4, vcc
	v_xor_b32_e32 v2, s4, v2
	v_subrev_u32_e32 v2, s4, v2
	v_mul_lo_u32 v3, v2, s97
	v_sub_u32_e32 v4, s26, v3
	v_sub_u32_e32 v5, 0, v4
	v_max_i32_e32 v5, v4, v5
	v_mul_hi_u32 v6, v5, v133
	v_mul_lo_u32 v7, v6, s28
	v_sub_u32_e32 v5, v5, v7
	v_add_u32_e32 v7, 1, v6
	v_subrev_u32_e32 v8, s28, v5
	v_cmp_le_u32_e32 vcc, s28, v5
	v_ashrrev_i32_e32 v3, 31, v4
	v_xor_b32_e32 v3, s63, v3
	v_cndmask_b32_e32 v6, v6, v7, vcc
	v_cndmask_b32_e32 v5, v5, v8, vcc
	v_add_u32_e32 v7, 1, v6
	v_cmp_le_u32_e32 vcc, s28, v5
	v_readlane_b32 s4, v230, 8
	v_readlane_b32 s5, v230, 9
	v_cndmask_b32_e32 v5, v6, v7, vcc
	v_xor_b32_e32 v5, v5, v3
	v_sub_u32_e32 v3, v5, v3
	v_mul_lo_u32 v5, v3, s96
	v_sub_u32_e32 v4, v4, v5
	v_sub_u32_e32 v6, 0, v4
	v_max_i32_e32 v6, v4, v6
	v_mul_hi_u32 v7, v6, v134
	v_mul_lo_u32 v8, v7, s52
	v_sub_u32_e32 v6, v6, v8
	v_add_u32_e32 v8, 1, v7
	v_subrev_u32_e32 v9, s52, v6
	v_cmp_le_u32_e32 vcc, s52, v6
	v_ashrrev_i32_e32 v5, 31, v4
	v_xor_b32_e32 v5, s31, v5
	v_cndmask_b32_e32 v7, v7, v8, vcc
	v_cndmask_b32_e32 v6, v6, v9, vcc
	v_add_u32_e32 v8, 1, v7
	v_cmp_le_u32_e32 vcc, s52, v6
	s_nop 1
	v_cndmask_b32_e32 v6, v7, v8, vcc
	v_xor_b32_e32 v6, v6, v5
	v_sub_u32_e32 v5, v6, v5
	v_mul_lo_u32 v6, v5, s95
	v_sub_u32_e32 v4, v4, v6
	v_sub_u32_e32 v7, 0, v4
	v_ashrrev_i32_e32 v6, 31, v4
	v_max_i32_e32 v4, v4, v7
	v_mul_hi_u32 v7, v4, s22
	v_mul_lo_u32 v8, v7, s99
	v_sub_u32_e32 v4, v4, v8
	v_add_u32_e32 v8, 1, v7
	v_subrev_u32_e32 v9, s99, v4
	v_cmp_le_u32_e32 vcc, s99, v4
	v_xor_b32_e32 v6, s14, v6
	s_nop 0
	v_cndmask_b32_e32 v7, v7, v8, vcc
	v_cndmask_b32_e32 v4, v4, v9, vcc
	v_add_u32_e32 v8, 1, v7
	v_cmp_le_u32_e32 vcc, s99, v4
	s_nop 1
	v_cndmask_b32_e32 v4, v7, v8, vcc
	v_xor_b32_e32 v4, v4, v6
	s_andn2_b64 vcc, exec, s[4:5]
	v_sub_u32_e32 v4, v4, v6
	s_cbranch_vccnz .LBB14_14
; %bb.13:                               ;   in Loop: Header=BB14_12 Depth=1
	v_readlane_b32 s4, v230, 0
	s_nop 1
	v_mul_lo_u32 v6, v2, s4
	v_add_u32_e32 v6, v4, v6
	v_ashrrev_i32_e32 v7, 31, v6
	v_lshlrev_b64 v[6:7], 2, v[6:7]
	v_lshl_add_u64 v[6:7], s[46:47], 0, v[6:7]
	global_load_dword v6, v[6:7], off
	s_waitcnt vmcnt(0)
	v_readfirstlane_b32 s4, v6
	s_ashr_i32 s5, s4, 31
	s_lshr_b32 s5, s5, 26
	s_add_i32 s4, s4, s5
	s_ashr_i32 s4, s4, 6
	s_min_i32 s35, s35, s4
.LBB14_14:                              ;   in Loop: Header=BB14_12 Depth=1
	v_mul_lo_u32 v6, v3, s33
	v_lshlrev_b32_e32 v194, 3, v5
	v_add_u32_e32 v6, v194, v6
	v_mul_lo_u32 v8, v2, s25
	v_ashrrev_i32_e32 v9, 31, v8
	v_mul_lo_u32 v10, v6, s24
	v_lshl_add_u64 v[8:9], s[36:37], 0, v[8:9]
	v_ashrrev_i32_e32 v11, 31, v10
	v_ashrrev_i32_e32 v5, 31, v2
	v_lshl_add_u64 v[110:111], v[8:9], 0, v[10:11]
	v_mul_hi_u32 v7, s12, v2
	v_mul_lo_u32 v8, s12, v5
	v_add_u32_e32 v7, v7, v8
	v_mul_lo_u32 v8, s13, v2
	v_add_u32_e32 v101, v7, v8
	v_mul_lo_u32 v100, s12, v2
	v_mul_lo_u32 v102, v3, s23
	v_sub_u32_e32 v7, 0, v2
	v_lshl_add_u64 v[8:9], s[38:39], 0, v[100:101]
	v_ashrrev_i32_e32 v103, 31, v102
	v_max_i32_e32 v7, v2, v7
	v_lshl_add_u64 v[96:97], v[8:9], 0, v[102:103]
	v_mul_hi_u32 v8, v7, v135
	v_mul_lo_u32 v8, v8, s53
	v_sub_u32_e32 v7, v7, v8
	v_subrev_u32_e32 v8, s53, v7
	v_cmp_le_u32_e32 vcc, s53, v7
	s_mul_i32 s4, s8, s9
	v_mul_lo_u32 v106, s18, v2
	v_cndmask_b32_e32 v7, v7, v8, vcc
	v_subrev_u32_e32 v8, s53, v7
	v_cmp_le_u32_e32 vcc, s53, v7
	v_mul_lo_u32 v108, v3, s15
	v_ashrrev_i32_e32 v109, 31, v108
	v_cndmask_b32_e32 v7, v7, v8, vcc
	v_xor_b32_e32 v7, v7, v5
	v_sub_u32_e32 v7, v7, v5
	v_ashrrev_i32_e32 v8, 31, v7
	v_mul_lo_u32 v8, s20, v8
	v_mul_hi_u32 v9, s20, v7
	v_add_u32_e32 v8, v9, v8
	v_mul_lo_u32 v9, s21, v7
	v_mul_lo_u32 v104, s20, v7
	;; [unrolled: 1-line block ×3, first 2 shown]
	v_add_u32_e32 v7, v6, v7
	v_mul_lo_u32 v44, v7, 48
	v_mul_hi_u32 v7, s18, v2
	v_mul_lo_u32 v5, s18, v5
	v_add_u32_e32 v5, v7, v5
	v_mul_lo_u32 v7, s19, v2
	v_add_u32_e32 v107, v5, v7
	v_ashrrev_i32_e32 v7, 31, v6
	v_add_u32_e32 v105, v8, v9
	v_lshlrev_b64 v[8:9], 3, v[44:45]
	v_lshlrev_b64 v[2:3], 2, v[6:7]
	v_lshl_add_u64 v[90:91], s[48:49], 0, v[8:9]
	v_lshl_add_u64 v[8:9], s[40:41], 0, v[106:107]
	;; [unrolled: 1-line block ×3, first 2 shown]
	v_lshlrev_b32_e32 v193, 3, v4
	v_lshl_add_u64 v[98:99], s[42:43], 0, v[104:105]
	v_lshl_add_u64 v[94:95], v[8:9], 0, v[108:109]
	v_cndmask_b32_e64 v93, v3, 0, s[58:59]
	v_cndmask_b32_e64 v92, v2, 0, s[58:59]
	s_cmp_lg_u32 s70, 0
	v_add_u32_e32 v81, v180, v193
	v_or_b32_e32 v190, v78, v194
	s_cbranch_scc0 .LBB14_68
; %bb.15:                               ;   in Loop: Header=BB14_12 Depth=1
	v_cmp_le_i32_e64 s[4:5], s8, v81
	v_cmp_le_i32_e64 s[6:7], s33, v190
	v_cmp_gt_i32_e32 vcc, s33, v190
	s_or_b64 s[4:5], s[4:5], s[6:7]
	s_and_saveexec_b64 s[6:7], s[4:5]
	s_xor_b64 s[4:5], exec, s[6:7]
; %bb.16:                               ;   in Loop: Header=BB14_12 Depth=1
	v_add_u32_e32 v2, v153, v181
	ds_write_b32 v2, v45
; %bb.17:                               ;   in Loop: Header=BB14_12 Depth=1
	s_andn2_saveexec_b64 s[4:5], s[4:5]
	s_cbranch_execz .LBB14_19
; %bb.18:                               ;   in Loop: Header=BB14_12 Depth=1
	v_mad_u64_u32 v[2:3], s[6:7], v81, s27, v[80:81]
	v_ashrrev_i32_e32 v3, 31, v2
	v_lshl_add_u64 v[2:3], v[2:3], 3, v[110:111]
	global_load_dwordx2 v[2:3], v[2:3], off
	s_waitcnt vmcnt(0)
	v_cvt_pk_f16_f32 v2, v2, v3
	v_pk_mul_f16 v2, v2, v174
	v_add_u32_e32 v3, v153, v181
	ds_write_b32 v3, v2
.LBB14_19:                              ;   in Loop: Header=BB14_12 Depth=1
	s_or_b64 exec, exec, s[4:5]
	v_add_u32_e32 v204, v126, v193
	v_cmp_le_i32_e64 s[4:5], s8, v204
	s_xor_b64 s[6:7], vcc, -1
	s_or_b64 s[4:5], s[4:5], s[6:7]
	s_and_saveexec_b64 s[60:61], s[4:5]
	s_xor_b64 s[4:5], exec, s[60:61]
; %bb.20:                               ;   in Loop: Header=BB14_12 Depth=1
	v_add_u32_e32 v2, v153, v181
	ds_write_b32 v2, v45 offset:1664
; %bb.21:                               ;   in Loop: Header=BB14_12 Depth=1
	s_andn2_saveexec_b64 s[4:5], s[4:5]
	s_cbranch_execz .LBB14_23
; %bb.22:                               ;   in Loop: Header=BB14_12 Depth=1
	v_mad_u64_u32 v[2:3], s[60:61], v204, s27, v[80:81]
	v_ashrrev_i32_e32 v3, 31, v2
	v_lshl_add_u64 v[2:3], v[2:3], 3, v[110:111]
	global_load_dwordx2 v[2:3], v[2:3], off
	s_waitcnt vmcnt(0)
	v_cvt_pk_f16_f32 v2, v2, v3
	v_pk_mul_f16 v2, v2, v174
	v_add_u32_e32 v3, v153, v181
	ds_write_b32 v3, v2 offset:1664
.LBB14_23:                              ;   in Loop: Header=BB14_12 Depth=1
	s_or_b64 exec, exec, s[4:5]
	v_add_u32_e32 v203, v127, v193
	v_cmp_le_i32_e32 vcc, s8, v203
	s_or_b64 s[4:5], vcc, s[6:7]
	s_and_saveexec_b64 s[60:61], s[4:5]
	s_xor_b64 s[4:5], exec, s[60:61]
; %bb.24:                               ;   in Loop: Header=BB14_12 Depth=1
	v_add_u32_e32 v2, v153, v181
	ds_write_b32 v2, v45 offset:3328
; %bb.25:                               ;   in Loop: Header=BB14_12 Depth=1
	s_andn2_saveexec_b64 s[4:5], s[4:5]
	s_cbranch_execz .LBB14_27
; %bb.26:                               ;   in Loop: Header=BB14_12 Depth=1
	v_mad_u64_u32 v[2:3], s[60:61], v203, s27, v[80:81]
	v_ashrrev_i32_e32 v3, 31, v2
	v_lshl_add_u64 v[2:3], v[2:3], 3, v[110:111]
	global_load_dwordx2 v[2:3], v[2:3], off
	s_waitcnt vmcnt(0)
	v_cvt_pk_f16_f32 v2, v2, v3
	v_pk_mul_f16 v2, v2, v174
	v_add_u32_e32 v3, v153, v181
	ds_write_b32 v3, v2 offset:3328
.LBB14_27:                              ;   in Loop: Header=BB14_12 Depth=1
	s_or_b64 exec, exec, s[4:5]
	v_add_u32_e32 v202, v128, v193
	v_cmp_le_i32_e32 vcc, s8, v202
	s_or_b64 s[4:5], vcc, s[6:7]
	;; [unrolled: 23-line block ×6, first 2 shown]
	s_and_saveexec_b64 s[6:7], s[4:5]
	s_xor_b64 s[4:5], exec, s[6:7]
; %bb.44:                               ;   in Loop: Header=BB14_12 Depth=1
	v_add_u32_e32 v2, v153, v181
	ds_write_b32 v2, v45 offset:11648
; %bb.45:                               ;   in Loop: Header=BB14_12 Depth=1
	s_andn2_saveexec_b64 s[4:5], s[4:5]
	s_cbranch_execz .LBB14_47
; %bb.46:                               ;   in Loop: Header=BB14_12 Depth=1
	v_mad_u64_u32 v[2:3], s[6:7], v197, s27, v[80:81]
	v_ashrrev_i32_e32 v3, 31, v2
	v_lshl_add_u64 v[2:3], v[2:3], 3, v[110:111]
	global_load_dwordx2 v[2:3], v[2:3], off
	s_waitcnt vmcnt(0)
	v_cvt_pk_f16_f32 v2, v2, v3
	v_pk_mul_f16 v2, v2, v174
	v_add_u32_e32 v3, v153, v181
	ds_write_b32 v3, v2 offset:11648
.LBB14_47:                              ;   in Loop: Header=BB14_12 Depth=1
	s_or_b64 exec, exec, s[4:5]
	v_add_u32_e32 v196, v182, v193
	v_or_b32_e32 v198, v74, v194
	v_cmp_le_i32_e64 s[4:5], s8, v196
	v_cmp_le_i32_e64 s[6:7], s33, v198
	v_cmp_gt_i32_e32 vcc, s33, v198
	s_or_b64 s[4:5], s[4:5], s[6:7]
	s_and_saveexec_b64 s[6:7], s[4:5]
	s_xor_b64 s[4:5], exec, s[6:7]
; %bb.48:                               ;   in Loop: Header=BB14_12 Depth=1
	ds_write_b32 v149, v45 offset:128
; %bb.49:                               ;   in Loop: Header=BB14_12 Depth=1
	s_andn2_saveexec_b64 s[4:5], s[4:5]
	s_cbranch_execz .LBB14_51
; %bb.50:                               ;   in Loop: Header=BB14_12 Depth=1
	v_mad_u64_u32 v[2:3], s[6:7], v196, s27, v[76:77]
	v_ashrrev_i32_e32 v3, 31, v2
	v_lshl_add_u64 v[2:3], v[2:3], 3, v[110:111]
	global_load_dwordx2 v[2:3], v[2:3], off
	s_waitcnt vmcnt(0)
	v_cvt_pk_f16_f32 v2, v2, v3
	v_pk_mul_f16 v2, v2, v174
	v_add_u32_e32 v3, v147, v183
	ds_write_b32 v3, v2 offset:128
.LBB14_51:                              ;   in Loop: Header=BB14_12 Depth=1
	s_or_b64 exec, exec, s[4:5]
	v_add_u32_e32 v195, v137, v193
	v_cmp_le_i32_e64 s[4:5], s8, v195
	s_xor_b64 s[6:7], vcc, -1
	s_or_b64 s[4:5], s[4:5], s[6:7]
	s_and_saveexec_b64 s[60:61], s[4:5]
	s_xor_b64 s[4:5], exec, s[60:61]
; %bb.52:                               ;   in Loop: Header=BB14_12 Depth=1
	ds_write_b32 v184, v45 offset:128
; %bb.53:                               ;   in Loop: Header=BB14_12 Depth=1
	s_andn2_saveexec_b64 s[4:5], s[4:5]
	s_cbranch_execz .LBB14_55
; %bb.54:                               ;   in Loop: Header=BB14_12 Depth=1
	v_mad_u64_u32 v[2:3], s[60:61], v195, s27, v[76:77]
	v_ashrrev_i32_e32 v3, 31, v2
	v_lshl_add_u64 v[2:3], v[2:3], 3, v[110:111]
	global_load_dwordx2 v[2:3], v[2:3], off
	s_waitcnt vmcnt(0)
	v_cvt_pk_f16_f32 v2, v2, v3
	v_pk_mul_f16 v2, v2, v174
	v_add_u32_e32 v3, v147, v183
	ds_write_b32 v3, v2 offset:3456
.LBB14_55:                              ;   in Loop: Header=BB14_12 Depth=1
	s_or_b64 exec, exec, s[4:5]
	v_add_u32_e32 v192, v138, v193
	v_cmp_le_i32_e32 vcc, s8, v192
	s_or_b64 s[4:5], vcc, s[6:7]
	s_and_saveexec_b64 s[60:61], s[4:5]
	s_xor_b64 s[4:5], exec, s[60:61]
; %bb.56:                               ;   in Loop: Header=BB14_12 Depth=1
	ds_write_b32 v185, v45 offset:128
; %bb.57:                               ;   in Loop: Header=BB14_12 Depth=1
	s_andn2_saveexec_b64 s[4:5], s[4:5]
	s_cbranch_execz .LBB14_59
; %bb.58:                               ;   in Loop: Header=BB14_12 Depth=1
	v_mad_u64_u32 v[2:3], s[60:61], v192, s27, v[76:77]
	v_ashrrev_i32_e32 v3, 31, v2
	v_lshl_add_u64 v[2:3], v[2:3], 3, v[110:111]
	global_load_dwordx2 v[2:3], v[2:3], off
	s_waitcnt vmcnt(0)
	v_cvt_pk_f16_f32 v2, v2, v3
	v_pk_mul_f16 v2, v2, v174
	v_add_u32_e32 v3, v147, v183
	ds_write_b32 v3, v2 offset:6784
.LBB14_59:                              ;   in Loop: Header=BB14_12 Depth=1
	s_or_b64 exec, exec, s[4:5]
	v_add_u32_e32 v191, v139, v193
	v_cmp_le_i32_e32 vcc, s8, v191
	s_or_b64 s[4:5], vcc, s[6:7]
	s_and_saveexec_b64 s[6:7], s[4:5]
	s_xor_b64 s[4:5], exec, s[6:7]
; %bb.60:                               ;   in Loop: Header=BB14_12 Depth=1
	ds_write_b32 v186, v45 offset:128
; %bb.61:                               ;   in Loop: Header=BB14_12 Depth=1
	s_andn2_saveexec_b64 s[4:5], s[4:5]
	s_cbranch_execz .LBB14_63
; %bb.62:                               ;   in Loop: Header=BB14_12 Depth=1
	v_mad_u64_u32 v[2:3], s[6:7], v191, s27, v[76:77]
	v_ashrrev_i32_e32 v3, 31, v2
	v_lshl_add_u64 v[2:3], v[2:3], 3, v[110:111]
	global_load_dwordx2 v[2:3], v[2:3], off
	s_waitcnt vmcnt(0)
	v_cvt_pk_f16_f32 v2, v2, v3
	v_pk_mul_f16 v2, v2, v174
	v_add_u32_e32 v3, v147, v183
	ds_write_b32 v3, v2 offset:10112
.LBB14_63:                              ;   in Loop: Header=BB14_12 Depth=1
	s_or_b64 exec, exec, s[4:5]
	s_waitcnt lgkmcnt(0)
	s_barrier
	ds_read2_b64 v[10:13], v43 offset1:4
	ds_read2_b64 v[6:9], v43 offset0:8 offset1:12
	ds_read2_b64 v[2:5], v43 offset0:16 offset1:20
	s_add_i32 s6, s35, -1
	s_cmp_lt_i32 s70, s6
	s_mov_b64 s[4:5], -1
	s_waitcnt lgkmcnt(0)
	s_barrier
                                        ; implicit-def: $vgpr207
                                        ; implicit-def: $vgpr208
                                        ; implicit-def: $vgpr209
	s_cbranch_scc1 .LBB14_65
; %bb.64:                               ;   in Loop: Header=BB14_12 Depth=1
	v_and_b32_e32 v14, 64, v188
	v_add_u32_e32 v207, 64, v14
	v_xor_b32_e32 v208, 32, v188
	v_xor_b32_e32 v209, 16, v188
	s_mov_b64 s[4:5], 0
.LBB14_65:                              ;   in Loop: Header=BB14_12 Depth=1
	v_add_u32_e32 v14, v193, v41
	v_mul_hi_u32 v15, s16, v14
	v_add_u32_e32 v15, v14, v15
	v_lshrrev_b32_e32 v15, s17, v15
	v_mul_lo_u32 v15, v15, s8
	v_sub_u32_e32 v14, v14, v15
	s_andn2_b64 vcc, exec, s[4:5]
	v_mad_i64_i32 v[112:113], s[4:5], v14, s10, 0
	s_cbranch_vccnz .LBB14_69
; %bb.66:                               ;   in Loop: Header=BB14_12 Depth=1
	v_lshl_add_u64 v[14:15], v[112:113], 1, v[98:99]
	v_lshlrev_b32_e32 v44, 1, v42
	v_mbcnt_hi_u32_b32 v210, -1, v187
	v_lshl_add_u64 v[114:115], v[14:15], 0, v[44:45]
	v_and_b32_e32 v14, 64, v210
	v_add_u32_e32 v207, 64, v14
	v_xor_b32_e32 v208, 32, v210
	v_cmp_lt_i32_e32 vcc, v208, v207
	v_xor_b32_e32 v209, 16, v210
	s_lshl_b32 s4, s70, 6
	v_cndmask_b32_e32 v14, v210, v208, vcc
	v_cmp_lt_i32_e32 vcc, v209, v207
	v_lshlrev_b32_e32 v211, 2, v14
	v_mov_b32_e32 v118, 0
	v_cndmask_b32_e32 v14, v210, v209, vcc
	v_lshlrev_b32_e32 v212, 2, v14
	v_mov_b32_e32 v206, 0xfeffffff
	v_mov_b32_e32 v205, 0
	;; [unrolled: 1-line block ×13, first 2 shown]
.LBB14_67:                              ;   Parent Loop BB14_12 Depth=1
                                        ; =>  This Inner Loop Header: Depth=2
	s_ashr_i32 s5, s4, 31
	v_lshl_add_u64 v[14:15], s[4:5], 1, v[114:115]
	global_load_dword v14, v[14:15], off
	s_mul_hi_i32 s61, s4, s54
	s_mul_i32 s60, s4, s54
	s_lshl_b64 s[60:61], s[60:61], 2
	v_lshlrev_b32_e32 v44, 2, v48
	v_lshlrev_b32_e32 v26, 2, v50
	v_mov_b32_e32 v27, v45
	v_add_u32_e32 v34, 0x800, v176
	v_mov_b32_e32 v30, v205
	v_add_u32_e32 v205, 0x1800, v176
	v_mov_b32_e32 v31, v206
	s_add_i32 s70, s70, 1
	s_waitcnt vmcnt(0)
	ds_write_b32 v69, v14 offset:13312
	v_lshl_add_u64 v[14:15], v[96:97], 0, s[60:61]
	v_lshl_add_u64 v[16:17], v[46:47], 2, v[14:15]
	;; [unrolled: 1-line block ×6, first 2 shown]
	global_load_dwordx4 v[14:17], v[16:17], off offset:128
	v_lshl_add_u64 v[18:19], v[18:19], 0, v[26:27]
	s_mul_hi_i32 s61, s4, s56
	s_mul_i32 s60, s4, s56
	s_lshl_b64 s[60:61], s[60:61], 2
	s_add_i32 s4, s4, 64
	s_cmp_lt_i32 s70, s6
	s_waitcnt vmcnt(0)
	ds_write_b128 v75, v[14:17]
	global_load_dwordx4 v[14:17], v[18:19], off
	s_waitcnt vmcnt(0)
	ds_write_b128 v77, v[14:17]
	global_load_dwordx4 v[14:17], v[20:21], off
	s_waitcnt vmcnt(0)
	ds_write_b128 v175, v[14:17]
	s_waitcnt lgkmcnt(0)
	s_barrier
	ds_read2_b64 v[14:17], v176 offset1:4
	s_waitcnt lgkmcnt(0)
	v_mfma_f32_16x16x16_f16 v[18:21], v[14:15], v[10:11], 0
	v_mfma_f32_16x16x16_f16 v[14:17], v[16:17], v[12:13], v[18:21]
	s_nop 6
	ds_read2_b64 v[18:21], v176 offset0:8 offset1:12
	s_waitcnt lgkmcnt(0)
	v_mfma_f32_16x16x16_f16 v[14:17], v[18:19], v[6:7], v[14:17]
	v_mfma_f32_16x16x16_f16 v[14:17], v[20:21], v[8:9], v[14:17]
	ds_read2_b64 v[18:21], v176 offset0:16 offset1:20
	s_waitcnt lgkmcnt(0)
	v_mfma_f32_16x16x16_f16 v[14:17], v[18:19], v[2:3], v[14:17]
	v_mfma_f32_16x16x16_f16 v[14:17], v[20:21], v[4:5], v[14:17]
	;; [unrolled: 4-line block ×3, first 2 shown]
	s_nop 6
	ds_read2_b64 v[22:25], v34 offset0:168 offset1:172
	s_waitcnt lgkmcnt(0)
	v_mfma_f32_16x16x16_f16 v[18:21], v[22:23], v[6:7], v[18:21]
	v_mfma_f32_16x16x16_f16 v[18:21], v[24:25], v[8:9], v[18:21]
	ds_read2_b64 v[22:25], v34 offset0:176 offset1:180
	s_waitcnt lgkmcnt(0)
	v_mfma_f32_16x16x16_f16 v[18:21], v[22:23], v[2:3], v[18:21]
	v_mfma_f32_16x16x16_f16 v[18:21], v[24:25], v[4:5], v[18:21]
	;; [unrolled: 4-line block ×3, first 2 shown]
	s_nop 6
	ds_read2_b64 v[34:37], v205 offset0:72 offset1:76
	s_waitcnt lgkmcnt(0)
	v_mfma_f32_16x16x16_f16 v[22:25], v[34:35], v[6:7], v[22:25]
	v_mfma_f32_16x16x16_f16 v[22:25], v[36:37], v[8:9], v[22:25]
	ds_read2_b64 v[34:37], v205 offset0:80 offset1:84
	v_add_u32_e32 v205, 0x2000, v176
	s_waitcnt lgkmcnt(0)
	v_mfma_f32_16x16x16_f16 v[22:25], v[34:35], v[2:3], v[22:25]
	v_mfma_f32_16x16x16_f16 v[22:25], v[36:37], v[4:5], v[22:25]
	ds_read2_b64 v[34:37], v205 offset0:224 offset1:228
	s_waitcnt lgkmcnt(0)
	v_mfma_f32_16x16x16_f16 v[218:221], v[34:35], v[10:11], 0
	v_mfma_f32_16x16x16_f16 v[34:37], v[36:37], v[12:13], v[218:221]
	s_nop 6
	ds_read2_b64 v[218:221], v205 offset0:232 offset1:236
	s_waitcnt lgkmcnt(0)
	v_mfma_f32_16x16x16_f16 v[34:37], v[218:219], v[6:7], v[34:37]
	v_mfma_f32_16x16x16_f16 v[34:37], v[220:221], v[8:9], v[34:37]
	ds_read2_b64 v[218:221], v205 offset0:240 offset1:244
	s_waitcnt lgkmcnt(0)
	s_barrier
	ds_read_b32 v205, v120 offset:13312
	v_mfma_f32_16x16x16_f16 v[34:37], v[218:219], v[2:3], v[34:37]
	s_waitcnt lgkmcnt(0)
	v_cvt_f32_f16_e32 v206, v205
	v_cvt_f32_f16_sdwa v205, v205 dst_sel:DWORD dst_unused:UNUSED_PAD src0_sel:WORD_1
	v_add_f32_e32 v217, v14, v206
	ds_read_b32 v14, v121 offset:13312
	v_add_f32_e32 v205, v15, v205
	v_mfma_f32_16x16x16_f16 v[34:37], v[220:221], v[4:5], v[34:37]
	s_waitcnt lgkmcnt(0)
	v_cvt_f32_f16_e32 v15, v14
	v_cvt_f32_f16_sdwa v14, v14 dst_sel:DWORD dst_unused:UNUSED_PAD src0_sel:WORD_1
	v_add_f32_e32 v16, v16, v15
	v_add_f32_e32 v17, v17, v14
	v_add_u32_e32 v14, 0x3400, v177
	ds_read2_b32 v[14:15], v14 offset1:1
	s_waitcnt lgkmcnt(0)
	v_cvt_f32_f16_e32 v206, v14
	v_cvt_f32_f16_sdwa v14, v14 dst_sel:DWORD dst_unused:UNUSED_PAD src0_sel:WORD_1
	v_add_f32_e32 v218, v18, v206
	v_add_f32_e32 v19, v19, v14
	v_cvt_f32_f16_e32 v14, v15
	v_cvt_f32_f16_sdwa v15, v15 dst_sel:DWORD dst_unused:UNUSED_PAD src0_sel:WORD_1
	v_add_f32_e32 v20, v20, v14
	v_add_u32_e32 v14, 0x3400, v178
	v_add_f32_e32 v21, v21, v15
	ds_read2_b32 v[14:15], v14 offset1:1
	s_waitcnt lgkmcnt(0)
	v_cvt_f32_f16_e32 v18, v14
	v_cvt_f32_f16_sdwa v14, v14 dst_sel:DWORD dst_unused:UNUSED_PAD src0_sel:WORD_1
	v_add_f32_e32 v219, v22, v18
	v_add_f32_e32 v23, v23, v14
	v_cvt_f32_f16_e32 v14, v15
	v_cvt_f32_f16_sdwa v15, v15 dst_sel:DWORD dst_unused:UNUSED_PAD src0_sel:WORD_1
	v_add_f32_e32 v24, v24, v14
	v_add_u32_e32 v14, 0x3400, v179
	v_add_f32_e32 v25, v25, v15
	ds_read2_b32 v[14:15], v14 offset1:1
	s_waitcnt lgkmcnt(0)
	v_cvt_f32_f16_e32 v18, v14
	v_cvt_f32_f16_sdwa v14, v14 dst_sel:DWORD dst_unused:UNUSED_PAD src0_sel:WORD_1
	v_add_f32_e32 v34, v34, v18
	v_add_f32_e32 v35, v35, v14
	v_cvt_f32_f16_e32 v14, v15
	v_cvt_f32_f16_sdwa v15, v15 dst_sel:DWORD dst_unused:UNUSED_PAD src0_sel:WORD_1
	v_add_f32_e32 v18, 0x40051340, v17
	v_add_f32_e32 v36, v36, v14
	v_add_f32_e32 v37, v37, v15
	v_add_f32_e32 v14, 0x40051340, v217
	v_add_f32_e32 v15, 0x40051340, v205
	v_max3_f32 v14, v31, v14, v15
	v_add_f32_e32 v15, 0x40051340, v16
	v_max3_f32 v14, v14, v15, v18
	v_add_f32_e32 v15, 0x40051340, v218
	v_add_f32_e32 v18, 0x40051340, v19
	v_max3_f32 v14, v14, v15, v18
	v_add_f32_e32 v15, 0x40051340, v20
	;; [unrolled: 3-line block ×6, first 2 shown]
	v_add_f32_e32 v18, 0x40051340, v37
	v_max3_f32 v14, v14, v15, v18
	ds_bpermute_b32 v15, v211, v14
	s_waitcnt lgkmcnt(0)
	v_max_f32_e32 v15, v15, v15
	v_max_f32_e32 v14, v14, v15
	ds_bpermute_b32 v15, v212, v14
	s_waitcnt lgkmcnt(0)
	v_max_f32_e32 v15, v15, v15
	v_max_f32_e32 v206, v14, v15
	v_sub_f32_e32 v14, v217, v206
	v_mul_f32_e32 v15, 0x3fb8aa3b, v14
	v_fma_f32 v18, v14, s11, -v15
	v_rndne_f32_e32 v22, v15
	v_fmac_f32_e32 v18, 0x32a5705f, v14
	v_sub_f32_e32 v15, v15, v22
	v_add_f32_e32 v15, v15, v18
	v_exp_f32_e32 v15, v15
	v_cvt_i32_f32_e32 v18, v22
	v_cmp_ngt_f32_e32 vcc, s3, v14
	v_sub_f32_e32 v16, v16, v206
	v_sub_f32_e32 v17, v17, v206
	v_ldexp_f32 v15, v15, v18
	v_cndmask_b32_e32 v15, 0, v15, vcc
	v_cmp_nlt_f32_e32 vcc, s2, v14
	v_sub_f32_e32 v19, v19, v206
	v_sub_f32_e32 v20, v20, v206
	v_cndmask_b32_e32 v14, v189, v15, vcc
	v_sub_f32_e32 v15, v205, v206
	v_mul_f32_e32 v18, 0x3fb8aa3b, v15
	v_fma_f32 v22, v15, s11, -v18
	v_rndne_f32_e32 v205, v18
	v_fmac_f32_e32 v22, 0x32a5705f, v15
	v_sub_f32_e32 v18, v18, v205
	v_add_f32_e32 v18, v18, v22
	v_exp_f32_e32 v18, v18
	v_cvt_i32_f32_e32 v22, v205
	v_cmp_ngt_f32_e32 vcc, s3, v15
	v_sub_f32_e32 v21, v21, v206
	v_sub_f32_e32 v23, v23, v206
	v_ldexp_f32 v18, v18, v22
	v_mul_f32_e32 v22, 0x3fb8aa3b, v16
	v_fma_f32 v205, v16, s11, -v22
	v_rndne_f32_e32 v217, v22
	v_fmac_f32_e32 v205, 0x32a5705f, v16
	v_sub_f32_e32 v22, v22, v217
	v_add_f32_e32 v22, v22, v205
	v_exp_f32_e32 v22, v22
	v_cvt_i32_f32_e32 v205, v217
	v_cndmask_b32_e32 v18, 0, v18, vcc
	v_cmp_nlt_f32_e32 vcc, s2, v15
	v_sub_f32_e32 v24, v24, v206
	v_ldexp_f32 v22, v22, v205
	v_cndmask_b32_e32 v15, v189, v18, vcc
	v_cmp_ngt_f32_e32 vcc, s3, v16
	v_add_f32_e32 v18, v14, v15
	v_sub_f32_e32 v25, v25, v206
	v_cndmask_b32_e32 v22, 0, v22, vcc
	v_cmp_nlt_f32_e32 vcc, s2, v16
	v_sub_f32_e32 v35, v35, v206
	v_sub_f32_e32 v31, v31, v206
	v_cndmask_b32_e32 v16, v189, v22, vcc
	v_add_f32_e32 v22, v16, v18
	v_mul_f32_e32 v18, 0x3fb8aa3b, v17
	v_fma_f32 v205, v17, s11, -v18
	v_rndne_f32_e32 v217, v18
	v_fmac_f32_e32 v205, 0x32a5705f, v17
	v_sub_f32_e32 v18, v18, v217
	v_add_f32_e32 v18, v18, v205
	v_exp_f32_e32 v18, v18
	v_cvt_i32_f32_e32 v205, v217
	v_cmp_ngt_f32_e32 vcc, s3, v17
	v_ldexp_f32 v18, v18, v205
	s_nop 0
	v_cndmask_b32_e32 v18, 0, v18, vcc
	v_cmp_nlt_f32_e32 vcc, s2, v17
	v_sub_f32_e32 v17, v218, v206
	v_mul_f32_e32 v205, 0x3fb8aa3b, v17
	v_fma_f32 v217, v17, s11, -v205
	v_rndne_f32_e32 v218, v205
	v_fmac_f32_e32 v217, 0x32a5705f, v17
	v_sub_f32_e32 v205, v205, v218
	v_add_f32_e32 v205, v205, v217
	v_exp_f32_e32 v205, v205
	v_cvt_i32_f32_e32 v217, v218
	v_cndmask_b32_e32 v18, v189, v18, vcc
	v_cmp_ngt_f32_e32 vcc, s3, v17
	v_add_f32_e32 v22, v18, v22
	v_ldexp_f32 v205, v205, v217
	v_cndmask_b32_e32 v205, 0, v205, vcc
	v_cmp_nlt_f32_e32 vcc, s2, v17
	s_nop 1
	v_cndmask_b32_e32 v17, v189, v205, vcc
	v_mul_f32_e32 v205, 0x3fb8aa3b, v19
	v_fma_f32 v217, v19, s11, -v205
	v_rndne_f32_e32 v218, v205
	v_fmac_f32_e32 v217, 0x32a5705f, v19
	v_sub_f32_e32 v205, v205, v218
	v_add_f32_e32 v205, v205, v217
	v_exp_f32_e32 v205, v205
	v_cvt_i32_f32_e32 v217, v218
	v_cmp_ngt_f32_e32 vcc, s3, v19
	v_add_f32_e32 v22, v17, v22
	v_ldexp_f32 v205, v205, v217
	v_cndmask_b32_e32 v205, 0, v205, vcc
	v_cmp_nlt_f32_e32 vcc, s2, v19
	s_nop 1
	v_cndmask_b32_e32 v19, v189, v205, vcc
	v_mul_f32_e32 v205, 0x3fb8aa3b, v20
	v_fma_f32 v217, v20, s11, -v205
	v_rndne_f32_e32 v218, v205
	v_fmac_f32_e32 v217, 0x32a5705f, v20
	v_sub_f32_e32 v205, v205, v218
	v_add_f32_e32 v205, v205, v217
	v_exp_f32_e32 v205, v205
	v_cvt_i32_f32_e32 v217, v218
	v_cmp_ngt_f32_e32 vcc, s3, v20
	v_add_f32_e32 v22, v19, v22
	v_ldexp_f32 v205, v205, v217
	v_cndmask_b32_e32 v205, 0, v205, vcc
	v_cmp_nlt_f32_e32 vcc, s2, v20
	s_nop 1
	v_cndmask_b32_e32 v20, v189, v205, vcc
	v_add_f32_e32 v205, v20, v22
	v_mul_f32_e32 v22, 0x3fb8aa3b, v21
	v_fma_f32 v217, v21, s11, -v22
	v_rndne_f32_e32 v218, v22
	v_fmac_f32_e32 v217, 0x32a5705f, v21
	v_sub_f32_e32 v22, v22, v218
	v_add_f32_e32 v22, v22, v217
	v_exp_f32_e32 v22, v22
	v_cvt_i32_f32_e32 v217, v218
	v_cmp_ngt_f32_e32 vcc, s3, v21
	v_ldexp_f32 v22, v22, v217
	s_nop 0
	v_cndmask_b32_e32 v22, 0, v22, vcc
	v_cmp_nlt_f32_e32 vcc, s2, v21
	v_sub_f32_e32 v21, v219, v206
	v_mul_f32_e32 v217, 0x3fb8aa3b, v21
	v_fma_f32 v218, v21, s11, -v217
	v_rndne_f32_e32 v219, v217
	v_fmac_f32_e32 v218, 0x32a5705f, v21
	v_sub_f32_e32 v217, v217, v219
	v_add_f32_e32 v217, v217, v218
	v_exp_f32_e32 v217, v217
	v_cvt_i32_f32_e32 v218, v219
	v_cndmask_b32_e32 v22, v189, v22, vcc
	v_cmp_ngt_f32_e32 vcc, s3, v21
	v_add_f32_e32 v205, v22, v205
	v_ldexp_f32 v217, v217, v218
	v_cndmask_b32_e32 v217, 0, v217, vcc
	v_cmp_nlt_f32_e32 vcc, s2, v21
	s_nop 1
	v_cndmask_b32_e32 v21, v189, v217, vcc
	v_mul_f32_e32 v217, 0x3fb8aa3b, v23
	v_fma_f32 v218, v23, s11, -v217
	v_rndne_f32_e32 v219, v217
	v_fmac_f32_e32 v218, 0x32a5705f, v23
	v_sub_f32_e32 v217, v217, v219
	v_add_f32_e32 v217, v217, v218
	v_exp_f32_e32 v217, v217
	v_cvt_i32_f32_e32 v218, v219
	v_cmp_ngt_f32_e32 vcc, s3, v23
	v_add_f32_e32 v205, v21, v205
	v_ldexp_f32 v217, v217, v218
	v_cndmask_b32_e32 v217, 0, v217, vcc
	v_cmp_nlt_f32_e32 vcc, s2, v23
	s_nop 1
	v_cndmask_b32_e32 v23, v189, v217, vcc
	v_mul_f32_e32 v217, 0x3fb8aa3b, v24
	v_fma_f32 v218, v24, s11, -v217
	v_rndne_f32_e32 v219, v217
	v_fmac_f32_e32 v218, 0x32a5705f, v24
	v_sub_f32_e32 v217, v217, v219
	v_add_f32_e32 v217, v217, v218
	v_exp_f32_e32 v217, v217
	v_cvt_i32_f32_e32 v218, v219
	;; [unrolled: 15-line block ×3, first 2 shown]
	v_cmp_ngt_f32_e32 vcc, s3, v25
	v_add_f32_e32 v205, v24, v205
	v_ldexp_f32 v217, v217, v218
	v_cndmask_b32_e32 v217, 0, v217, vcc
	v_cmp_nlt_f32_e32 vcc, s2, v25
	v_sub_f32_e32 v25, v34, v206
	v_mul_f32_e32 v34, 0x3fb8aa3b, v25
	v_fma_f32 v218, v25, s11, -v34
	v_rndne_f32_e32 v219, v34
	v_fmac_f32_e32 v218, 0x32a5705f, v25
	v_sub_f32_e32 v34, v34, v219
	v_add_f32_e32 v34, v34, v218
	v_exp_f32_e32 v34, v34
	v_cvt_i32_f32_e32 v218, v219
	v_cndmask_b32_e32 v217, v189, v217, vcc
	v_cmp_ngt_f32_e32 vcc, s3, v25
	v_add_f32_e32 v205, v217, v205
	v_ldexp_f32 v34, v34, v218
	v_cndmask_b32_e32 v34, 0, v34, vcc
	v_cmp_nlt_f32_e32 vcc, s2, v25
	s_nop 1
	v_cndmask_b32_e32 v25, v189, v34, vcc
	v_add_f32_e32 v34, v25, v205
	v_mul_f32_e32 v205, 0x3fb8aa3b, v35
	v_fma_f32 v218, v35, s11, -v205
	v_rndne_f32_e32 v219, v205
	v_fmac_f32_e32 v218, 0x32a5705f, v35
	v_sub_f32_e32 v205, v205, v219
	v_add_f32_e32 v205, v205, v218
	v_exp_f32_e32 v205, v205
	v_cvt_i32_f32_e32 v218, v219
	v_cmp_ngt_f32_e32 vcc, s3, v35
	v_ldexp_f32 v205, v205, v218
	s_nop 0
	v_cndmask_b32_e32 v205, 0, v205, vcc
	v_cmp_nlt_f32_e32 vcc, s2, v35
	v_sub_f32_e32 v35, v36, v206
	v_mul_f32_e32 v36, 0x3fb8aa3b, v35
	v_cndmask_b32_e32 v218, v189, v205, vcc
	v_fma_f32 v205, v35, s11, -v36
	v_rndne_f32_e32 v219, v36
	v_fmac_f32_e32 v205, 0x32a5705f, v35
	v_sub_f32_e32 v36, v36, v219
	v_add_f32_e32 v36, v36, v205
	v_exp_f32_e32 v36, v36
	v_cvt_i32_f32_e32 v205, v219
	v_cmp_ngt_f32_e32 vcc, s3, v35
	v_add_f32_e32 v34, v218, v34
	v_ldexp_f32 v36, v36, v205
	v_cndmask_b32_e32 v36, 0, v36, vcc
	v_cmp_nlt_f32_e32 vcc, s2, v35
	v_sub_f32_e32 v35, v37, v206
	s_nop 0
	v_cndmask_b32_e32 v219, v189, v36, vcc
	v_mul_f32_e32 v36, 0x3fb8aa3b, v35
	v_fma_f32 v37, v35, s11, -v36
	v_rndne_f32_e32 v205, v36
	v_fmac_f32_e32 v37, 0x32a5705f, v35
	v_sub_f32_e32 v36, v36, v205
	v_add_f32_e32 v36, v36, v37
	v_exp_f32_e32 v36, v36
	v_cvt_i32_f32_e32 v37, v205
	v_cmp_ngt_f32_e32 vcc, s3, v35
	v_add_f32_e32 v34, v219, v34
	v_ldexp_f32 v36, v36, v37
	v_cndmask_b32_e32 v36, 0, v36, vcc
	v_cmp_nlt_f32_e32 vcc, s2, v35
	s_nop 1
	v_cndmask_b32_e32 v220, v189, v36, vcc
	v_add_f32_e32 v205, v220, v34
	v_mul_f32_e32 v34, 0x3fb8aa3b, v31
	v_fma_f32 v35, v31, s11, -v34
	v_rndne_f32_e32 v36, v34
	v_fmac_f32_e32 v35, 0x32a5705f, v31
	v_sub_f32_e32 v34, v34, v36
	v_add_f32_e32 v34, v34, v35
	v_exp_f32_e32 v34, v34
	v_cvt_i32_f32_e32 v35, v36
	v_cmp_ngt_f32_e32 vcc, s3, v31
	v_ldexp_f32 v34, v34, v35
	s_nop 0
	v_cndmask_b32_e32 v34, 0, v34, vcc
	v_cmp_nlt_f32_e32 vcc, s2, v31
	s_nop 1
	v_cndmask_b32_e32 v34, v189, v34, vcc
	v_cmp_le_f32_e32 vcc, s94, v31
	s_nop 1
	v_cndmask_b32_e32 v31, 0, v34, vcc
	v_fmac_f32_e32 v205, v30, v31
	v_cvt_f16_f32_e32 v30, v31
	v_mul_u32_u24_e32 v36, 0x10001, v30
	v_pk_mul_f16 v35, v216, v36
	v_pk_mul_f16 v34, v215, v36
	v_pk_mul_f16 v216, v214, v36
	v_pk_mul_f16 v215, v213, v36
	v_pk_mul_f16 v214, v33, v36
	v_pk_mul_f16 v213, v32, v36
	v_lshl_add_u64 v[32:33], v[94:95], 0, s[60:61]
	v_pk_mul_f16 v222, v29, v36
	v_pk_mul_f16 v221, v28, v36
	;; [unrolled: 1-line block ×6, first 2 shown]
	v_lshl_add_u64 v[36:37], v[56:57], 2, v[32:33]
	v_lshl_add_u64 v[36:37], v[36:37], 0, v[44:45]
	global_load_dwordx4 v[116:119], v[36:37], off offset:128
	v_lshl_add_u64 v[36:37], v[58:59], 2, v[32:33]
	v_lshl_add_u64 v[36:37], v[36:37], 0, v[26:27]
	;; [unrolled: 1-line block ×4, first 2 shown]
	s_waitcnt vmcnt(0)
	ds_write_b128 v75, v[116:119]
	global_load_dwordx4 v[116:119], v[36:37], off
	v_cvt_pk_f16_f32 v37, v20, v22
	s_waitcnt vmcnt(0)
	ds_write_b128 v77, v[116:119]
	global_load_dwordx4 v[116:119], v[26:27], off
	s_waitcnt vmcnt(0)
	ds_write_b128 v175, v[116:119]
	s_waitcnt lgkmcnt(0)
	s_barrier
	ds_read_u16 v26, v123 offset:208
	ds_read_u16 v27, v124
	ds_read_u16 v32, v124 offset:32
	ds_read_u16 v33, v125
	ds_read_u16 v44, v125 offset:32
	v_cvt_f32_f16_e32 v116, v35
	v_cvt_f32_f16_sdwa v117, v35 dst_sel:DWORD dst_unused:UNUSED_PAD src0_sel:WORD_1
	v_cvt_f32_f16_e32 v118, v34
	s_waitcnt lgkmcnt(1)
	v_perm_b32 v27, v33, v27, s34
	ds_read_u16 v33, v123
	ds_read_u16 v223, v123 offset:32
	v_cvt_f32_f16_sdwa v119, v34 dst_sel:DWORD dst_unused:UNUSED_PAD src0_sel:WORD_1
	v_cvt_pk_f16_f32 v35, v16, v18
	v_cvt_pk_f16_f32 v34, v14, v15
	s_waitcnt lgkmcnt(1)
	v_perm_b32 v26, v26, v33, s34
	s_nop 1
	v_mfma_f32_16x16x16_f16 v[116:119], v[26:27], v[34:35], v[116:119]
	ds_read_u16 v26, v123 offset:3328
	ds_read_u16 v27, v123 offset:3536
	;; [unrolled: 1-line block ×4, first 2 shown]
	s_nop 3
	v_cvt_f16_f32_e32 v14, v116
	v_cvt_f16_f32_e32 v15, v117
	v_cvt_f16_f32_e32 v16, v118
	v_cvt_f16_f32_e32 v18, v119
	v_cvt_f32_f16_e32 v116, v14
	v_cvt_f32_f16_e32 v117, v15
	s_waitcnt lgkmcnt(0)
	v_perm_b32 v15, v36, v33, s34
	v_perm_b32 v14, v27, v26, s34
	v_cvt_f32_f16_e32 v118, v16
	v_cvt_f32_f16_e32 v119, v18
	v_cvt_pk_f16_f32 v36, v17, v19
	ds_read_u16 v18, v123 offset:6656
	ds_read_u16 v20, v123 offset:6864
	ds_read_u16 v19, v124 offset:6656
	ds_read_u16 v22, v125 offset:6656
	v_mfma_f32_16x16x16_f16 v[14:17], v[14:15], v[36:37], v[116:119]
	s_waitcnt lgkmcnt(2)
	v_perm_b32 v18, v20, v18, s34
	s_waitcnt lgkmcnt(0)
	v_perm_b32 v19, v22, v19, s34
	v_cvt_pk_f16_f32 v117, v24, v217
	s_nop 2
	v_cvt_f16_f32_e32 v14, v14
	v_cvt_f16_f32_e32 v15, v15
	;; [unrolled: 1-line block ×4, first 2 shown]
	v_cvt_f32_f16_e32 v14, v14
	v_cvt_f32_f16_e32 v15, v15
	v_cvt_f32_f16_e32 v16, v16
	v_cvt_f32_f16_e32 v17, v17
	v_cvt_pk_f16_f32 v116, v21, v23
	v_cvt_pk_f16_f32 v119, v219, v220
	;; [unrolled: 1-line block ×3, first 2 shown]
	v_mfma_f32_16x16x16_f16 v[14:17], v[18:19], v[116:117], v[14:17]
	ds_read_u16 v18, v123 offset:9984
	ds_read_u16 v20, v123 offset:10192
	;; [unrolled: 1-line block ×5, first 2 shown]
	v_perm_b32 v23, v44, v32, s34
	s_nop 1
	v_cvt_f16_f32_e32 v14, v14
	v_cvt_f16_f32_e32 v15, v15
	;; [unrolled: 1-line block ×4, first 2 shown]
	s_waitcnt lgkmcnt(1)
	v_perm_b32 v19, v21, v19, s34
	v_perm_b32 v18, v20, v18, s34
	v_cvt_f32_f16_e32 v14, v14
	v_cvt_f32_f16_e32 v15, v15
	v_cvt_f32_f16_e32 v16, v16
	v_cvt_f32_f16_e32 v17, v17
	s_waitcnt lgkmcnt(0)
	v_perm_b32 v22, v22, v223, s34
	v_cvt_f32_f16_e32 v20, v221
	v_mfma_f32_16x16x16_f16 v[14:17], v[18:19], v[118:119], v[14:17]
	v_cvt_f32_f16_e32 v18, v222
	v_cvt_f32_f16_sdwa v19, v222 dst_sel:DWORD dst_unused:UNUSED_PAD src0_sel:WORD_1
	v_cvt_f32_f16_sdwa v21, v221 dst_sel:DWORD dst_unused:UNUSED_PAD src0_sel:WORD_1
	;; [unrolled: 1-line block ×3, first 2 shown]
	v_cvt_f32_f16_e32 v218, v28
	v_mfma_f32_16x16x16_f16 v[18:21], v[22:23], v[34:35], v[18:21]
	ds_read_u16 v22, v123 offset:3360
	ds_read_u16 v24, v123 offset:3568
	;; [unrolled: 1-line block ×4, first 2 shown]
	v_cvt_f32_f16_sdwa v219, v28 dst_sel:DWORD dst_unused:UNUSED_PAD src0_sel:WORD_1
	s_nop 2
	v_cvt_f16_f32_e32 v18, v18
	v_cvt_f16_f32_e32 v19, v19
	;; [unrolled: 1-line block ×4, first 2 shown]
	s_waitcnt lgkmcnt(0)
	v_perm_b32 v23, v25, v23, s34
	v_perm_b32 v22, v24, v22, s34
	v_cvt_f32_f16_e32 v18, v18
	v_cvt_f32_f16_e32 v19, v19
	;; [unrolled: 1-line block ×4, first 2 shown]
	s_nop 1
	v_mfma_f32_16x16x16_f16 v[18:21], v[22:23], v[36:37], v[18:21]
	ds_read_u16 v22, v123 offset:6688
	ds_read_u16 v24, v123 offset:6896
	;; [unrolled: 1-line block ×4, first 2 shown]
	s_nop 3
	v_cvt_f16_f32_e32 v18, v18
	v_cvt_f16_f32_e32 v19, v19
	;; [unrolled: 1-line block ×4, first 2 shown]
	s_waitcnt lgkmcnt(0)
	v_perm_b32 v23, v25, v23, s34
	v_perm_b32 v22, v24, v22, s34
	v_cvt_f32_f16_e32 v18, v18
	v_cvt_f32_f16_e32 v19, v19
	;; [unrolled: 1-line block ×4, first 2 shown]
	s_nop 1
	v_mfma_f32_16x16x16_f16 v[18:21], v[22:23], v[116:117], v[18:21]
	ds_read_u16 v22, v123 offset:10016
	ds_read_u16 v24, v123 offset:10224
	;; [unrolled: 1-line block ×8, first 2 shown]
	v_cvt_f16_f32_e32 v18, v18
	v_cvt_f16_f32_e32 v19, v19
	;; [unrolled: 1-line block ×4, first 2 shown]
	s_waitcnt lgkmcnt(4)
	v_perm_b32 v23, v25, v23, s34
	v_perm_b32 v22, v24, v22, s34
	v_cvt_f32_f16_e32 v18, v18
	v_cvt_f32_f16_e32 v19, v19
	;; [unrolled: 1-line block ×4, first 2 shown]
	s_waitcnt lgkmcnt(0)
	v_perm_b32 v27, v33, v27, s34
	v_perm_b32 v26, v32, v26, s34
	v_mfma_f32_16x16x16_f16 v[18:21], v[22:23], v[118:119], v[18:21]
	v_cvt_f32_f16_e32 v22, v216
	v_cvt_f32_f16_sdwa v23, v216 dst_sel:DWORD dst_unused:UNUSED_PAD src0_sel:WORD_1
	v_cvt_f32_f16_e32 v24, v215
	v_cvt_f32_f16_sdwa v25, v215 dst_sel:DWORD dst_unused:UNUSED_PAD src0_sel:WORD_1
	v_cvt_f32_f16_e32 v216, v29
	s_nop 0
	v_mfma_f32_16x16x16_f16 v[22:25], v[26:27], v[34:35], v[22:25]
	ds_read_u16 v26, v123 offset:3392
	ds_read_u16 v32, v123 offset:3600
	ds_read_u16 v27, v124 offset:3392
	ds_read_u16 v33, v125 offset:3392
	s_nop 3
	v_cvt_f16_f32_e32 v22, v22
	v_cvt_f16_f32_e32 v23, v23
	v_cvt_f16_f32_e32 v24, v24
	v_cvt_f16_f32_e32 v25, v25
	s_waitcnt lgkmcnt(0)
	v_perm_b32 v27, v33, v27, s34
	v_perm_b32 v26, v32, v26, s34
	v_cvt_f32_f16_e32 v22, v22
	v_cvt_f32_f16_e32 v23, v23
	v_cvt_f32_f16_e32 v24, v24
	v_cvt_f32_f16_e32 v25, v25
	s_nop 1
	v_mfma_f32_16x16x16_f16 v[22:25], v[26:27], v[36:37], v[22:25]
	ds_read_u16 v26, v123 offset:6720
	ds_read_u16 v32, v123 offset:6928
	ds_read_u16 v27, v124 offset:6720
	ds_read_u16 v33, v125 offset:6720
	s_nop 3
	v_cvt_f16_f32_e32 v22, v22
	v_cvt_f16_f32_e32 v23, v23
	v_cvt_f16_f32_e32 v24, v24
	v_cvt_f16_f32_e32 v25, v25
	s_waitcnt lgkmcnt(0)
	v_perm_b32 v27, v33, v27, s34
	v_perm_b32 v26, v32, v26, s34
	v_cvt_f32_f16_e32 v22, v22
	v_cvt_f32_f16_e32 v23, v23
	v_cvt_f32_f16_e32 v24, v24
	;; [unrolled: 18-line block ×3, first 2 shown]
	v_cvt_f32_f16_e32 v25, v25
	s_nop 1
	v_mfma_f32_16x16x16_f16 v[22:25], v[26:27], v[118:119], v[22:25]
	ds_read_u16 v26, v123 offset:96
	ds_read_u16 v32, v123 offset:304
	;; [unrolled: 1-line block ×4, first 2 shown]
	s_waitcnt lgkmcnt(2)
	v_perm_b32 v26, v32, v26, s34
	s_waitcnt lgkmcnt(0)
	v_perm_b32 v27, v33, v27, s34
	ds_read_u16 v32, v123 offset:3424
	ds_read_u16 v44, v123 offset:3632
	;; [unrolled: 1-line block ×4, first 2 shown]
	v_mfma_f32_16x16x16_f16 v[26:29], v[26:27], v[34:35], v[216:219]
	s_waitcnt lgkmcnt(0)
	v_perm_b32 v33, v215, v33, s34
	v_perm_b32 v32, v44, v32, s34
	v_cvt_f32_f16_e32 v216, v31
	s_nop 3
	v_cvt_f16_f32_e32 v26, v26
	v_cvt_f16_f32_e32 v27, v27
	;; [unrolled: 1-line block ×4, first 2 shown]
	v_cvt_f32_f16_e32 v26, v26
	v_cvt_f32_f16_e32 v27, v27
	;; [unrolled: 1-line block ×4, first 2 shown]
	v_cvt_f32_f16_sdwa v217, v31 dst_sel:DWORD dst_unused:UNUSED_PAD src0_sel:WORD_1
	v_cvt_f32_f16_e32 v218, v30
	v_mfma_f32_16x16x16_f16 v[26:29], v[32:33], v[36:37], v[26:29]
	ds_read_u16 v32, v123 offset:6752
	ds_read_u16 v44, v123 offset:6960
	;; [unrolled: 1-line block ×4, first 2 shown]
	v_cvt_f32_f16_sdwa v219, v30 dst_sel:DWORD dst_unused:UNUSED_PAD src0_sel:WORD_1
	s_nop 2
	v_cvt_f16_f32_e32 v26, v26
	v_cvt_f16_f32_e32 v27, v27
	;; [unrolled: 1-line block ×4, first 2 shown]
	s_waitcnt lgkmcnt(0)
	v_perm_b32 v33, v215, v33, s34
	v_perm_b32 v32, v44, v32, s34
	v_cvt_f32_f16_e32 v26, v26
	v_cvt_f32_f16_e32 v27, v27
	;; [unrolled: 1-line block ×4, first 2 shown]
	s_nop 1
	v_mfma_f32_16x16x16_f16 v[26:29], v[32:33], v[116:117], v[26:29]
	ds_read_u16 v32, v123 offset:10080
	ds_read_u16 v44, v123 offset:10288
	;; [unrolled: 1-line block ×4, first 2 shown]
	s_nop 3
	v_cvt_f16_f32_e32 v26, v26
	v_cvt_f16_f32_e32 v27, v27
	;; [unrolled: 1-line block ×4, first 2 shown]
	s_waitcnt lgkmcnt(0)
	v_perm_b32 v33, v215, v33, s34
	v_perm_b32 v32, v44, v32, s34
	v_cvt_f32_f16_e32 v26, v26
	v_cvt_f32_f16_e32 v27, v27
	;; [unrolled: 1-line block ×4, first 2 shown]
	s_nop 1
	v_mfma_f32_16x16x16_f16 v[26:29], v[32:33], v[118:119], v[26:29]
	ds_read_u16 v32, v123 offset:128
	ds_read_u16 v33, v123 offset:336
	;; [unrolled: 1-line block ×4, first 2 shown]
	s_waitcnt lgkmcnt(2)
	v_perm_b32 v30, v33, v32, s34
	s_waitcnt lgkmcnt(0)
	v_perm_b32 v31, v215, v44, s34
	s_nop 1
	v_mfma_f32_16x16x16_f16 v[30:33], v[30:31], v[34:35], v[216:219]
	ds_read_u16 v44, v123 offset:3456
	ds_read_u16 v215, v123 offset:3664
	s_nop 0
	ds_read_u16 v216, v124 offset:3456
	ds_read_u16 v217, v125 offset:3456
	v_cvt_f32_f16_e32 v218, v213
	v_cvt_f32_f16_sdwa v219, v213 dst_sel:DWORD dst_unused:UNUSED_PAD src0_sel:WORD_1
	s_nop 0
	v_cvt_f16_f32_e32 v30, v30
	v_cvt_f16_f32_e32 v31, v31
	;; [unrolled: 1-line block ×4, first 2 shown]
	s_waitcnt lgkmcnt(0)
	v_perm_b32 v217, v217, v216, s34
	v_perm_b32 v216, v215, v44, s34
	v_cvt_f32_f16_e32 v30, v30
	v_cvt_f32_f16_e32 v31, v31
	;; [unrolled: 1-line block ×4, first 2 shown]
	s_nop 1
	v_mfma_f32_16x16x16_f16 v[30:33], v[216:217], v[36:37], v[30:33]
	ds_read_u16 v44, v123 offset:6784
	ds_read_u16 v215, v123 offset:6992
	;; [unrolled: 1-line block ×4, first 2 shown]
	s_nop 3
	v_cvt_f16_f32_e32 v30, v30
	v_cvt_f16_f32_e32 v31, v31
	;; [unrolled: 1-line block ×4, first 2 shown]
	s_waitcnt lgkmcnt(0)
	v_perm_b32 v217, v217, v216, s34
	v_perm_b32 v216, v215, v44, s34
	v_cvt_f32_f16_e32 v30, v30
	v_cvt_f32_f16_e32 v31, v31
	;; [unrolled: 1-line block ×4, first 2 shown]
	s_nop 1
	v_mfma_f32_16x16x16_f16 v[30:33], v[216:217], v[116:117], v[30:33]
	ds_read_u16 v44, v123 offset:10112
	ds_read_u16 v215, v123 offset:10320
	ds_read_u16 v216, v124 offset:10112
	ds_read_u16 v217, v125 offset:10112
	s_nop 3
	v_cvt_f16_f32_e32 v30, v30
	v_cvt_f16_f32_e32 v31, v31
	;; [unrolled: 1-line block ×4, first 2 shown]
	s_waitcnt lgkmcnt(0)
	v_perm_b32 v217, v217, v216, s34
	v_perm_b32 v216, v215, v44, s34
	ds_read_u16 v44, v123 offset:160
	ds_read_u16 v220, v123 offset:368
	;; [unrolled: 1-line block ×4, first 2 shown]
	v_cvt_f32_f16_e32 v30, v30
	v_cvt_f32_f16_e32 v31, v31
	;; [unrolled: 1-line block ×4, first 2 shown]
	s_waitcnt lgkmcnt(0)
	v_perm_b32 v215, v221, v215, s34
	v_mfma_f32_16x16x16_f16 v[30:33], v[216:217], v[118:119], v[30:33]
	v_cvt_f32_f16_e32 v216, v214
	v_cvt_f32_f16_sdwa v217, v214 dst_sel:DWORD dst_unused:UNUSED_PAD src0_sel:WORD_1
	v_perm_b32 v214, v220, v44, s34
	s_nop 1
	v_mfma_f32_16x16x16_f16 v[214:217], v[214:215], v[34:35], v[216:219]
	s_nop 2
	ds_read_u16 v218, v123 offset:3488
	ds_read_u16 v219, v123 offset:3696
	;; [unrolled: 1-line block ×4, first 2 shown]
	s_nop 0
	v_cvt_f16_f32_e32 v34, v214
	v_cvt_f16_f32_e32 v35, v215
	;; [unrolled: 1-line block ×4, first 2 shown]
	v_cvt_f32_f16_e32 v214, v34
	v_cvt_f32_f16_e32 v215, v35
	s_waitcnt lgkmcnt(0)
	v_perm_b32 v35, v221, v220, s34
	v_perm_b32 v34, v219, v218, s34
	v_cvt_f32_f16_e32 v216, v44
	v_cvt_f32_f16_e32 v217, v213
	s_nop 1
	v_mfma_f32_16x16x16_f16 v[34:37], v[34:35], v[36:37], v[214:217]
	ds_read_u16 v44, v123 offset:6816
	ds_read_u16 v213, v123 offset:7024
	s_nop 0
	ds_read_u16 v214, v124 offset:6816
	ds_read_u16 v215, v125 offset:6816
	v_cvt_pk_f16_f32 v216, v14, v15
	s_nop 1
	v_cvt_f16_f32_e32 v34, v34
	v_cvt_f16_f32_e32 v35, v35
	;; [unrolled: 1-line block ×4, first 2 shown]
	s_waitcnt lgkmcnt(0)
	v_perm_b32 v215, v215, v214, s34
	v_perm_b32 v214, v213, v44, s34
	v_cvt_f32_f16_e32 v34, v34
	v_cvt_f32_f16_e32 v35, v35
	;; [unrolled: 1-line block ×4, first 2 shown]
	s_nop 1
	v_mfma_f32_16x16x16_f16 v[34:37], v[214:215], v[116:117], v[34:37]
	ds_read_u16 v44, v123 offset:10144
	ds_read_u16 v116, v123 offset:10352
	;; [unrolled: 1-line block ×4, first 2 shown]
	v_cvt_pk_f16_f32 v214, v22, v23
	v_cvt_pk_f16_f32 v215, v16, v17
	s_nop 1
	v_cvt_f16_f32_e32 v34, v34
	v_cvt_f16_f32_e32 v35, v35
	;; [unrolled: 1-line block ×4, first 2 shown]
	s_waitcnt lgkmcnt(0)
	v_perm_b32 v117, v213, v117, s34
	v_perm_b32 v116, v116, v44, s34
	v_cvt_f32_f16_e32 v34, v34
	v_cvt_f32_f16_e32 v35, v35
	v_cvt_f32_f16_e32 v36, v36
	v_cvt_f32_f16_e32 v37, v37
	v_cvt_pk_f16_f32 v213, v24, v25
	s_nop 0
	v_mfma_f32_16x16x16_f16 v[34:37], v[116:117], v[118:119], v[34:37]
	v_cvt_pk_f16_f32 v118, v26, v27
	v_cvt_pk_f16_f32 v119, v28, v29
	;; [unrolled: 1-line block ×6, first 2 shown]
	s_nop 1
	v_cvt_pk_f16_f32 v33, v34, v35
	v_cvt_pk_f16_f32 v32, v36, v37
	s_barrier
	s_cbranch_scc1 .LBB14_67
	s_branch .LBB14_70
.LBB14_68:                              ;   in Loop: Header=BB14_12 Depth=1
	s_mov_b64 s[6:7], 0
                                        ; implicit-def: $vgpr4_vgpr5
                                        ; implicit-def: $vgpr2
	s_cbranch_execnz .LBB14_133
	s_branch .LBB14_249
.LBB14_69:                              ;   in Loop: Header=BB14_12 Depth=1
	v_mov_b32_e32 v206, 0xfeffffff
	v_mov_b32_e32 v205, 0
	;; [unrolled: 1-line block ×15, first 2 shown]
.LBB14_70:                              ;   in Loop: Header=BB14_12 Depth=1
	s_lshl_b32 s4, s70, 6
	s_ashr_i32 s5, s4, 31
	s_lshl_b64 s[6:7], s[4:5], 1
	v_lshl_add_u64 v[14:15], v[98:99], 0, s[6:7]
	s_mul_hi_i32 s7, s54, s4
	s_mul_i32 s6, s54, s4
	v_lshl_add_u64 v[14:15], v[112:113], 1, v[14:15]
	v_lshlrev_b32_e32 v44, 1, v42
	s_lshl_b64 s[6:7], s[6:7], 2
	v_lshl_add_u64 v[14:15], v[14:15], 0, v[44:45]
	v_lshl_add_u64 v[16:17], v[96:97], 0, s[6:7]
	global_load_dword v30, v[14:15], off
	v_lshl_add_u64 v[14:15], v[46:47], 2, v[16:17]
	v_lshlrev_b32_e32 v44, 2, v48
	v_lshl_add_u64 v[18:19], v[14:15], 0, v[44:45]
	v_lshl_add_u64 v[20:21], v[52:53], 2, v[16:17]
	v_lshlrev_b32_e32 v14, 2, v50
	v_mov_b32_e32 v15, v45
	v_lshl_add_u64 v[16:17], v[54:55], 2, v[16:17]
	v_lshl_add_u64 v[20:21], v[20:21], 0, v[14:15]
	;; [unrolled: 1-line block ×3, first 2 shown]
	global_load_dwordx4 v[16:19], v[18:19], off offset:128
	s_nop 0
	global_load_dwordx4 v[20:23], v[20:21], off
	s_nop 0
	global_load_dwordx4 v[24:27], v[24:25], off
	v_add_u32_e32 v31, 0x1800, v176
	v_add_u32_e32 v211, 0x2000, v176
	;; [unrolled: 1-line block ×4, first 2 shown]
	v_cmp_lt_i32_e32 vcc, v208, v207
	s_mul_hi_i32 s5, s56, s4
	s_mul_i32 s4, s56, s4
	s_lshl_b64 s[4:5], s[4:5], 2
	s_waitcnt vmcnt(3)
	ds_write_b32 v69, v30 offset:13312
	s_waitcnt vmcnt(2)
	ds_write_b128 v75, v[16:19]
	s_waitcnt vmcnt(1)
	ds_write_b128 v77, v[20:23]
	;; [unrolled: 2-line block ×3, first 2 shown]
	v_add_u32_e32 v30, 0x800, v176
	s_waitcnt lgkmcnt(0)
	s_barrier
	ds_read2_b64 v[16:19], v176 offset1:4
	ds_read2_b64 v[24:27], v30 offset0:160 offset1:164
	ds_read2_b64 v[112:115], v31 offset0:64 offset1:68
	;; [unrolled: 1-line block ×3, first 2 shown]
	s_waitcnt lgkmcnt(3)
	v_mfma_f32_16x16x16_f16 v[20:23], v[16:17], v[10:11], 0
	s_waitcnt lgkmcnt(2)
	v_mfma_f32_16x16x16_f16 v[34:37], v[24:25], v[10:11], 0
	v_mfma_f32_16x16x16_f16 v[16:19], v[18:19], v[12:13], v[20:23]
	;; [unrolled: 1-line block ×3, first 2 shown]
	s_nop 5
	ds_read2_b64 v[34:37], v176 offset0:8 offset1:12
	s_waitcnt lgkmcnt(2)
	v_mfma_f32_16x16x16_f16 v[218:221], v[112:113], v[10:11], 0
	s_waitcnt lgkmcnt(1)
	v_mfma_f32_16x16x16_f16 v[226:229], v[222:223], v[10:11], 0
	v_mfma_f32_16x16x16_f16 v[24:27], v[114:115], v[12:13], v[218:221]
	ds_read2_b64 v[112:115], v30 offset0:168 offset1:172
	s_nop 3
	ds_read2_b64 v[218:221], v31 offset0:72 offset1:76
	v_mfma_f32_16x16x16_f16 v[10:13], v[224:225], v[12:13], v[226:229]
	ds_read2_b64 v[222:225], v211 offset0:232 offset1:236
	s_waitcnt lgkmcnt(3)
	v_mfma_f32_16x16x16_f16 v[16:19], v[34:35], v[6:7], v[16:19]
	v_mfma_f32_16x16x16_f16 v[16:19], v[36:37], v[8:9], v[16:19]
	ds_read2_b64 v[34:37], v176 offset0:16 offset1:20
	s_waitcnt lgkmcnt(3)
	v_mfma_f32_16x16x16_f16 v[20:23], v[112:113], v[6:7], v[20:23]
	s_waitcnt lgkmcnt(2)
	v_mfma_f32_16x16x16_f16 v[24:27], v[218:219], v[6:7], v[24:27]
	;; [unrolled: 2-line block ×3, first 2 shown]
	v_add_u32_e32 v222, 0x3400, v179
	v_mfma_f32_16x16x16_f16 v[20:23], v[114:115], v[8:9], v[20:23]
	v_mfma_f32_16x16x16_f16 v[24:27], v[220:221], v[8:9], v[24:27]
	ds_read2_b64 v[112:115], v30 offset0:176 offset1:180
	ds_read2_b64 v[218:221], v31 offset0:80 offset1:84
	;; [unrolled: 1-line block ×3, first 2 shown]
	s_waitcnt lgkmcnt(0)
	s_barrier
	v_mfma_f32_16x16x16_f16 v[6:9], v[224:225], v[8:9], v[10:13]
	ds_read_b32 v211, v120 offset:13312
	ds_read_b32 v223, v121 offset:13312
	ds_read2_b32 v[30:31], v212 offset1:1
	s_waitcnt lgkmcnt(2)
	v_cvt_f32_f16_e32 v212, v211
	v_mfma_f32_16x16x16_f16 v[10:13], v[34:35], v[2:3], v[16:19]
	v_mfma_f32_16x16x16_f16 v[16:19], v[112:113], v[2:3], v[20:23]
	ds_read2_b32 v[34:35], v217 offset1:1
	ds_read2_b32 v[112:113], v222 offset1:1
	v_mfma_f32_16x16x16_f16 v[20:23], v[218:219], v[2:3], v[24:27]
	v_mfma_f32_16x16x16_f16 v[6:9], v[226:227], v[2:3], v[6:9]
	s_nop 1
	v_cvt_f32_f16_sdwa v24, v211 dst_sel:DWORD dst_unused:UNUSED_PAD src0_sel:WORD_1
	s_waitcnt lgkmcnt(3)
	v_cvt_f32_f16_e32 v25, v223
	v_cvt_f32_f16_sdwa v26, v223 dst_sel:DWORD dst_unused:UNUSED_PAD src0_sel:WORD_1
	v_mfma_f32_16x16x16_f16 v[10:13], v[36:37], v[4:5], v[10:13]
	s_waitcnt lgkmcnt(2)
	v_cvt_f32_f16_sdwa v3, v30 dst_sel:DWORD dst_unused:UNUSED_PAD src0_sel:WORD_1
	v_cvt_f32_f16_e32 v27, v31
	s_waitcnt lgkmcnt(0)
	v_cvt_f32_f16_e32 v37, v112
	v_mfma_f32_16x16x16_f16 v[16:19], v[114:115], v[4:5], v[16:19]
	v_cvt_f32_f16_sdwa v112, v112 dst_sel:DWORD dst_unused:UNUSED_PAD src0_sel:WORD_1
	v_cvt_f32_f16_e32 v114, v113
	v_cvt_f32_f16_e32 v2, v30
	v_mfma_f32_16x16x16_f16 v[20:23], v[220:221], v[4:5], v[20:23]
	v_cvt_f32_f16_sdwa v113, v113 dst_sel:DWORD dst_unused:UNUSED_PAD src0_sel:WORD_1
	v_cvt_f32_f16_sdwa v30, v31 dst_sel:DWORD dst_unused:UNUSED_PAD src0_sel:WORD_1
	v_cvt_f32_f16_e32 v31, v34
	v_mfma_f32_16x16x16_f16 v[4:7], v[228:229], v[4:5], v[6:9]
	v_cvt_f32_f16_sdwa v34, v34 dst_sel:DWORD dst_unused:UNUSED_PAD src0_sel:WORD_1
	v_cvt_f32_f16_e32 v36, v35
	v_cvt_f32_f16_sdwa v35, v35 dst_sel:DWORD dst_unused:UNUSED_PAD src0_sel:WORD_1
	v_add_f32_e32 v8, v10, v212
	v_add_f32_e32 v9, v11, v24
	;; [unrolled: 1-line block ×15, first 2 shown]
	v_max3_f32 v5, v206, v5, v6
	v_add_f32_e32 v19, v19, v30
	v_add_f32_e32 v26, v21, v34
	;; [unrolled: 1-line block ×4, first 2 shown]
	v_max3_f32 v5, v5, v7, v16
	v_add_f32_e32 v20, v20, v31
	v_add_f32_e32 v24, 0x40051340, v18
	;; [unrolled: 1-line block ×3, first 2 shown]
	v_max3_f32 v5, v5, v17, v21
	v_add_f32_e32 v22, v22, v36
	v_add_f32_e32 v23, v23, v35
	;; [unrolled: 1-line block ×3, first 2 shown]
	v_max3_f32 v5, v5, v24, v25
	v_add_f32_e32 v6, 0x40051340, v26
	v_max3_f32 v5, v5, v30, v6
	v_add_f32_e32 v6, 0x40051340, v22
	v_add_f32_e32 v7, 0x40051340, v23
	v_max3_f32 v5, v5, v6, v7
	v_add_f32_e32 v6, 0x40051340, v27
	;; [unrolled: 3-line block ×3, first 2 shown]
	v_add_f32_e32 v7, 0x40051340, v2
	v_max3_f32 v5, v5, v6, v7
	v_cndmask_b32_e32 v6, v210, v208, vcc
	v_lshlrev_b32_e32 v34, 2, v6
	ds_bpermute_b32 v6, v34, v5
	v_cmp_lt_i32_e32 vcc, v209, v207
	v_add_u32_e32 v36, v122, v49
	v_add_u32_e32 v35, v122, v51
	s_waitcnt lgkmcnt(0)
	v_max_f32_e32 v6, v6, v6
	v_max_f32_e32 v5, v5, v6
	v_cndmask_b32_e32 v6, v210, v209, vcc
	v_lshlrev_b32_e32 v25, 2, v6
	ds_bpermute_b32 v6, v25, v5
	s_waitcnt lgkmcnt(0)
	v_max_f32_e32 v6, v6, v6
	v_max_f32_e32 v24, v5, v6
	v_sub_f32_e32 v5, v8, v24
	v_mul_f32_e32 v6, 0x3fb8aa3b, v5
	v_fma_f32 v7, v5, s11, -v6
	v_rndne_f32_e32 v8, v6
	v_fmac_f32_e32 v7, 0x32a5705f, v5
	v_sub_f32_e32 v6, v6, v8
	v_add_f32_e32 v6, v6, v7
	v_exp_f32_e32 v6, v6
	v_cvt_i32_f32_e32 v7, v8
	v_cmp_ngt_f32_e32 vcc, s3, v5
	v_sub_f32_e32 v27, v27, v24
	v_mul_f32_e32 v30, 0x3fb8aa3b, v27
	v_ldexp_f32 v6, v6, v7
	v_sub_f32_e32 v7, v9, v24
	v_mul_f32_e32 v8, 0x3fb8aa3b, v7
	v_fma_f32 v9, v7, s11, -v8
	v_rndne_f32_e32 v16, v8
	v_fmac_f32_e32 v9, 0x32a5705f, v7
	v_sub_f32_e32 v8, v8, v16
	v_add_f32_e32 v8, v8, v9
	v_exp_f32_e32 v8, v8
	v_cvt_i32_f32_e32 v9, v16
	v_cndmask_b32_e32 v6, 0, v6, vcc
	v_cmp_nlt_f32_e32 vcc, s2, v5
	v_fma_f32 v31, v27, s11, -v30
	v_ldexp_f32 v5, v8, v9
	v_cndmask_b32_e32 v16, v189, v6, vcc
	v_sub_f32_e32 v6, v10, v24
	v_mul_f32_e32 v8, 0x3fb8aa3b, v6
	v_fma_f32 v9, v6, s11, -v8
	v_rndne_f32_e32 v10, v8
	v_fmac_f32_e32 v9, 0x32a5705f, v6
	v_sub_f32_e32 v8, v8, v10
	v_add_f32_e32 v8, v8, v9
	v_exp_f32_e32 v8, v8
	v_cvt_i32_f32_e32 v9, v10
	v_cmp_ngt_f32_e32 vcc, s3, v7
	v_fmac_f32_e32 v31, 0x32a5705f, v27
	v_sub_f32_e32 v4, v4, v24
	v_cndmask_b32_e32 v5, 0, v5, vcc
	v_cmp_nlt_f32_e32 vcc, s2, v7
	v_sub_f32_e32 v7, v11, v24
	v_sub_f32_e32 v3, v3, v24
	v_cndmask_b32_e32 v17, v189, v5, vcc
	v_ldexp_f32 v5, v8, v9
	v_mul_f32_e32 v8, 0x3fb8aa3b, v7
	v_fma_f32 v9, v7, s11, -v8
	v_rndne_f32_e32 v10, v8
	v_fmac_f32_e32 v9, 0x32a5705f, v7
	v_sub_f32_e32 v8, v8, v10
	v_add_f32_e32 v8, v8, v9
	v_exp_f32_e32 v8, v8
	v_cvt_i32_f32_e32 v9, v10
	v_cmp_ngt_f32_e32 vcc, s3, v6
	v_sub_f32_e32 v2, v2, v24
	s_nop 0
	v_cndmask_b32_e32 v5, 0, v5, vcc
	v_cmp_nlt_f32_e32 vcc, s2, v6
	v_sub_f32_e32 v6, v12, v24
	s_nop 0
	v_cndmask_b32_e32 v21, v189, v5, vcc
	v_ldexp_f32 v5, v8, v9
	v_mul_f32_e32 v8, 0x3fb8aa3b, v6
	v_fma_f32 v9, v6, s11, -v8
	v_rndne_f32_e32 v10, v8
	v_fmac_f32_e32 v9, 0x32a5705f, v6
	v_sub_f32_e32 v8, v8, v10
	v_add_f32_e32 v8, v8, v9
	v_exp_f32_e32 v8, v8
	v_cvt_i32_f32_e32 v9, v10
	v_cmp_ngt_f32_e32 vcc, s3, v7
	s_nop 1
	v_cndmask_b32_e32 v5, 0, v5, vcc
	v_cmp_nlt_f32_e32 vcc, s2, v7
	v_sub_f32_e32 v7, v13, v24
	s_nop 0
	v_cndmask_b32_e32 v112, v189, v5, vcc
	v_ldexp_f32 v5, v8, v9
	v_mul_f32_e32 v8, 0x3fb8aa3b, v7
	v_fma_f32 v9, v7, s11, -v8
	v_rndne_f32_e32 v10, v8
	v_fmac_f32_e32 v9, 0x32a5705f, v7
	v_sub_f32_e32 v8, v8, v10
	v_add_f32_e32 v8, v8, v9
	v_exp_f32_e32 v8, v8
	v_cvt_i32_f32_e32 v9, v10
	v_cmp_ngt_f32_e32 vcc, s3, v6
	;; [unrolled: 16-line block ×5, first 2 shown]
	s_nop 1
	v_cndmask_b32_e32 v5, 0, v5, vcc
	v_cmp_nlt_f32_e32 vcc, s2, v7
	v_sub_f32_e32 v7, v26, v24
	v_sub_f32_e32 v26, v23, v24
	v_cndmask_b32_e32 v207, v189, v5, vcc
	v_ldexp_f32 v5, v8, v9
	v_mul_f32_e32 v8, 0x3fb8aa3b, v7
	v_fma_f32 v9, v7, s11, -v8
	v_rndne_f32_e32 v10, v8
	v_fmac_f32_e32 v9, 0x32a5705f, v7
	v_sub_f32_e32 v8, v8, v10
	v_add_f32_e32 v8, v8, v9
	v_exp_f32_e32 v8, v8
	v_cvt_i32_f32_e32 v9, v10
	v_cmp_ngt_f32_e32 vcc, s3, v6
	s_nop 1
	v_cndmask_b32_e32 v5, 0, v5, vcc
	v_cmp_nlt_f32_e32 vcc, s2, v6
	v_sub_f32_e32 v6, v22, v24
	v_lshl_add_u64 v[22:23], v[94:95], 0, s[4:5]
	v_cndmask_b32_e32 v18, v189, v5, vcc
	v_ldexp_f32 v5, v8, v9
	v_mul_f32_e32 v8, 0x3fb8aa3b, v6
	v_fma_f32 v9, v6, s11, -v8
	v_rndne_f32_e32 v10, v8
	v_fmac_f32_e32 v9, 0x32a5705f, v6
	v_sub_f32_e32 v8, v8, v10
	v_add_f32_e32 v8, v8, v9
	v_exp_f32_e32 v8, v8
	v_cvt_i32_f32_e32 v9, v10
	v_cmp_ngt_f32_e32 vcc, s3, v7
	v_lshl_add_u64 v[10:11], v[58:59], 2, v[22:23]
	v_lshl_add_u64 v[10:11], v[10:11], 0, v[14:15]
	v_cndmask_b32_e32 v5, 0, v5, vcc
	v_cmp_nlt_f32_e32 vcc, s2, v7
	v_mul_f32_e32 v7, 0x3fb8aa3b, v26
	global_load_dwordx4 v[10:13], v[10:11], off
	v_cndmask_b32_e32 v19, v189, v5, vcc
	v_ldexp_f32 v5, v8, v9
	v_fma_f32 v8, v26, s11, -v7
	v_rndne_f32_e32 v9, v7
	v_fmac_f32_e32 v8, 0x32a5705f, v26
	v_sub_f32_e32 v7, v7, v9
	v_add_f32_e32 v7, v7, v8
	v_exp_f32_e32 v7, v7
	v_cvt_i32_f32_e32 v8, v9
	v_cmp_ngt_f32_e32 vcc, s3, v6
	s_nop 1
	v_cndmask_b32_e32 v5, 0, v5, vcc
	v_cmp_nlt_f32_e32 vcc, s2, v6
	s_nop 1
	v_cndmask_b32_e32 v20, v189, v5, vcc
	v_ldexp_f32 v5, v7, v8
	v_lshl_add_u64 v[6:7], v[56:57], 2, v[22:23]
	v_lshl_add_u64 v[6:7], v[6:7], 0, v[44:45]
	global_load_dwordx4 v[6:9], v[6:7], off offset:128
	v_lshl_add_u64 v[22:23], v[60:61], 2, v[22:23]
	v_lshl_add_u64 v[14:15], v[22:23], 0, v[14:15]
	global_load_dwordx4 v[218:221], v[14:15], off
	v_rndne_f32_e32 v14, v30
	v_sub_f32_e32 v15, v30, v14
	v_add_f32_e32 v15, v15, v31
	v_exp_f32_e32 v15, v15
	v_cvt_i32_f32_e32 v14, v14
	v_cmp_ngt_f32_e32 vcc, s3, v26
	s_waitcnt vmcnt(1)
	ds_write_b128 v75, v[6:9]
	ds_write_b128 v77, v[10:13]
	s_waitcnt vmcnt(0)
	ds_write_b128 v175, v[218:221]
	v_cndmask_b32_e32 v5, 0, v5, vcc
	v_cmp_nlt_f32_e32 vcc, s2, v26
	s_waitcnt lgkmcnt(0)
	s_barrier
	v_cndmask_b32_e32 v44, v189, v5, vcc
	v_ldexp_f32 v5, v15, v14
	v_mul_f32_e32 v14, 0x3fb8aa3b, v4
	v_fma_f32 v15, v4, s11, -v14
	v_rndne_f32_e32 v22, v14
	v_fmac_f32_e32 v15, 0x32a5705f, v4
	v_sub_f32_e32 v14, v14, v22
	v_add_f32_e32 v14, v14, v15
	v_exp_f32_e32 v14, v14
	v_cvt_i32_f32_e32 v15, v22
	v_cmp_ngt_f32_e32 vcc, s3, v27
	ds_read_u16 v6, v123 offset:208
	s_nop 0
	v_cndmask_b32_e32 v5, 0, v5, vcc
	v_cmp_nlt_f32_e32 vcc, s2, v27
	ds_read_u16 v7, v36
	ds_read_u16 v8, v35
	;; [unrolled: 1-line block ×3, first 2 shown]
	v_cndmask_b32_e32 v208, v189, v5, vcc
	v_ldexp_f32 v5, v14, v15
	v_mul_f32_e32 v14, 0x3fb8aa3b, v3
	v_fma_f32 v15, v3, s11, -v14
	v_rndne_f32_e32 v22, v14
	v_fmac_f32_e32 v15, 0x32a5705f, v3
	v_sub_f32_e32 v14, v14, v22
	v_add_f32_e32 v14, v14, v15
	v_exp_f32_e32 v14, v14
	v_cvt_i32_f32_e32 v15, v22
	v_cmp_ngt_f32_e32 vcc, s3, v4
	s_waitcnt lgkmcnt(1)
	v_perm_b32 v7, v8, v7, s34
	s_waitcnt lgkmcnt(0)
	v_perm_b32 v6, v6, v9, s34
	v_cndmask_b32_e32 v5, 0, v5, vcc
	v_cmp_nlt_f32_e32 vcc, s2, v4
	v_ldexp_f32 v4, v14, v15
	v_cvt_pk_f16_f32 v31, v21, v112
	v_cndmask_b32_e32 v209, v189, v5, vcc
	v_cmp_ngt_f32_e32 vcc, s3, v3
	v_cvt_pk_f16_f32 v30, v16, v17
	v_cvt_pk_f16_f32 v27, v20, v44
	v_cndmask_b32_e32 v4, 0, v4, vcc
	v_cmp_nlt_f32_e32 vcc, s2, v3
	v_mul_f32_e32 v3, 0x3fb8aa3b, v2
	v_fma_f32 v5, v2, s11, -v3
	v_rndne_f32_e32 v14, v3
	v_fmac_f32_e32 v5, 0x32a5705f, v2
	v_sub_f32_e32 v3, v3, v14
	v_add_f32_e32 v3, v3, v5
	v_cvt_i32_f32_e32 v5, v14
	v_sub_f32_e32 v14, v206, v24
	v_mul_f32_e32 v15, 0x3fb8aa3b, v14
	v_fma_f32 v22, v14, s11, -v15
	v_rndne_f32_e32 v23, v15
	v_fmac_f32_e32 v22, 0x32a5705f, v14
	v_sub_f32_e32 v15, v15, v23
	v_add_f32_e32 v15, v15, v22
	v_exp_f32_e32 v15, v15
	v_cvt_i32_f32_e32 v22, v23
	v_cndmask_b32_e32 v206, v189, v4, vcc
	v_cmp_ngt_f32_e64 s[4:5], s3, v14
	v_exp_f32_e32 v3, v3
	v_ldexp_f32 v4, v15, v22
	v_cndmask_b32_e64 v4, 0, v4, s[4:5]
	v_cmp_nlt_f32_e64 s[4:5], s2, v14
	v_ldexp_f32 v3, v3, v5
	v_cmp_ngt_f32_e32 vcc, s3, v2
	v_cndmask_b32_e64 v4, v189, v4, s[4:5]
	v_cmp_le_f32_e64 s[4:5], s94, v14
	v_cndmask_b32_e32 v3, 0, v3, vcc
	v_cmp_nlt_f32_e32 vcc, s2, v2
	v_cndmask_b32_e64 v37, 0, v4, s[4:5]
	v_cvt_f16_f32_e32 v4, v37
	v_cndmask_b32_e32 v211, v189, v3, vcc
	v_cvt_pk_f16_f32 v26, v18, v19
	v_cvt_pk_f16_f32 v23, v206, v211
	v_mul_u32_u24_e32 v210, 0x10001, v4
	v_pk_mul_f16 v3, v216, v210
	v_pk_mul_f16 v5, v215, v210
	v_cvt_f32_f16_e32 v2, v3
	v_cvt_f32_f16_sdwa v3, v3 dst_sel:DWORD dst_unused:UNUSED_PAD src0_sel:WORD_1
	v_cvt_f32_f16_e32 v4, v5
	v_cvt_f32_f16_sdwa v5, v5 dst_sel:DWORD dst_unused:UNUSED_PAD src0_sel:WORD_1
	v_pk_mul_f16 v14, v29, v210
	v_pk_mul_f16 v9, v28, v210
	v_mfma_f32_16x16x16_f16 v[2:5], v[6:7], v[30:31], v[2:5]
	ds_read_u16 v6, v123 offset:3328
	ds_read_u16 v7, v36 offset:3328
	;; [unrolled: 1-line block ×4, first 2 shown]
	v_cvt_pk_f16_f32 v29, v115, v207
	v_cvt_pk_f16_f32 v28, v113, v114
	s_nop 1
	v_cvt_f16_f32_e32 v2, v2
	v_cvt_f16_f32_e32 v3, v3
	v_cvt_f16_f32_e32 v4, v4
	v_cvt_f16_f32_e32 v5, v5
	s_waitcnt lgkmcnt(1)
	v_perm_b32 v7, v8, v7, s34
	s_waitcnt lgkmcnt(0)
	v_perm_b32 v6, v10, v6, s34
	v_cvt_f32_f16_e32 v2, v2
	v_cvt_f32_f16_e32 v3, v3
	;; [unrolled: 1-line block ×4, first 2 shown]
	ds_read_u16 v10, v36 offset:32
	v_cvt_pk_f16_f32 v22, v208, v209
	v_mfma_f32_16x16x16_f16 v[2:5], v[6:7], v[28:29], v[2:5]
	ds_read_u16 v6, v123 offset:6656
	ds_read_u16 v7, v36 offset:6656
	;; [unrolled: 1-line block ×4, first 2 shown]
	v_pk_mul_f16 v118, v118, v210
	v_pk_mul_f16 v119, v119, v210
	s_nop 1
	v_cvt_f16_f32_e32 v2, v2
	v_cvt_f16_f32_e32 v3, v3
	;; [unrolled: 1-line block ×4, first 2 shown]
	s_waitcnt lgkmcnt(1)
	v_perm_b32 v7, v8, v7, s34
	s_waitcnt lgkmcnt(0)
	v_perm_b32 v6, v11, v6, s34
	v_cvt_f32_f16_e32 v2, v2
	v_cvt_f32_f16_e32 v3, v3
	;; [unrolled: 1-line block ×4, first 2 shown]
	ds_read_u16 v11, v35 offset:32
	v_add_f32_e32 v16, v16, v17
	v_mfma_f32_16x16x16_f16 v[2:5], v[6:7], v[26:27], v[2:5]
	ds_read_u16 v6, v123 offset:9984
	ds_read_u16 v7, v36 offset:9984
	;; [unrolled: 1-line block ×5, first 2 shown]
	s_waitcnt lgkmcnt(5)
	v_perm_b32 v11, v11, v10, s34
	s_nop 0
	v_cvt_f16_f32_e32 v2, v2
	v_cvt_f16_f32_e32 v3, v3
	;; [unrolled: 1-line block ×4, first 2 shown]
	s_waitcnt lgkmcnt(1)
	v_perm_b32 v6, v12, v6, s34
	ds_read_u16 v12, v123 offset:32
	v_perm_b32 v7, v8, v7, s34
	v_cvt_f32_f16_e32 v2, v2
	v_cvt_f32_f16_e32 v3, v3
	;; [unrolled: 1-line block ×4, first 2 shown]
	s_waitcnt lgkmcnt(0)
	v_perm_b32 v10, v13, v12, s34
	v_cvt_f32_f16_e32 v8, v9
	v_mfma_f32_16x16x16_f16 v[2:5], v[6:7], v[22:23], v[2:5]
	v_cvt_f32_f16_e32 v6, v14
	v_cvt_f32_f16_sdwa v7, v14 dst_sel:DWORD dst_unused:UNUSED_PAD src0_sel:WORD_1
	v_cvt_f32_f16_sdwa v9, v9 dst_sel:DWORD dst_unused:UNUSED_PAD src0_sel:WORD_1
	v_add_f32_e32 v16, v21, v16
	v_add_f32_e32 v21, v112, v16
	v_mfma_f32_16x16x16_f16 v[6:9], v[10:11], v[30:31], v[6:9]
	ds_read_u16 v10, v123 offset:3360
	ds_read_u16 v11, v36 offset:3360
	;; [unrolled: 1-line block ×4, first 2 shown]
	v_add_f32_e32 v21, v113, v21
	v_add_f32_e32 v21, v114, v21
	s_nop 1
	v_cvt_f16_f32_e32 v6, v6
	v_cvt_f16_f32_e32 v7, v7
	;; [unrolled: 1-line block ×4, first 2 shown]
	s_waitcnt lgkmcnt(1)
	v_perm_b32 v11, v12, v11, s34
	s_waitcnt lgkmcnt(0)
	v_perm_b32 v10, v13, v10, s34
	v_cvt_f32_f16_e32 v6, v6
	v_cvt_f32_f16_e32 v7, v7
	;; [unrolled: 1-line block ×4, first 2 shown]
	v_add_f32_e32 v21, v115, v21
	v_add_f32_e32 v21, v207, v21
	v_mfma_f32_16x16x16_f16 v[6:9], v[10:11], v[28:29], v[6:9]
	ds_read_u16 v10, v123 offset:6688
	ds_read_u16 v11, v36 offset:6688
	;; [unrolled: 1-line block ×4, first 2 shown]
	v_add_f32_e32 v18, v18, v21
	v_add_f32_e32 v18, v19, v18
	s_nop 1
	v_cvt_f16_f32_e32 v6, v6
	v_cvt_f16_f32_e32 v7, v7
	;; [unrolled: 1-line block ×4, first 2 shown]
	s_waitcnt lgkmcnt(1)
	v_perm_b32 v11, v12, v11, s34
	s_waitcnt lgkmcnt(0)
	v_perm_b32 v10, v13, v10, s34
	v_cvt_f32_f16_e32 v6, v6
	v_cvt_f32_f16_e32 v7, v7
	v_cvt_f32_f16_e32 v8, v8
	v_cvt_f32_f16_e32 v9, v9
	v_pk_mul_f16 v33, v33, v210
	v_cvt_f16_f32_e32 v4, v4
	v_mfma_f32_16x16x16_f16 v[6:9], v[10:11], v[26:27], v[6:9]
	ds_read_u16 v10, v123 offset:10016
	ds_read_u16 v11, v36 offset:10016
	;; [unrolled: 1-line block ×4, first 2 shown]
	v_cvt_f16_f32_e32 v5, v5
	v_cmp_eq_u64_e32 vcc, 0, v[92:93]
	s_nop 1
	v_cvt_f16_f32_e32 v6, v6
	v_cvt_f16_f32_e32 v7, v7
	;; [unrolled: 1-line block ×4, first 2 shown]
	s_waitcnt lgkmcnt(0)
	v_perm_b32 v10, v13, v10, s34
	v_pk_mul_f16 v13, v213, v210
	ds_read_u16 v14, v123 offset:64
	ds_read_u16 v15, v36 offset:64
	;; [unrolled: 1-line block ×4, first 2 shown]
	v_perm_b32 v11, v12, v11, s34
	v_cvt_f32_f16_e32 v6, v6
	v_cvt_f32_f16_e32 v7, v7
	;; [unrolled: 1-line block ×4, first 2 shown]
	v_pk_mul_f16 v12, v214, v210
	s_waitcnt lgkmcnt(1)
	v_perm_b32 v15, v212, v15, s34
	s_waitcnt lgkmcnt(0)
	v_perm_b32 v14, v213, v14, s34
	v_mfma_f32_16x16x16_f16 v[6:9], v[10:11], v[22:23], v[6:9]
	v_cvt_f32_f16_e32 v10, v12
	v_cvt_f32_f16_sdwa v11, v12 dst_sel:DWORD dst_unused:UNUSED_PAD src0_sel:WORD_1
	v_cvt_f32_f16_e32 v12, v13
	v_cvt_f32_f16_sdwa v13, v13 dst_sel:DWORD dst_unused:UNUSED_PAD src0_sel:WORD_1
	v_cvt_f32_f16_e32 v214, v119
	v_perm_b32 v4, v5, v4, s34
	v_mfma_f32_16x16x16_f16 v[10:13], v[14:15], v[30:31], v[10:13]
	ds_read_u16 v14, v123 offset:3392
	ds_read_u16 v15, v36 offset:3392
	;; [unrolled: 1-line block ×4, first 2 shown]
	v_cvt_f16_f32_e32 v5, v8
	s_and_b64 vcc, exec, vcc
	s_nop 1
	v_cvt_f16_f32_e32 v10, v10
	v_cvt_f16_f32_e32 v11, v11
	;; [unrolled: 1-line block ×4, first 2 shown]
	s_waitcnt lgkmcnt(1)
	v_perm_b32 v15, v212, v15, s34
	s_waitcnt lgkmcnt(0)
	v_perm_b32 v14, v213, v14, s34
	v_cvt_f32_f16_e32 v10, v10
	v_cvt_f32_f16_e32 v11, v11
	;; [unrolled: 1-line block ×4, first 2 shown]
	s_nop 1
	v_mfma_f32_16x16x16_f16 v[10:13], v[14:15], v[28:29], v[10:13]
	ds_read_u16 v14, v123 offset:6720
	ds_read_u16 v15, v36 offset:6720
	;; [unrolled: 1-line block ×4, first 2 shown]
	s_nop 3
	v_cvt_f16_f32_e32 v10, v10
	v_cvt_f16_f32_e32 v11, v11
	;; [unrolled: 1-line block ×4, first 2 shown]
	s_waitcnt lgkmcnt(1)
	v_perm_b32 v15, v212, v15, s34
	s_waitcnt lgkmcnt(0)
	v_perm_b32 v14, v213, v14, s34
	v_cvt_f32_f16_e32 v10, v10
	v_cvt_f32_f16_e32 v11, v11
	;; [unrolled: 1-line block ×4, first 2 shown]
	s_nop 1
	v_mfma_f32_16x16x16_f16 v[10:13], v[14:15], v[26:27], v[10:13]
	ds_read_u16 v14, v123 offset:10048
	ds_read_u16 v15, v36 offset:10048
	;; [unrolled: 1-line block ×4, first 2 shown]
	s_nop 3
	v_cvt_f16_f32_e32 v10, v10
	v_cvt_f16_f32_e32 v11, v11
	;; [unrolled: 1-line block ×4, first 2 shown]
	s_waitcnt lgkmcnt(1)
	v_perm_b32 v15, v212, v15, s34
	s_waitcnt lgkmcnt(0)
	v_perm_b32 v14, v213, v14, s34
	v_cvt_f32_f16_e32 v10, v10
	v_cvt_f32_f16_e32 v11, v11
	;; [unrolled: 1-line block ×5, first 2 shown]
	v_cvt_f32_f16_sdwa v213, v118 dst_sel:DWORD dst_unused:UNUSED_PAD src0_sel:WORD_1
	v_mfma_f32_16x16x16_f16 v[10:13], v[14:15], v[22:23], v[10:13]
	ds_read_u16 v14, v123 offset:96
	ds_read_u16 v15, v36 offset:96
	;; [unrolled: 1-line block ×4, first 2 shown]
	s_waitcnt lgkmcnt(1)
	v_perm_b32 v15, v215, v15, s34
	s_waitcnt lgkmcnt(0)
	v_perm_b32 v14, v216, v14, s34
	v_cvt_f32_f16_sdwa v215, v119 dst_sel:DWORD dst_unused:UNUSED_PAD src0_sel:WORD_1
	s_nop 1
	v_mfma_f32_16x16x16_f16 v[212:215], v[14:15], v[30:31], v[212:215]
	s_nop 7
	v_cvt_f16_f32_e32 v119, v215
	ds_read_u16 v215, v123 offset:3424
	ds_read_u16 v216, v36 offset:3424
	;; [unrolled: 1-line block ×4, first 2 shown]
	v_cvt_f16_f32_e32 v14, v212
	v_cvt_f16_f32_e32 v15, v213
	;; [unrolled: 1-line block ×3, first 2 shown]
	v_cvt_f32_f16_e32 v212, v14
	v_cvt_f32_f16_e32 v213, v15
	s_waitcnt lgkmcnt(1)
	v_perm_b32 v15, v217, v216, s34
	s_waitcnt lgkmcnt(0)
	v_perm_b32 v14, v218, v215, s34
	v_cvt_f32_f16_e32 v214, v118
	v_cvt_f32_f16_e32 v215, v119
	s_nop 1
	v_mfma_f32_16x16x16_f16 v[14:17], v[14:15], v[28:29], v[212:215]
	ds_read_u16 v112, v123 offset:6752
	ds_read_u16 v118, v36 offset:6752
	;; [unrolled: 1-line block ×4, first 2 shown]
	s_nop 3
	v_cvt_f16_f32_e32 v14, v14
	v_cvt_f16_f32_e32 v15, v15
	;; [unrolled: 1-line block ×4, first 2 shown]
	s_waitcnt lgkmcnt(1)
	v_perm_b32 v119, v119, v118, s34
	s_waitcnt lgkmcnt(0)
	v_perm_b32 v118, v212, v112, s34
	v_cvt_f32_f16_e32 v14, v14
	v_cvt_f32_f16_e32 v15, v15
	;; [unrolled: 1-line block ×4, first 2 shown]
	ds_read_u16 v112, v123 offset:10080
	ds_read_u16 v113, v36 offset:10080
	;; [unrolled: 1-line block ×4, first 2 shown]
	v_mfma_f32_16x16x16_f16 v[14:17], v[118:119], v[26:27], v[14:17]
	s_waitcnt lgkmcnt(1)
	v_perm_b32 v113, v114, v113, s34
	s_waitcnt lgkmcnt(0)
	v_perm_b32 v112, v115, v112, s34
	v_pk_mul_f16 v114, v117, v210
	s_nop 2
	v_cvt_f16_f32_e32 v14, v14
	v_cvt_f16_f32_e32 v15, v15
	;; [unrolled: 1-line block ×4, first 2 shown]
	v_pk_mul_f16 v115, v116, v210
	ds_read_u16 v116, v123 offset:128
	ds_read_u16 v117, v36 offset:128
	;; [unrolled: 1-line block ×4, first 2 shown]
	v_cvt_f32_f16_e32 v14, v14
	v_cvt_f32_f16_e32 v15, v15
	;; [unrolled: 1-line block ×4, first 2 shown]
	s_waitcnt lgkmcnt(1)
	v_perm_b32 v117, v118, v117, s34
	s_waitcnt lgkmcnt(0)
	v_perm_b32 v116, v119, v116, s34
	v_mfma_f32_16x16x16_f16 v[14:17], v[112:113], v[22:23], v[14:17]
	v_cvt_f32_f16_e32 v112, v114
	v_cvt_f32_f16_sdwa v113, v114 dst_sel:DWORD dst_unused:UNUSED_PAD src0_sel:WORD_1
	v_cvt_f32_f16_e32 v114, v115
	v_cvt_f32_f16_sdwa v115, v115 dst_sel:DWORD dst_unused:UNUSED_PAD src0_sel:WORD_1
	v_add_f32_e32 v118, v20, v18
	v_add_f32_e32 v44, v44, v118
	v_mfma_f32_16x16x16_f16 v[18:21], v[116:117], v[30:31], v[112:115]
	s_nop 2
	ds_read_u16 v112, v123 offset:3456
	ds_read_u16 v113, v36 offset:3456
	;; [unrolled: 1-line block ×4, first 2 shown]
	v_add_f32_e32 v44, v208, v44
	v_add_f32_e32 v44, v209, v44
	v_cvt_f16_f32_e32 v18, v18
	v_cvt_f16_f32_e32 v19, v19
	;; [unrolled: 1-line block ×4, first 2 shown]
	s_waitcnt lgkmcnt(1)
	v_perm_b32 v113, v114, v113, s34
	s_waitcnt lgkmcnt(0)
	v_perm_b32 v112, v115, v112, s34
	v_cvt_f32_f16_e32 v18, v18
	v_cvt_f32_f16_e32 v19, v19
	;; [unrolled: 1-line block ×4, first 2 shown]
	v_add_f32_e32 v44, v206, v44
	v_add_f32_e32 v44, v211, v44
	v_mfma_f32_16x16x16_f16 v[18:21], v[112:113], v[28:29], v[18:21]
	ds_read_u16 v112, v123 offset:6784
	ds_read_u16 v113, v36 offset:6784
	;; [unrolled: 1-line block ×4, first 2 shown]
	v_fmac_f32_e32 v44, v205, v37
	s_nop 2
	v_cvt_f16_f32_e32 v18, v18
	v_cvt_f16_f32_e32 v19, v19
	;; [unrolled: 1-line block ×4, first 2 shown]
	s_waitcnt lgkmcnt(1)
	v_perm_b32 v113, v114, v113, s34
	s_waitcnt lgkmcnt(0)
	v_perm_b32 v112, v115, v112, s34
	v_cvt_f32_f16_e32 v18, v18
	v_cvt_f32_f16_e32 v19, v19
	;; [unrolled: 1-line block ×4, first 2 shown]
	s_nop 1
	v_mfma_f32_16x16x16_f16 v[18:21], v[112:113], v[26:27], v[18:21]
	ds_read_u16 v112, v123 offset:10112
	ds_read_u16 v113, v36 offset:10112
	;; [unrolled: 1-line block ×4, first 2 shown]
	s_nop 3
	v_cvt_f16_f32_e32 v18, v18
	v_cvt_f16_f32_e32 v19, v19
	;; [unrolled: 1-line block ×4, first 2 shown]
	s_waitcnt lgkmcnt(1)
	v_perm_b32 v113, v114, v113, s34
	s_waitcnt lgkmcnt(0)
	v_perm_b32 v112, v115, v112, s34
	v_pk_mul_f16 v115, v32, v210
	ds_read_u16 v32, v123 offset:160
	ds_read_u16 v116, v36 offset:160
	;; [unrolled: 1-line block ×4, first 2 shown]
	v_cvt_f32_f16_e32 v18, v18
	v_cvt_f32_f16_e32 v19, v19
	;; [unrolled: 1-line block ×4, first 2 shown]
	s_waitcnt lgkmcnt(0)
	v_perm_b32 v32, v118, v32, s34
	v_cvt_f32_f16_e32 v114, v115
	v_mfma_f32_16x16x16_f16 v[18:21], v[112:113], v[22:23], v[18:21]
	v_cvt_f32_f16_e32 v112, v33
	v_cvt_f32_f16_sdwa v113, v33 dst_sel:DWORD dst_unused:UNUSED_PAD src0_sel:WORD_1
	v_perm_b32 v33, v117, v116, s34
	v_cvt_f32_f16_sdwa v115, v115 dst_sel:DWORD dst_unused:UNUSED_PAD src0_sel:WORD_1
	s_nop 1
	v_mfma_f32_16x16x16_f16 v[30:33], v[32:33], v[30:31], v[112:115]
	ds_read_u16 v37, v123 offset:3488
	s_nop 1
	ds_read_u16 v112, v36 offset:3488
	ds_read_u16 v113, v35 offset:3488
	;; [unrolled: 1-line block ×3, first 2 shown]
	s_nop 1
	v_cvt_f16_f32_e32 v8, v30
	v_cvt_f16_f32_e32 v31, v31
	;; [unrolled: 1-line block ×4, first 2 shown]
	s_waitcnt lgkmcnt(1)
	v_perm_b32 v113, v113, v112, s34
	s_waitcnt lgkmcnt(0)
	v_perm_b32 v112, v114, v37, s34
	v_cvt_f32_f16_e32 v30, v8
	v_cvt_f32_f16_e32 v31, v31
	;; [unrolled: 1-line block ×4, first 2 shown]
	v_cvt_f16_f32_e32 v8, v9
	v_cvt_f16_f32_e32 v9, v12
	v_mfma_f32_16x16x16_f16 v[28:31], v[112:113], v[28:29], v[30:33]
	s_nop 2
	ds_read_u16 v32, v123 offset:6816
	ds_read_u16 v33, v36 offset:6816
	;; [unrolled: 1-line block ×4, first 2 shown]
	v_cvt_f16_f32_e32 v37, v13
	v_perm_b32 v8, v8, v5, s34
	v_cvt_f16_f32_e32 v12, v28
	v_cvt_f16_f32_e32 v13, v29
	;; [unrolled: 1-line block ×4, first 2 shown]
	v_cvt_f32_f16_e32 v28, v12
	v_cvt_f32_f16_e32 v29, v13
	s_waitcnt lgkmcnt(1)
	v_perm_b32 v13, v112, v33, s34
	s_waitcnt lgkmcnt(0)
	v_perm_b32 v12, v113, v32, s34
	v_cvt_f32_f16_e32 v30, v30
	v_cvt_f32_f16_e32 v31, v31
	v_perm_b32 v5, v37, v9, s34
	v_cvt_f16_f32_e32 v9, v16
	v_mfma_f32_16x16x16_f16 v[26:29], v[12:13], v[26:27], v[28:31]
	s_nop 7
	v_cvt_f16_f32_e32 v16, v26
	v_cvt_f16_f32_e32 v26, v27
	;; [unrolled: 1-line block ×4, first 2 shown]
	ds_read_u16 v13, v123 offset:10144
	ds_read_u16 v28, v36 offset:10144
	;; [unrolled: 1-line block ×4, first 2 shown]
	v_cvt_f32_f16_e32 v113, v26
	v_cvt_f32_f16_e32 v114, v27
	;; [unrolled: 1-line block ×3, first 2 shown]
	s_waitcnt lgkmcnt(1)
	v_perm_b32 v27, v29, v28, s34
	s_waitcnt lgkmcnt(0)
	v_perm_b32 v26, v30, v13, s34
	v_cvt_f32_f16_e32 v115, v12
	v_cvt_f16_f32_e32 v13, v20
	v_cvt_f16_f32_e32 v16, v21
	v_mfma_f32_16x16x16_f16 v[20:23], v[26:27], v[22:23], v[112:115]
	v_cvt_f16_f32_e32 v12, v17
	s_barrier
	s_nop 5
	v_cvt_f16_f32_e32 v17, v22
	v_cvt_f16_f32_e32 v22, v23
	ds_bpermute_b32 v23, v34, v44
	v_perm_b32 v9, v12, v9, s34
	v_perm_b32 v12, v16, v13, s34
	;; [unrolled: 1-line block ×3, first 2 shown]
	s_waitcnt lgkmcnt(0)
	v_add_f32_e32 v16, v44, v23
	ds_bpermute_b32 v17, v25, v16
	s_waitcnt lgkmcnt(0)
	v_add_f32_e32 v25, v16, v17
	s_cbranch_vccnz .LBB14_72
; %bb.71:                               ;   in Loop: Header=BB14_12 Depth=1
	v_lshlrev_b32_e32 v16, 2, v68
	v_readfirstlane_b32 s4, v92
	v_readfirstlane_b32 s5, v93
	v_cvt_pk_f16_f32 v2, v2, v3
	v_cvt_pk_f16_f32 v3, v6, v7
	v_max_f32_e32 v6, v24, v24
	v_cvt_pk_f16_f32 v10, v10, v11
	v_cvt_pk_f16_f32 v11, v14, v15
	global_load_dword v16, v16, s[4:5]
	s_waitcnt vmcnt(0)
	v_max_f32_e32 v7, v16, v16
	v_max_f32_e32 v14, v6, v7
	v_sub_f32_e32 v6, v24, v14
	v_sub_f32_e32 v7, v16, v14
	v_mul_f32_e32 v15, 0x3fb8aa3b, v6
	v_mul_f32_e32 v16, 0x3fb8aa3b, v7
	v_fma_f32 v17, v6, s11, -v15
	v_rndne_f32_e32 v22, v15
	v_fma_f32 v23, v7, s11, -v16
	v_rndne_f32_e32 v24, v16
	v_fmac_f32_e32 v17, 0x32a5705f, v6
	v_sub_f32_e32 v15, v15, v22
	v_fmac_f32_e32 v23, 0x32a5705f, v7
	v_sub_f32_e32 v16, v16, v24
	v_add_f32_e32 v15, v15, v17
	v_cvt_i32_f32_e32 v22, v22
	v_add_f32_e32 v16, v16, v23
	v_exp_f32_e32 v15, v15
	v_cvt_i32_f32_e32 v24, v24
	v_exp_f32_e32 v16, v16
	v_cmp_ngt_f32_e32 vcc, s3, v6
	v_ldexp_f32 v15, v15, v22
	v_cvt_pk_f16_f32 v17, v18, v19
	v_ldexp_f32 v16, v16, v24
	v_cndmask_b32_e32 v15, 0, v15, vcc
	v_cmp_ngt_f32_e32 vcc, s3, v7
	v_cvt_pk_f16_f32 v18, v20, v21
	s_nop 0
	v_cndmask_b32_e32 v16, 0, v16, vcc
	v_cmp_nlt_f32_e32 vcc, s2, v6
	s_nop 1
	v_cndmask_b32_e32 v15, v189, v15, vcc
	v_cmp_le_f32_e32 vcc, s94, v6
	s_nop 1
	v_cndmask_b32_e32 v6, 0, v15, vcc
	v_cvt_f16_f32_e32 v19, v6
	v_cmp_nlt_f32_e32 vcc, s2, v7
	s_nop 1
	v_cndmask_b32_e32 v15, v189, v16, vcc
	v_fmac_f32_e32 v15, v25, v6
	v_mul_u32_u24_e32 v16, 0x10001, v19
	v_pk_mul_f16 v7, v2, v16
	v_pk_mul_f16 v4, v4, v16
	;; [unrolled: 1-line block ×12, first 2 shown]
	v_mov_b64_e32 v[24:25], v[14:15]
	s_branch .LBB14_73
.LBB14_72:                              ;   in Loop: Header=BB14_12 Depth=1
	v_cvt_f16_f32_e32 v16, v2
	v_cvt_f16_f32_e32 v17, v3
	;; [unrolled: 1-line block ×12, first 2 shown]
	v_perm_b32 v2, v11, v2, s34
	v_perm_b32 v3, v10, v3, s34
	;; [unrolled: 1-line block ×6, first 2 shown]
.LBB14_73:                              ;   in Loop: Header=BB14_12 Depth=1
	s_barrier
	s_and_saveexec_b64 s[4:5], s[0:1]
	s_cbranch_execz .LBB14_75
; %bb.74:                               ;   in Loop: Header=BB14_12 Depth=1
	global_store_dwordx2 v[62:63], v[24:25], off
.LBB14_75:                              ;   in Loop: Header=BB14_12 Depth=1
	s_or_b64 exec, exec, s[4:5]
	v_add_u32_e32 v14, v79, v140
	v_cmp_gt_i32_e64 s[4:5], s8, v81
	v_cmp_gt_i32_e64 s[6:7], s33, v190
	ds_write2_b32 v14, v7, v4 offset1:1
	ds_write2_b32 v14, v6, v8 offset0:8 offset1:9
	ds_write2_b32 v14, v3, v5 offset0:16 offset1:17
	;; [unrolled: 1-line block ×5, first 2 shown]
	v_cmp_le_i32_e32 vcc, s33, v190
	s_and_b64 s[6:7], s[4:5], s[6:7]
	v_mov_b32_e32 v2, 50
	s_waitcnt lgkmcnt(0)
	s_barrier
	s_and_saveexec_b64 s[4:5], s[6:7]
	s_cbranch_execz .LBB14_77
; %bb.76:                               ;   in Loop: Header=BB14_12 Depth=1
	v_add_u32_e32 v2, v153, v181
	ds_read_b32 v5, v2
	v_mad_u64_u32 v[2:3], s[6:7], v81, s9, v[78:79]
	v_mad_u64_u32 v[2:3], s[6:7], v2, 48, v[40:41]
	s_waitcnt lgkmcnt(0)
	v_cvt_f32_f16_e32 v4, v5
	v_cvt_f32_f16_sdwa v5, v5 dst_sel:DWORD dst_unused:UNUSED_PAD src0_sel:WORD_1
	v_ashrrev_i32_e32 v3, 31, v2
	v_lshl_add_u64 v[2:3], v[2:3], 3, v[90:91]
	v_pk_add_f32 v[4:5], v[4:5], 0 op_sel_hi:[1,0]
	global_store_dwordx2 v[2:3], v[4:5], off
	v_mov_b32_e32 v2, 0
.LBB14_77:                              ;   in Loop: Header=BB14_12 Depth=1
	s_or_b64 exec, exec, s[4:5]
	v_cmp_gt_i32_e64 s[4:5], 50, v2
	s_mov_b64 s[70:71], -1
	s_and_saveexec_b64 s[6:7], s[4:5]
; %bb.78:                               ;   in Loop: Header=BB14_12 Depth=1
	v_cmp_eq_u32_e64 s[4:5], 0, v2
	s_orn2_b64 s[70:71], s[4:5], exec
; %bb.79:                               ;   in Loop: Header=BB14_12 Depth=1
	s_or_b64 exec, exec, s[6:7]
	s_and_saveexec_b64 s[6:7], s[70:71]
	s_cbranch_execz .LBB14_112
; %bb.80:                               ;   in Loop: Header=BB14_12 Depth=1
	v_cmp_gt_i32_e64 s[4:5], s8, v204
	s_xor_b64 s[70:71], vcc, -1
	s_and_b64 s[60:61], s[4:5], s[70:71]
	v_mov_b32_e32 v2, 50
	s_and_saveexec_b64 s[4:5], s[60:61]
	s_cbranch_execz .LBB14_82
; %bb.81:                               ;   in Loop: Header=BB14_12 Depth=1
	v_add_u32_e32 v2, v153, v181
	ds_read_b32 v5, v2 offset:1664
	v_mad_u64_u32 v[2:3], s[60:61], v204, s9, v[78:79]
	v_mad_u64_u32 v[2:3], s[60:61], v2, 48, v[40:41]
	s_waitcnt lgkmcnt(0)
	v_cvt_f32_f16_e32 v4, v5
	v_cvt_f32_f16_sdwa v5, v5 dst_sel:DWORD dst_unused:UNUSED_PAD src0_sel:WORD_1
	v_ashrrev_i32_e32 v3, 31, v2
	v_lshl_add_u64 v[2:3], v[2:3], 3, v[90:91]
	v_pk_add_f32 v[4:5], v[4:5], 0 op_sel_hi:[1,0]
	global_store_dwordx2 v[2:3], v[4:5], off
	v_mov_b32_e32 v2, 0
.LBB14_82:                              ;   in Loop: Header=BB14_12 Depth=1
	s_or_b64 exec, exec, s[4:5]
	v_cmp_gt_i32_e32 vcc, 50, v2
	s_mov_b64 s[4:5], -1
	s_and_saveexec_b64 s[72:73], vcc
; %bb.83:                               ;   in Loop: Header=BB14_12 Depth=1
	v_cmp_eq_u32_e32 vcc, 0, v2
	s_orn2_b64 s[4:5], vcc, exec
; %bb.84:                               ;   in Loop: Header=BB14_12 Depth=1
	s_or_b64 exec, exec, s[72:73]
	s_and_b64 exec, exec, s[4:5]
	s_cbranch_execz .LBB14_112
; %bb.85:                               ;   in Loop: Header=BB14_12 Depth=1
	v_cmp_gt_i32_e32 vcc, s8, v203
	s_and_b64 s[60:61], vcc, s[70:71]
	v_mov_b32_e32 v2, 50
	s_and_saveexec_b64 s[4:5], s[60:61]
	s_cbranch_execz .LBB14_87
; %bb.86:                               ;   in Loop: Header=BB14_12 Depth=1
	ds_read_b32 v5, v167
	v_mad_u64_u32 v[2:3], s[60:61], v203, s9, v[78:79]
	v_mad_u64_u32 v[2:3], s[60:61], v2, 48, v[40:41]
	s_waitcnt lgkmcnt(0)
	v_cvt_f32_f16_e32 v4, v5
	v_cvt_f32_f16_sdwa v5, v5 dst_sel:DWORD dst_unused:UNUSED_PAD src0_sel:WORD_1
	v_ashrrev_i32_e32 v3, 31, v2
	v_lshl_add_u64 v[2:3], v[2:3], 3, v[90:91]
	v_pk_add_f32 v[4:5], v[4:5], 0 op_sel_hi:[1,0]
	global_store_dwordx2 v[2:3], v[4:5], off
	v_mov_b32_e32 v2, 0
.LBB14_87:                              ;   in Loop: Header=BB14_12 Depth=1
	s_or_b64 exec, exec, s[4:5]
	v_cmp_gt_i32_e32 vcc, 50, v2
	s_mov_b64 s[4:5], -1
	s_and_saveexec_b64 s[72:73], vcc
; %bb.88:                               ;   in Loop: Header=BB14_12 Depth=1
	v_cmp_eq_u32_e32 vcc, 0, v2
	s_orn2_b64 s[4:5], vcc, exec
; %bb.89:                               ;   in Loop: Header=BB14_12 Depth=1
	s_or_b64 exec, exec, s[72:73]
	s_and_b64 exec, exec, s[4:5]
	s_cbranch_execz .LBB14_112
; %bb.90:                               ;   in Loop: Header=BB14_12 Depth=1
	v_cmp_gt_i32_e32 vcc, s8, v202
	s_and_b64 s[60:61], vcc, s[70:71]
	v_mov_b32_e32 v2, 50
	s_and_saveexec_b64 s[4:5], s[60:61]
	s_cbranch_execz .LBB14_92
; %bb.91:                               ;   in Loop: Header=BB14_12 Depth=1
	v_add_u32_e32 v2, v153, v181
	ds_read_b32 v5, v2 offset:4992
	v_mad_u64_u32 v[2:3], s[60:61], v202, s9, v[78:79]
	v_mad_u64_u32 v[2:3], s[60:61], v2, 48, v[40:41]
	s_waitcnt lgkmcnt(0)
	v_cvt_f32_f16_e32 v4, v5
	v_cvt_f32_f16_sdwa v5, v5 dst_sel:DWORD dst_unused:UNUSED_PAD src0_sel:WORD_1
	v_ashrrev_i32_e32 v3, 31, v2
	v_lshl_add_u64 v[2:3], v[2:3], 3, v[90:91]
	v_pk_add_f32 v[4:5], v[4:5], 0 op_sel_hi:[1,0]
	global_store_dwordx2 v[2:3], v[4:5], off
	v_mov_b32_e32 v2, 0
.LBB14_92:                              ;   in Loop: Header=BB14_12 Depth=1
	s_or_b64 exec, exec, s[4:5]
	v_cmp_gt_i32_e32 vcc, 50, v2
	s_mov_b64 s[4:5], -1
	s_and_saveexec_b64 s[72:73], vcc
; %bb.93:                               ;   in Loop: Header=BB14_12 Depth=1
	v_cmp_eq_u32_e32 vcc, 0, v2
	s_orn2_b64 s[4:5], vcc, exec
; %bb.94:                               ;   in Loop: Header=BB14_12 Depth=1
	s_or_b64 exec, exec, s[72:73]
	s_and_b64 exec, exec, s[4:5]
	s_cbranch_execz .LBB14_112
; %bb.95:                               ;   in Loop: Header=BB14_12 Depth=1
	v_cmp_gt_i32_e32 vcc, s8, v201
	s_and_b64 s[60:61], vcc, s[70:71]
	v_mov_b32_e32 v2, 50
	s_and_saveexec_b64 s[4:5], s[60:61]
	s_cbranch_execz .LBB14_97
; %bb.96:                               ;   in Loop: Header=BB14_12 Depth=1
	ds_read_b32 v5, v168
	v_mad_u64_u32 v[2:3], s[60:61], v201, s9, v[78:79]
	v_mad_u64_u32 v[2:3], s[60:61], v2, 48, v[40:41]
	s_waitcnt lgkmcnt(0)
	v_cvt_f32_f16_e32 v4, v5
	v_cvt_f32_f16_sdwa v5, v5 dst_sel:DWORD dst_unused:UNUSED_PAD src0_sel:WORD_1
	v_ashrrev_i32_e32 v3, 31, v2
	v_lshl_add_u64 v[2:3], v[2:3], 3, v[90:91]
	v_pk_add_f32 v[4:5], v[4:5], 0 op_sel_hi:[1,0]
	global_store_dwordx2 v[2:3], v[4:5], off
	v_mov_b32_e32 v2, 0
.LBB14_97:                              ;   in Loop: Header=BB14_12 Depth=1
	s_or_b64 exec, exec, s[4:5]
	v_cmp_gt_i32_e32 vcc, 50, v2
	s_mov_b64 s[4:5], -1
	s_and_saveexec_b64 s[72:73], vcc
; %bb.98:                               ;   in Loop: Header=BB14_12 Depth=1
	v_cmp_eq_u32_e32 vcc, 0, v2
	s_orn2_b64 s[4:5], vcc, exec
; %bb.99:                               ;   in Loop: Header=BB14_12 Depth=1
	s_or_b64 exec, exec, s[72:73]
	s_and_b64 exec, exec, s[4:5]
	s_cbranch_execz .LBB14_112
; %bb.100:                              ;   in Loop: Header=BB14_12 Depth=1
	v_cmp_gt_i32_e32 vcc, s8, v200
	s_and_b64 s[60:61], vcc, s[70:71]
	v_mov_b32_e32 v2, 50
	s_and_saveexec_b64 s[4:5], s[60:61]
	s_cbranch_execz .LBB14_102
; %bb.101:                              ;   in Loop: Header=BB14_12 Depth=1
	v_add_u32_e32 v2, v153, v181
	ds_read_b32 v5, v2 offset:8320
	v_mad_u64_u32 v[2:3], s[60:61], v200, s9, v[78:79]
	v_mad_u64_u32 v[2:3], s[60:61], v2, 48, v[40:41]
	s_waitcnt lgkmcnt(0)
	v_cvt_f32_f16_e32 v4, v5
	v_cvt_f32_f16_sdwa v5, v5 dst_sel:DWORD dst_unused:UNUSED_PAD src0_sel:WORD_1
	v_ashrrev_i32_e32 v3, 31, v2
	v_lshl_add_u64 v[2:3], v[2:3], 3, v[90:91]
	v_pk_add_f32 v[4:5], v[4:5], 0 op_sel_hi:[1,0]
	global_store_dwordx2 v[2:3], v[4:5], off
	v_mov_b32_e32 v2, 0
.LBB14_102:                             ;   in Loop: Header=BB14_12 Depth=1
	s_or_b64 exec, exec, s[4:5]
	v_cmp_gt_i32_e32 vcc, 50, v2
	s_mov_b64 s[4:5], -1
	s_and_saveexec_b64 s[72:73], vcc
; %bb.103:                              ;   in Loop: Header=BB14_12 Depth=1
	v_cmp_eq_u32_e32 vcc, 0, v2
	s_orn2_b64 s[4:5], vcc, exec
; %bb.104:                              ;   in Loop: Header=BB14_12 Depth=1
	s_or_b64 exec, exec, s[72:73]
	s_and_b64 exec, exec, s[4:5]
	s_cbranch_execz .LBB14_112
; %bb.105:                              ;   in Loop: Header=BB14_12 Depth=1
	v_cmp_gt_i32_e32 vcc, s8, v199
	s_and_b64 s[60:61], vcc, s[70:71]
	v_mov_b32_e32 v2, 50
	s_and_saveexec_b64 s[4:5], s[60:61]
	s_cbranch_execz .LBB14_107
; %bb.106:                              ;   in Loop: Header=BB14_12 Depth=1
	ds_read_b32 v5, v169
	v_mad_u64_u32 v[2:3], s[60:61], v199, s9, v[78:79]
	v_mad_u64_u32 v[2:3], s[60:61], v2, 48, v[40:41]
	s_waitcnt lgkmcnt(0)
	v_cvt_f32_f16_e32 v4, v5
	v_cvt_f32_f16_sdwa v5, v5 dst_sel:DWORD dst_unused:UNUSED_PAD src0_sel:WORD_1
	v_ashrrev_i32_e32 v3, 31, v2
	v_lshl_add_u64 v[2:3], v[2:3], 3, v[90:91]
	v_pk_add_f32 v[4:5], v[4:5], 0 op_sel_hi:[1,0]
	global_store_dwordx2 v[2:3], v[4:5], off
	v_mov_b32_e32 v2, 0
.LBB14_107:                             ;   in Loop: Header=BB14_12 Depth=1
	s_or_b64 exec, exec, s[4:5]
	v_cmp_gt_i32_e32 vcc, 50, v2
	s_mov_b64 s[4:5], -1
	s_and_saveexec_b64 s[72:73], vcc
; %bb.108:                              ;   in Loop: Header=BB14_12 Depth=1
	v_cmp_eq_u32_e32 vcc, 0, v2
	s_orn2_b64 s[4:5], vcc, exec
; %bb.109:                              ;   in Loop: Header=BB14_12 Depth=1
	s_or_b64 exec, exec, s[72:73]
	s_and_b64 exec, exec, s[4:5]
	s_cbranch_execz .LBB14_112
; %bb.110:                              ;   in Loop: Header=BB14_12 Depth=1
	v_cmp_gt_i32_e32 vcc, s8, v197
	s_and_b64 s[4:5], vcc, s[70:71]
	s_and_b64 exec, exec, s[4:5]
	s_cbranch_execz .LBB14_112
; %bb.111:                              ;   in Loop: Header=BB14_12 Depth=1
	v_add_u32_e32 v2, v153, v181
	ds_read_b32 v5, v2 offset:11648
	v_mad_u64_u32 v[2:3], s[4:5], v197, s9, v[78:79]
	v_mad_u64_u32 v[2:3], s[4:5], v2, 48, v[40:41]
	s_waitcnt lgkmcnt(0)
	v_cvt_f32_f16_e32 v4, v5
	v_cvt_f32_f16_sdwa v5, v5 dst_sel:DWORD dst_unused:UNUSED_PAD src0_sel:WORD_1
	v_ashrrev_i32_e32 v3, 31, v2
	v_lshl_add_u64 v[2:3], v[2:3], 3, v[90:91]
	v_pk_add_f32 v[4:5], v[4:5], 0 op_sel_hi:[1,0]
	global_store_dwordx2 v[2:3], v[4:5], off
.LBB14_112:                             ;   in Loop: Header=BB14_12 Depth=1
	s_or_b64 exec, exec, s[6:7]
	v_cmp_gt_i32_e64 s[4:5], s8, v196
	v_cmp_gt_i32_e64 s[6:7], s33, v198
	v_cmp_le_i32_e32 vcc, s33, v198
	s_and_b64 s[6:7], s[4:5], s[6:7]
	v_mov_b32_e32 v2, 50
	s_and_saveexec_b64 s[4:5], s[6:7]
	s_cbranch_execz .LBB14_114
; %bb.113:                              ;   in Loop: Header=BB14_12 Depth=1
	v_add_u32_e32 v2, v147, v183
	ds_read_b32 v4, v2 offset:128
	v_mad_u64_u32 v[2:3], s[6:7], v196, s9, v[74:75]
	v_mul_lo_u32 v6, v2, 48
	v_ashrrev_i32_e32 v5, 31, v6
	s_waitcnt lgkmcnt(0)
	v_cvt_f32_f16_e32 v2, v4
	v_cvt_f32_f16_sdwa v3, v4 dst_sel:DWORD dst_unused:UNUSED_PAD src0_sel:WORD_1
	v_or_b32_e32 v4, v6, v38
	v_lshl_add_u64 v[4:5], v[4:5], 3, v[90:91]
	v_pk_add_f32 v[2:3], v[2:3], 0 op_sel_hi:[1,0]
	global_store_dwordx2 v[4:5], v[2:3], off offset:256
	v_mov_b32_e32 v2, 0
.LBB14_114:                             ;   in Loop: Header=BB14_12 Depth=1
	s_or_b64 exec, exec, s[4:5]
	v_cmp_gt_i32_e64 s[4:5], 50, v2
	s_mov_b64 s[74:75], -1
	s_and_saveexec_b64 s[6:7], s[4:5]
; %bb.115:                              ;   in Loop: Header=BB14_12 Depth=1
	v_cmp_eq_u32_e64 s[4:5], 0, v2
	s_orn2_b64 s[74:75], s[4:5], exec
; %bb.116:                              ;   in Loop: Header=BB14_12 Depth=1
	s_or_b64 exec, exec, s[6:7]
	s_mov_b64 s[70:71], 0
	s_mov_b64 s[6:7], 0
                                        ; implicit-def: $vgpr4_vgpr5
                                        ; implicit-def: $vgpr2
	s_and_saveexec_b64 s[72:73], s[74:75]
	s_cbranch_execz .LBB14_132
; %bb.117:                              ;   in Loop: Header=BB14_12 Depth=1
	v_cmp_gt_i32_e64 s[4:5], s8, v195
	s_xor_b64 s[6:7], vcc, -1
	s_and_b64 s[60:61], s[4:5], s[6:7]
	v_mov_b32_e32 v2, 50
	s_and_saveexec_b64 s[4:5], s[60:61]
	s_cbranch_execz .LBB14_119
; %bb.118:                              ;   in Loop: Header=BB14_12 Depth=1
	ds_read_b32 v4, v170 offset:128
	v_mad_u64_u32 v[2:3], s[60:61], v195, s9, v[74:75]
	v_mul_lo_u32 v6, v2, 48
	v_ashrrev_i32_e32 v5, 31, v6
	s_waitcnt lgkmcnt(0)
	v_cvt_f32_f16_e32 v2, v4
	v_cvt_f32_f16_sdwa v3, v4 dst_sel:DWORD dst_unused:UNUSED_PAD src0_sel:WORD_1
	v_or_b32_e32 v4, v6, v38
	v_lshl_add_u64 v[4:5], v[4:5], 3, v[90:91]
	v_pk_add_f32 v[2:3], v[2:3], 0 op_sel_hi:[1,0]
	global_store_dwordx2 v[4:5], v[2:3], off offset:256
	v_mov_b32_e32 v2, 0
.LBB14_119:                             ;   in Loop: Header=BB14_12 Depth=1
	s_or_b64 exec, exec, s[4:5]
	v_cmp_gt_i32_e32 vcc, 50, v2
	s_mov_b64 s[76:77], -1
	s_and_saveexec_b64 s[4:5], vcc
; %bb.120:                              ;   in Loop: Header=BB14_12 Depth=1
	v_cmp_eq_u32_e32 vcc, 0, v2
	s_orn2_b64 s[76:77], vcc, exec
; %bb.121:                              ;   in Loop: Header=BB14_12 Depth=1
	s_or_b64 exec, exec, s[4:5]
	s_mov_b64 s[74:75], 0
                                        ; implicit-def: $vgpr4_vgpr5
                                        ; implicit-def: $vgpr2
	s_and_saveexec_b64 s[4:5], s[76:77]
	s_cbranch_execz .LBB14_131
; %bb.122:                              ;   in Loop: Header=BB14_12 Depth=1
	v_cmp_gt_i32_e32 vcc, s8, v192
	s_and_b64 s[60:61], vcc, s[6:7]
	v_mov_b32_e32 v2, 50
	s_and_saveexec_b64 s[74:75], s[60:61]
	s_cbranch_execz .LBB14_124
; %bb.123:                              ;   in Loop: Header=BB14_12 Depth=1
	ds_read_b32 v4, v171 offset:128
	v_mad_u64_u32 v[2:3], s[60:61], v192, s9, v[74:75]
	v_mul_lo_u32 v6, v2, 48
	v_ashrrev_i32_e32 v5, 31, v6
	s_waitcnt lgkmcnt(0)
	v_cvt_f32_f16_e32 v2, v4
	v_cvt_f32_f16_sdwa v3, v4 dst_sel:DWORD dst_unused:UNUSED_PAD src0_sel:WORD_1
	v_or_b32_e32 v4, v6, v38
	v_lshl_add_u64 v[4:5], v[4:5], 3, v[90:91]
	v_pk_add_f32 v[2:3], v[2:3], 0 op_sel_hi:[1,0]
	global_store_dwordx2 v[4:5], v[2:3], off offset:256
	v_mov_b32_e32 v2, 0
.LBB14_124:                             ;   in Loop: Header=BB14_12 Depth=1
	s_or_b64 exec, exec, s[74:75]
	v_cmp_gt_i32_e32 vcc, 50, v2
	s_mov_b64 s[78:79], -1
	s_and_saveexec_b64 s[74:75], vcc
; %bb.125:                              ;   in Loop: Header=BB14_12 Depth=1
	v_cmp_eq_u32_e32 vcc, 0, v2
	s_orn2_b64 s[78:79], vcc, exec
; %bb.126:                              ;   in Loop: Header=BB14_12 Depth=1
	s_or_b64 exec, exec, s[74:75]
	s_mov_b64 s[76:77], 0
                                        ; implicit-def: $vgpr4_vgpr5
                                        ; implicit-def: $vgpr2
	s_and_saveexec_b64 s[74:75], s[78:79]
	s_cbranch_execz .LBB14_130
; %bb.127:                              ;   in Loop: Header=BB14_12 Depth=1
	v_cmp_gt_i32_e32 vcc, s8, v191
	s_and_b64 s[60:61], vcc, s[6:7]
	s_mov_b64 s[6:7], 0
                                        ; implicit-def: $vgpr4_vgpr5
                                        ; implicit-def: $vgpr2
	s_and_saveexec_b64 s[76:77], s[60:61]
	s_xor_b64 s[76:77], exec, s[76:77]
	s_cbranch_execz .LBB14_129
; %bb.128:                              ;   in Loop: Header=BB14_12 Depth=1
	ds_read_b32 v2, v172 offset:128
	s_mov_b64 s[6:7], exec
	s_waitcnt lgkmcnt(0)
	v_cvt_f32_f16_e32 v4, v2
	v_cvt_f32_f16_sdwa v5, v2 dst_sel:DWORD dst_unused:UNUSED_PAD src0_sel:WORD_1
	v_mad_u64_u32 v[2:3], s[60:61], v191, s9, v[74:75]
	v_pk_add_f32 v[4:5], v[4:5], 0 op_sel_hi:[1,0]
.LBB14_129:                             ;   in Loop: Header=BB14_12 Depth=1
	s_or_b64 exec, exec, s[76:77]
	s_and_b64 s[76:77], s[6:7], exec
.LBB14_130:                             ;   in Loop: Header=BB14_12 Depth=1
	s_or_b64 exec, exec, s[74:75]
	s_and_b64 s[74:75], s[76:77], exec
.LBB14_131:                             ;   in Loop: Header=BB14_12 Depth=1
	s_or_b64 exec, exec, s[4:5]
	s_and_b64 s[6:7], s[74:75], exec
.LBB14_132:                             ;   in Loop: Header=BB14_12 Depth=1
	s_or_b64 exec, exec, s[72:73]
	s_and_b64 vcc, exec, s[70:71]
	s_cbranch_vccz .LBB14_249
.LBB14_133:                             ;   in Loop: Header=BB14_12 Depth=1
	v_cmp_gt_i32_e64 s[4:5], s8, v81
	v_cmp_gt_i32_e32 vcc, s33, v190
	s_and_b64 s[90:91], s[4:5], vcc
	s_xor_b64 s[4:5], s[90:91], -1
	s_and_saveexec_b64 s[70:71], s[4:5]
	s_xor_b64 s[4:5], exec, s[70:71]
; %bb.134:                              ;   in Loop: Header=BB14_12 Depth=1
	v_add_u32_e32 v2, v153, v181
	ds_write_b32 v2, v45
; %bb.135:                              ;   in Loop: Header=BB14_12 Depth=1
	s_andn2_saveexec_b64 s[4:5], s[4:5]
	s_cbranch_execz .LBB14_137
; %bb.136:                              ;   in Loop: Header=BB14_12 Depth=1
	v_mad_u64_u32 v[2:3], s[70:71], v81, s27, v[80:81]
	v_ashrrev_i32_e32 v3, 31, v2
	v_lshl_add_u64 v[2:3], v[2:3], 3, v[110:111]
	global_load_dwordx2 v[2:3], v[2:3], off
	s_waitcnt vmcnt(0)
	v_cvt_pk_f16_f32 v2, v2, v3
	v_pk_mul_f16 v2, v2, v174
	v_add_u32_e32 v3, v153, v181
	ds_write_b32 v3, v2
.LBB14_137:                             ;   in Loop: Header=BB14_12 Depth=1
	s_or_b64 exec, exec, s[4:5]
	v_add_u32_e32 v192, v126, v193
	v_cmp_gt_i32_e64 s[4:5], s8, v192
	s_and_b64 s[88:89], s[4:5], vcc
	s_xor_b64 s[4:5], s[88:89], -1
	s_and_saveexec_b64 s[70:71], s[4:5]
	s_xor_b64 s[4:5], exec, s[70:71]
; %bb.138:                              ;   in Loop: Header=BB14_12 Depth=1
	v_add_u32_e32 v2, v153, v181
	ds_write_b32 v2, v45 offset:1664
; %bb.139:                              ;   in Loop: Header=BB14_12 Depth=1
	s_andn2_saveexec_b64 s[4:5], s[4:5]
	s_cbranch_execz .LBB14_141
; %bb.140:                              ;   in Loop: Header=BB14_12 Depth=1
	v_mad_u64_u32 v[2:3], s[70:71], v192, s27, v[80:81]
	v_ashrrev_i32_e32 v3, 31, v2
	v_lshl_add_u64 v[2:3], v[2:3], 3, v[110:111]
	global_load_dwordx2 v[2:3], v[2:3], off
	s_waitcnt vmcnt(0)
	v_cvt_pk_f16_f32 v2, v2, v3
	v_pk_mul_f16 v2, v2, v174
	v_add_u32_e32 v3, v153, v181
	ds_write_b32 v3, v2 offset:1664
.LBB14_141:                             ;   in Loop: Header=BB14_12 Depth=1
	s_or_b64 exec, exec, s[4:5]
	v_add_u32_e32 v191, v127, v193
	v_cmp_gt_i32_e64 s[4:5], s8, v191
	s_and_b64 s[86:87], s[4:5], vcc
	s_xor_b64 s[4:5], s[86:87], -1
	s_and_saveexec_b64 s[70:71], s[4:5]
	s_xor_b64 s[4:5], exec, s[70:71]
; %bb.142:                              ;   in Loop: Header=BB14_12 Depth=1
	v_add_u32_e32 v2, v153, v181
	ds_write_b32 v2, v45 offset:3328
; %bb.143:                              ;   in Loop: Header=BB14_12 Depth=1
	s_andn2_saveexec_b64 s[4:5], s[4:5]
	s_cbranch_execz .LBB14_145
; %bb.144:                              ;   in Loop: Header=BB14_12 Depth=1
	v_mad_u64_u32 v[2:3], s[70:71], v191, s27, v[80:81]
	v_ashrrev_i32_e32 v3, 31, v2
	v_lshl_add_u64 v[2:3], v[2:3], 3, v[110:111]
	global_load_dwordx2 v[2:3], v[2:3], off
	s_waitcnt vmcnt(0)
	v_cvt_pk_f16_f32 v2, v2, v3
	v_pk_mul_f16 v2, v2, v174
	v_add_u32_e32 v3, v153, v181
	ds_write_b32 v3, v2 offset:3328
.LBB14_145:                             ;   in Loop: Header=BB14_12 Depth=1
	;; [unrolled: 24-line block ×7, first 2 shown]
	s_or_b64 exec, exec, s[4:5]
	v_add_u32_e32 v115, v182, v193
	v_or_b32_e32 v2, v74, v194
	v_cmp_gt_i32_e64 s[4:5], s8, v115
	v_cmp_gt_i32_e32 vcc, s33, v2
	s_and_b64 s[74:75], s[4:5], vcc
	s_xor_b64 s[4:5], s[74:75], -1
	s_and_saveexec_b64 s[70:71], s[4:5]
	s_xor_b64 s[4:5], exec, s[70:71]
; %bb.166:                              ;   in Loop: Header=BB14_12 Depth=1
	ds_write_b32 v149, v45 offset:128
; %bb.167:                              ;   in Loop: Header=BB14_12 Depth=1
	s_andn2_saveexec_b64 s[4:5], s[4:5]
	s_cbranch_execz .LBB14_169
; %bb.168:                              ;   in Loop: Header=BB14_12 Depth=1
	v_mad_u64_u32 v[2:3], s[70:71], v115, s27, v[76:77]
	v_ashrrev_i32_e32 v3, 31, v2
	v_lshl_add_u64 v[2:3], v[2:3], 3, v[110:111]
	global_load_dwordx2 v[2:3], v[2:3], off
	s_waitcnt vmcnt(0)
	v_cvt_pk_f16_f32 v2, v2, v3
	v_pk_mul_f16 v2, v2, v174
	v_add_u32_e32 v3, v147, v183
	ds_write_b32 v3, v2 offset:128
.LBB14_169:                             ;   in Loop: Header=BB14_12 Depth=1
	s_or_b64 exec, exec, s[4:5]
	v_add_u32_e32 v114, v137, v193
	v_cmp_gt_i32_e64 s[4:5], s8, v114
	s_and_b64 s[72:73], s[4:5], vcc
	s_xor_b64 s[4:5], s[72:73], -1
	s_and_saveexec_b64 s[70:71], s[4:5]
	s_xor_b64 s[4:5], exec, s[70:71]
; %bb.170:                              ;   in Loop: Header=BB14_12 Depth=1
	ds_write_b32 v184, v45 offset:128
; %bb.171:                              ;   in Loop: Header=BB14_12 Depth=1
	s_andn2_saveexec_b64 s[4:5], s[4:5]
	s_cbranch_execz .LBB14_173
; %bb.172:                              ;   in Loop: Header=BB14_12 Depth=1
	v_mad_u64_u32 v[2:3], s[70:71], v114, s27, v[76:77]
	v_ashrrev_i32_e32 v3, 31, v2
	v_lshl_add_u64 v[2:3], v[2:3], 3, v[110:111]
	global_load_dwordx2 v[2:3], v[2:3], off
	s_waitcnt vmcnt(0)
	v_cvt_pk_f16_f32 v2, v2, v3
	v_pk_mul_f16 v2, v2, v174
	v_add_u32_e32 v3, v147, v183
	ds_write_b32 v3, v2 offset:3456
.LBB14_173:                             ;   in Loop: Header=BB14_12 Depth=1
	s_or_b64 exec, exec, s[4:5]
	v_add_u32_e32 v113, v138, v193
	v_cmp_gt_i32_e64 s[4:5], s8, v113
	;; [unrolled: 23-line block ×3, first 2 shown]
	s_and_b64 s[4:5], s[4:5], vcc
	s_xor_b64 s[60:61], s[4:5], -1
	s_and_saveexec_b64 s[92:93], s[60:61]
	s_xor_b64 s[92:93], exec, s[92:93]
; %bb.178:                              ;   in Loop: Header=BB14_12 Depth=1
	ds_write_b32 v186, v45 offset:128
                                        ; implicit-def: $vgpr110_vgpr111
; %bb.179:                              ;   in Loop: Header=BB14_12 Depth=1
	s_andn2_saveexec_b64 s[92:93], s[92:93]
	s_cbranch_execz .LBB14_181
; %bb.180:                              ;   in Loop: Header=BB14_12 Depth=1
	v_mad_u64_u32 v[2:3], s[60:61], v112, s27, v[76:77]
	v_ashrrev_i32_e32 v3, 31, v2
	v_lshl_add_u64 v[2:3], v[2:3], 3, v[110:111]
	global_load_dwordx2 v[2:3], v[2:3], off
	s_waitcnt vmcnt(0)
	v_cvt_pk_f16_f32 v2, v2, v3
	v_pk_mul_f16 v2, v2, v174
	v_add_u32_e32 v3, v147, v183
	ds_write_b32 v3, v2 offset:10112
.LBB14_181:                             ;   in Loop: Header=BB14_12 Depth=1
	s_or_b64 exec, exec, s[92:93]
	s_waitcnt lgkmcnt(0)
	s_barrier
	ds_read2_b64 v[10:13], v43 offset1:4
	ds_read2_b64 v[6:9], v43 offset0:8 offset1:12
	ds_read2_b64 v[2:5], v43 offset0:16 offset1:20
	s_cmp_gt_i32 s35, 1
	s_mov_b64 s[92:93], -1
	s_waitcnt lgkmcnt(0)
	s_barrier
                                        ; implicit-def: $vgpr110
                                        ; implicit-def: $vgpr111
                                        ; implicit-def: $vgpr194
                                        ; implicit-def: $vgpr195
	s_cbranch_scc1 .LBB14_183
; %bb.182:                              ;   in Loop: Header=BB14_12 Depth=1
	v_mbcnt_hi_u32_b32 v110, -1, v187
	v_and_b32_e32 v14, 64, v110
	v_add_u32_e32 v111, 64, v14
	v_xor_b32_e32 v194, 32, v110
	v_xor_b32_e32 v195, 16, v110
	s_mov_b64 s[92:93], 0
.LBB14_183:                             ;   in Loop: Header=BB14_12 Depth=1
	v_add_u32_e32 v14, v193, v41
	v_mul_hi_u32 v15, s16, v14
	v_add_u32_e32 v15, v14, v15
	v_lshrrev_b32_e32 v15, s17, v15
	v_mul_lo_u32 v15, v15, s8
	s_andn2_b64 vcc, exec, s[92:93]
	v_sub_u32_e32 v44, v14, v15
	s_cbranch_vccnz .LBB14_187
; %bb.184:                              ;   in Loop: Header=BB14_12 Depth=1
	v_mbcnt_hi_u32_b32 v110, -1, v187
	v_and_b32_e32 v14, 64, v110
	v_add_u32_e32 v111, 64, v14
	v_xor_b32_e32 v194, 32, v110
	v_cmp_lt_i32_e32 vcc, v194, v111
	v_xor_b32_e32 v195, 16, v110
	v_readlane_b32 s60, v230, 12
	v_cndmask_b32_e32 v14, v110, v194, vcc
	v_cmp_lt_i32_e32 vcc, v195, v111
	v_lshlrev_b32_e32 v193, 2, v14
	v_readlane_b32 s61, v230, 13
	v_cndmask_b32_e32 v14, v110, v195, vcc
	v_lshlrev_b32_e32 v196, 2, v14
	v_mad_i64_i32 v[14:15], s[60:61], s60, v44, v[104:105]
	v_lshl_add_u64 v[22:23], v[64:65], 0, v[14:15]
	v_lshl_add_u64 v[14:15], v[106:107], 0, v[108:109]
	s_add_i32 s35, s35, -1
	v_lshl_add_u64 v[24:25], v[66:67], 0, v[14:15]
	v_lshl_add_u64 v[26:27], v[82:83], 0, v[14:15]
	;; [unrolled: 1-line block ×7, first 2 shown]
	v_mov_b32_e32 v36, 0
	v_mov_b32_e32 v102, 0xfeffffff
	;; [unrolled: 1-line block ×3, first 2 shown]
	s_mov_b32 s92, s35
	v_mov_b32_e32 v37, 0
	v_mov_b32_e32 v107, 0
	;; [unrolled: 1-line block ×11, first 2 shown]
.LBB14_185:                             ;   Parent Loop BB14_12 Depth=1
                                        ; =>  This Inner Loop Header: Depth=2
	global_load_dword v14, v[22:23], off
	s_nop 1
	v_lshl_add_u64 v[18:19], v[32:33], 0, v[70:71]
	v_lshl_add_u64 v[20:21], v[34:35], 0, v[70:71]
	v_mov_b32_e32 v209, v102
	v_add_u32_e32 v102, 0x800, v176
	v_mov_b32_e32 v208, v103
	s_add_i32 s92, s92, -1
	v_lshl_add_u64 v[22:23], v[22:23], 0, s[64:65]
	v_lshl_add_u64 v[32:33], v[32:33], 0, s[68:69]
	;; [unrolled: 1-line block ×3, first 2 shown]
	s_cmp_lg_u32 s92, 0
	s_waitcnt vmcnt(0)
	ds_write_b32 v69, v14 offset:13312
	global_load_dwordx4 v[14:17], v[30:31], off
	v_lshl_add_u64 v[30:31], v[30:31], 0, s[68:69]
	s_waitcnt vmcnt(0)
	ds_write_b128 v75, v[14:17]
	global_load_dwordx4 v[14:17], v[18:19], off
	s_waitcnt vmcnt(0)
	ds_write_b128 v77, v[14:17]
	global_load_dwordx4 v[14:17], v[20:21], off
	s_waitcnt vmcnt(0)
	ds_write_b128 v175, v[14:17]
	s_waitcnt lgkmcnt(0)
	s_barrier
	ds_read2_b64 v[14:17], v176 offset1:4
	s_waitcnt lgkmcnt(0)
	v_mfma_f32_16x16x16_f16 v[18:21], v[14:15], v[10:11], 0
	v_mfma_f32_16x16x16_f16 v[14:17], v[16:17], v[12:13], v[18:21]
	s_nop 6
	ds_read2_b64 v[18:21], v176 offset0:8 offset1:12
	s_waitcnt lgkmcnt(0)
	v_mfma_f32_16x16x16_f16 v[14:17], v[18:19], v[6:7], v[14:17]
	v_mfma_f32_16x16x16_f16 v[14:17], v[20:21], v[8:9], v[14:17]
	ds_read2_b64 v[18:21], v176 offset0:16 offset1:20
	s_waitcnt lgkmcnt(0)
	v_mfma_f32_16x16x16_f16 v[14:17], v[18:19], v[2:3], v[14:17]
	v_mfma_f32_16x16x16_f16 v[200:203], v[20:21], v[4:5], v[14:17]
	s_nop 6
	ds_read2_b64 v[14:17], v102 offset0:160 offset1:164
	s_waitcnt lgkmcnt(0)
	v_mfma_f32_16x16x16_f16 v[18:21], v[14:15], v[10:11], 0
	v_mfma_f32_16x16x16_f16 v[14:17], v[16:17], v[12:13], v[18:21]
	s_nop 6
	ds_read2_b64 v[18:21], v102 offset0:168 offset1:172
	s_waitcnt lgkmcnt(0)
	v_mfma_f32_16x16x16_f16 v[14:17], v[18:19], v[6:7], v[14:17]
	v_mfma_f32_16x16x16_f16 v[14:17], v[20:21], v[8:9], v[14:17]
	ds_read2_b64 v[18:21], v102 offset0:176 offset1:180
	v_add_u32_e32 v102, 0x1800, v176
	s_waitcnt lgkmcnt(0)
	v_mfma_f32_16x16x16_f16 v[14:17], v[18:19], v[2:3], v[14:17]
	v_mfma_f32_16x16x16_f16 v[14:17], v[20:21], v[4:5], v[14:17]
	ds_read2_b64 v[18:21], v102 offset0:64 offset1:68
	s_waitcnt lgkmcnt(0)
	v_mfma_f32_16x16x16_f16 v[204:207], v[18:19], v[10:11], 0
	v_mfma_f32_16x16x16_f16 v[18:21], v[20:21], v[12:13], v[204:207]
	s_nop 6
	ds_read2_b64 v[204:207], v102 offset0:72 offset1:76
	s_waitcnt lgkmcnt(0)
	v_mfma_f32_16x16x16_f16 v[18:21], v[204:205], v[6:7], v[18:21]
	v_mfma_f32_16x16x16_f16 v[18:21], v[206:207], v[8:9], v[18:21]
	ds_read2_b64 v[204:207], v102 offset0:80 offset1:84
	v_add_u32_e32 v102, 0x2000, v176
	s_waitcnt lgkmcnt(0)
	v_mfma_f32_16x16x16_f16 v[18:21], v[204:205], v[2:3], v[18:21]
	v_mfma_f32_16x16x16_f16 v[18:21], v[206:207], v[4:5], v[18:21]
	ds_read2_b64 v[204:207], v102 offset0:224 offset1:228
	s_waitcnt lgkmcnt(0)
	v_mfma_f32_16x16x16_f16 v[210:213], v[204:205], v[10:11], 0
	v_mfma_f32_16x16x16_f16 v[204:207], v[206:207], v[12:13], v[210:213]
	s_nop 6
	ds_read2_b64 v[210:213], v102 offset0:232 offset1:236
	s_waitcnt lgkmcnt(0)
	v_mfma_f32_16x16x16_f16 v[204:207], v[210:211], v[6:7], v[204:207]
	v_mfma_f32_16x16x16_f16 v[204:207], v[212:213], v[8:9], v[204:207]
	ds_read2_b64 v[210:213], v102 offset0:240 offset1:244
	s_waitcnt lgkmcnt(0)
	s_barrier
	ds_read_b32 v102, v120 offset:13312
	v_mfma_f32_16x16x16_f16 v[204:207], v[210:211], v[2:3], v[204:207]
	s_waitcnt lgkmcnt(0)
	v_cvt_f32_f16_e32 v103, v102
	v_cvt_f32_f16_sdwa v102, v102 dst_sel:DWORD dst_unused:UNUSED_PAD src0_sel:WORD_1
	v_add_f32_e32 v199, v200, v103
	v_add_f32_e32 v200, v201, v102
	ds_read_b32 v102, v121 offset:13312
	v_mfma_f32_16x16x16_f16 v[204:207], v[212:213], v[4:5], v[204:207]
	s_waitcnt lgkmcnt(0)
	v_cvt_f32_f16_e32 v103, v102
	v_cvt_f32_f16_sdwa v102, v102 dst_sel:DWORD dst_unused:UNUSED_PAD src0_sel:WORD_1
	v_add_f32_e32 v201, v202, v103
	v_add_f32_e32 v202, v203, v102
	v_add_u32_e32 v102, 0x3400, v177
	ds_read2_b32 v[102:103], v102 offset1:1
	s_waitcnt lgkmcnt(0)
	v_cvt_f32_f16_e32 v203, v102
	v_cvt_f32_f16_sdwa v102, v102 dst_sel:DWORD dst_unused:UNUSED_PAD src0_sel:WORD_1
	v_add_f32_e32 v203, v14, v203
	v_cvt_f32_f16_e32 v14, v103
	v_add_f32_e32 v210, v15, v102
	v_cvt_f32_f16_sdwa v15, v103 dst_sel:DWORD dst_unused:UNUSED_PAD src0_sel:WORD_1
	v_add_f32_e32 v103, v16, v14
	v_add_u32_e32 v14, 0x3400, v178
	v_add_f32_e32 v211, v17, v15
	ds_read2_b32 v[14:15], v14 offset1:1
	s_waitcnt lgkmcnt(0)
	v_cvt_f32_f16_e32 v16, v14
	v_cvt_f32_f16_sdwa v14, v14 dst_sel:DWORD dst_unused:UNUSED_PAD src0_sel:WORD_1
	v_add_f32_e32 v212, v18, v16
	v_add_f32_e32 v19, v19, v14
	v_cvt_f32_f16_e32 v14, v15
	v_cvt_f32_f16_sdwa v15, v15 dst_sel:DWORD dst_unused:UNUSED_PAD src0_sel:WORD_1
	v_add_f32_e32 v213, v20, v14
	v_add_u32_e32 v14, 0x3400, v179
	v_add_f32_e32 v214, v21, v15
	ds_read2_b32 v[14:15], v14 offset1:1
	s_waitcnt lgkmcnt(0)
	v_cvt_f32_f16_e32 v16, v14
	v_cvt_f32_f16_sdwa v14, v14 dst_sel:DWORD dst_unused:UNUSED_PAD src0_sel:WORD_1
	v_add_f32_e32 v215, v204, v16
	v_add_f32_e32 v205, v205, v14
	v_cvt_f32_f16_e32 v14, v15
	v_cvt_f32_f16_sdwa v15, v15 dst_sel:DWORD dst_unused:UNUSED_PAD src0_sel:WORD_1
	v_add_f32_e32 v16, 0x40051340, v202
	v_add_f32_e32 v206, v206, v14
	;; [unrolled: 1-line block ×5, first 2 shown]
	v_max3_f32 v14, v209, v14, v15
	v_add_f32_e32 v15, 0x40051340, v201
	v_max3_f32 v14, v14, v15, v16
	v_add_f32_e32 v15, 0x40051340, v203
	v_add_f32_e32 v16, 0x40051340, v210
	v_max3_f32 v14, v14, v15, v16
	v_add_f32_e32 v15, 0x40051340, v103
	v_add_f32_e32 v16, 0x40051340, v211
	v_max3_f32 v14, v14, v15, v16
	v_add_f32_e32 v15, 0x40051340, v212
	v_add_f32_e32 v16, 0x40051340, v19
	v_max3_f32 v14, v14, v15, v16
	v_add_f32_e32 v15, 0x40051340, v213
	v_add_f32_e32 v16, 0x40051340, v214
	v_max3_f32 v14, v14, v15, v16
	v_add_f32_e32 v15, 0x40051340, v215
	v_add_f32_e32 v16, 0x40051340, v205
	v_max3_f32 v14, v14, v15, v16
	v_add_f32_e32 v15, 0x40051340, v206
	v_add_f32_e32 v16, 0x40051340, v207
	v_max3_f32 v14, v14, v15, v16
	ds_bpermute_b32 v15, v193, v14
	s_waitcnt lgkmcnt(0)
	v_max_f32_e32 v15, v15, v15
	v_max_f32_e32 v14, v14, v15
	ds_bpermute_b32 v15, v196, v14
	s_waitcnt lgkmcnt(0)
	v_max_f32_e32 v15, v15, v15
	v_max_f32_e32 v102, v14, v15
	v_sub_f32_e32 v14, v199, v102
	v_mul_f32_e32 v15, 0x3fb8aa3b, v14
	v_fma_f32 v16, v14, s11, -v15
	v_rndne_f32_e32 v17, v15
	v_fmac_f32_e32 v16, 0x32a5705f, v14
	v_sub_f32_e32 v15, v15, v17
	v_add_f32_e32 v15, v15, v16
	v_exp_f32_e32 v15, v15
	v_cvt_i32_f32_e32 v16, v17
	v_cmp_ngt_f32_e32 vcc, s3, v14
	v_sub_f32_e32 v19, v19, v102
	v_ldexp_f32 v15, v15, v16
	v_cndmask_b32_e32 v15, 0, v15, vcc
	v_cmp_nlt_f32_e32 vcc, s2, v14
	s_nop 1
	v_cndmask_b32_e32 v14, v189, v15, vcc
	v_sub_f32_e32 v15, v200, v102
	v_mul_f32_e32 v16, 0x3fb8aa3b, v15
	v_fma_f32 v17, v15, s11, -v16
	v_rndne_f32_e32 v18, v16
	v_fmac_f32_e32 v17, 0x32a5705f, v15
	v_sub_f32_e32 v16, v16, v18
	v_add_f32_e32 v16, v16, v17
	v_exp_f32_e32 v16, v16
	v_cvt_i32_f32_e32 v17, v18
	v_cmp_ngt_f32_e32 vcc, s3, v15
	v_ldexp_f32 v16, v16, v17
	s_nop 0
	v_cndmask_b32_e32 v16, 0, v16, vcc
	v_cmp_nlt_f32_e32 vcc, s2, v15
	s_nop 1
	v_cndmask_b32_e32 v15, v189, v16, vcc
	v_sub_f32_e32 v16, v201, v102
	v_mul_f32_e32 v18, 0x3fb8aa3b, v16
	v_fma_f32 v20, v16, s11, -v18
	v_rndne_f32_e32 v21, v18
	v_fmac_f32_e32 v20, 0x32a5705f, v16
	v_sub_f32_e32 v18, v18, v21
	v_add_f32_e32 v18, v18, v20
	v_exp_f32_e32 v18, v18
	v_cvt_i32_f32_e32 v20, v21
	v_cmp_ngt_f32_e32 vcc, s3, v16
	v_add_f32_e32 v17, v14, v15
	v_ldexp_f32 v18, v18, v20
	v_cndmask_b32_e32 v18, 0, v18, vcc
	v_cmp_nlt_f32_e32 vcc, s2, v16
	s_nop 1
	v_cndmask_b32_e32 v16, v189, v18, vcc
	v_sub_f32_e32 v18, v202, v102
	v_mul_f32_e32 v20, 0x3fb8aa3b, v18
	v_fma_f32 v21, v18, s11, -v20
	v_rndne_f32_e32 v199, v20
	v_fmac_f32_e32 v21, 0x32a5705f, v18
	v_sub_f32_e32 v20, v20, v199
	v_add_f32_e32 v20, v20, v21
	v_exp_f32_e32 v20, v20
	v_cvt_i32_f32_e32 v21, v199
	v_cmp_ngt_f32_e32 vcc, s3, v18
	v_add_f32_e32 v17, v16, v17
	v_ldexp_f32 v20, v20, v21
	v_cndmask_b32_e32 v20, 0, v20, vcc
	v_cmp_nlt_f32_e32 vcc, s2, v18
	s_nop 1
	v_cndmask_b32_e32 v18, v189, v20, vcc
	v_add_f32_e32 v20, v18, v17
	v_sub_f32_e32 v17, v203, v102
	v_mul_f32_e32 v21, 0x3fb8aa3b, v17
	v_fma_f32 v199, v17, s11, -v21
	v_rndne_f32_e32 v200, v21
	v_fmac_f32_e32 v199, 0x32a5705f, v17
	v_sub_f32_e32 v21, v21, v200
	v_add_f32_e32 v21, v21, v199
	v_exp_f32_e32 v21, v21
	v_cvt_i32_f32_e32 v199, v200
	v_cmp_ngt_f32_e32 vcc, s3, v17
	v_ldexp_f32 v21, v21, v199
	s_nop 0
	v_cndmask_b32_e32 v21, 0, v21, vcc
	v_cmp_nlt_f32_e32 vcc, s2, v17
	s_nop 1
	v_cndmask_b32_e32 v17, v189, v21, vcc
	v_add_f32_e32 v21, v17, v20
	v_sub_f32_e32 v20, v210, v102
	v_mul_f32_e32 v199, 0x3fb8aa3b, v20
	v_fma_f32 v200, v20, s11, -v199
	v_rndne_f32_e32 v201, v199
	v_fmac_f32_e32 v200, 0x32a5705f, v20
	v_sub_f32_e32 v199, v199, v201
	v_add_f32_e32 v199, v199, v200
	v_exp_f32_e32 v199, v199
	v_cvt_i32_f32_e32 v200, v201
	v_cmp_ngt_f32_e32 vcc, s3, v20
	v_ldexp_f32 v199, v199, v200
	s_nop 0
	v_cndmask_b32_e32 v199, 0, v199, vcc
	v_cmp_nlt_f32_e32 vcc, s2, v20
	s_nop 1
	v_cndmask_b32_e32 v20, v189, v199, vcc
	v_add_f32_e32 v199, v20, v21
	v_sub_f32_e32 v21, v103, v102
	v_mul_f32_e32 v103, 0x3fb8aa3b, v21
	v_fma_f32 v200, v21, s11, -v103
	v_rndne_f32_e32 v201, v103
	v_fmac_f32_e32 v200, 0x32a5705f, v21
	v_sub_f32_e32 v103, v103, v201
	v_add_f32_e32 v103, v103, v200
	v_exp_f32_e32 v103, v103
	v_cvt_i32_f32_e32 v200, v201
	v_cmp_ngt_f32_e32 vcc, s3, v21
	v_cvt_pk_f16_f32 v20, v17, v20
	v_ldexp_f32 v103, v103, v200
	v_cndmask_b32_e32 v103, 0, v103, vcc
	v_cmp_nlt_f32_e32 vcc, s2, v21
	s_nop 1
	v_cndmask_b32_e32 v21, v189, v103, vcc
	v_add_f32_e32 v103, v21, v199
	v_sub_f32_e32 v199, v211, v102
	v_mul_f32_e32 v200, 0x3fb8aa3b, v199
	v_fma_f32 v201, v199, s11, -v200
	v_rndne_f32_e32 v202, v200
	v_fmac_f32_e32 v201, 0x32a5705f, v199
	v_sub_f32_e32 v200, v200, v202
	v_add_f32_e32 v200, v200, v201
	v_exp_f32_e32 v200, v200
	v_cvt_i32_f32_e32 v201, v202
	v_cmp_ngt_f32_e32 vcc, s3, v199
	v_ldexp_f32 v200, v200, v201
	s_nop 0
	v_cndmask_b32_e32 v200, 0, v200, vcc
	v_cmp_nlt_f32_e32 vcc, s2, v199
	v_sub_f32_e32 v199, v212, v102
	v_mul_f32_e32 v201, 0x3fb8aa3b, v199
	v_fma_f32 v202, v199, s11, -v201
	v_rndne_f32_e32 v203, v201
	v_fmac_f32_e32 v202, 0x32a5705f, v199
	v_sub_f32_e32 v201, v201, v203
	v_add_f32_e32 v201, v201, v202
	v_exp_f32_e32 v201, v201
	v_cvt_i32_f32_e32 v202, v203
	v_cndmask_b32_e32 v200, v189, v200, vcc
	v_cmp_ngt_f32_e32 vcc, s3, v199
	v_add_f32_e32 v103, v200, v103
	v_ldexp_f32 v201, v201, v202
	v_cndmask_b32_e32 v201, 0, v201, vcc
	v_cmp_nlt_f32_e32 vcc, s2, v199
	v_cvt_pk_f16_f32 v21, v21, v200
	s_nop 0
	v_cndmask_b32_e32 v199, v189, v201, vcc
	v_mul_f32_e32 v201, 0x3fb8aa3b, v19
	v_fma_f32 v202, v19, s11, -v201
	v_rndne_f32_e32 v203, v201
	v_fmac_f32_e32 v202, 0x32a5705f, v19
	v_sub_f32_e32 v201, v201, v203
	v_add_f32_e32 v201, v201, v202
	v_exp_f32_e32 v201, v201
	v_cvt_i32_f32_e32 v202, v203
	v_cmp_ngt_f32_e32 vcc, s3, v19
	v_add_f32_e32 v103, v199, v103
	v_ldexp_f32 v201, v201, v202
	v_cndmask_b32_e32 v201, 0, v201, vcc
	v_cmp_nlt_f32_e32 vcc, s2, v19
	s_nop 1
	v_cndmask_b32_e32 v201, v189, v201, vcc
	v_add_f32_e32 v19, v201, v103
	v_sub_f32_e32 v103, v213, v102
	v_mul_f32_e32 v202, 0x3fb8aa3b, v103
	v_fma_f32 v203, v103, s11, -v202
	v_rndne_f32_e32 v204, v202
	v_fmac_f32_e32 v203, 0x32a5705f, v103
	v_sub_f32_e32 v202, v202, v204
	v_add_f32_e32 v202, v202, v203
	v_exp_f32_e32 v202, v202
	v_cvt_i32_f32_e32 v203, v204
	v_cmp_ngt_f32_e32 vcc, s3, v103
	v_ldexp_f32 v202, v202, v203
	s_nop 0
	v_cndmask_b32_e32 v202, 0, v202, vcc
	v_cmp_nlt_f32_e32 vcc, s2, v103
	v_sub_f32_e32 v103, v214, v102
	v_mul_f32_e32 v203, 0x3fb8aa3b, v103
	v_fma_f32 v204, v103, s11, -v203
	v_rndne_f32_e32 v210, v203
	v_fmac_f32_e32 v204, 0x32a5705f, v103
	v_sub_f32_e32 v203, v203, v210
	v_add_f32_e32 v203, v203, v204
	v_exp_f32_e32 v203, v203
	v_cvt_i32_f32_e32 v204, v210
	v_cndmask_b32_e32 v202, v189, v202, vcc
	v_cmp_ngt_f32_e32 vcc, s3, v103
	v_add_f32_e32 v19, v202, v19
	v_ldexp_f32 v203, v203, v204
	v_cndmask_b32_e32 v203, 0, v203, vcc
	v_cmp_nlt_f32_e32 vcc, s2, v103
	v_sub_f32_e32 v103, v215, v102
	global_load_dwordx4 v[212:215], v[24:25], off
	v_cndmask_b32_e32 v204, v189, v203, vcc
	v_mul_f32_e32 v203, 0x3fb8aa3b, v103
	v_fma_f32 v210, v103, s11, -v203
	v_rndne_f32_e32 v211, v203
	v_fmac_f32_e32 v210, 0x32a5705f, v103
	v_sub_f32_e32 v203, v203, v211
	v_add_f32_e32 v203, v203, v210
	v_exp_f32_e32 v203, v203
	v_cvt_i32_f32_e32 v210, v211
	v_cmp_ngt_f32_e32 vcc, s3, v103
	v_add_f32_e32 v19, v204, v19
	v_lshl_add_u64 v[24:25], v[24:25], 0, s[66:67]
	v_ldexp_f32 v203, v203, v210
	v_cndmask_b32_e32 v203, 0, v203, vcc
	v_cmp_nlt_f32_e32 vcc, s2, v103
	v_sub_f32_e32 v103, v205, v102
	v_mul_f32_e32 v205, 0x3fb8aa3b, v103
	v_fma_f32 v210, v103, s11, -v205
	v_rndne_f32_e32 v211, v205
	v_fmac_f32_e32 v210, 0x32a5705f, v103
	v_sub_f32_e32 v205, v205, v211
	v_add_f32_e32 v205, v205, v210
	v_exp_f32_e32 v205, v205
	v_cvt_i32_f32_e32 v210, v211
	v_cndmask_b32_e32 v203, v189, v203, vcc
	v_cmp_ngt_f32_e32 vcc, s3, v103
	v_add_f32_e32 v19, v203, v19
	v_ldexp_f32 v205, v205, v210
	v_cndmask_b32_e32 v205, 0, v205, vcc
	v_cmp_nlt_f32_e32 vcc, s2, v103
	v_sub_f32_e32 v103, v206, v102
	v_mul_f32_e32 v206, 0x3fb8aa3b, v103
	v_fma_f32 v210, v103, s11, -v206
	v_rndne_f32_e32 v211, v206
	v_fmac_f32_e32 v210, 0x32a5705f, v103
	v_sub_f32_e32 v206, v206, v211
	v_add_f32_e32 v206, v206, v210
	v_exp_f32_e32 v206, v206
	v_cvt_i32_f32_e32 v210, v211
	v_cndmask_b32_e32 v205, v189, v205, vcc
	v_cmp_ngt_f32_e32 vcc, s3, v103
	v_add_f32_e32 v19, v205, v19
	;; [unrolled: 15-line block ×3, first 2 shown]
	v_ldexp_f32 v207, v207, v210
	v_cndmask_b32_e32 v207, 0, v207, vcc
	v_cmp_nlt_f32_e32 vcc, s2, v103
	s_waitcnt vmcnt(0)
	ds_write_b128 v75, v[212:215]
	v_cndmask_b32_e32 v207, v189, v207, vcc
	v_add_f32_e32 v103, v207, v19
	v_sub_f32_e32 v19, v209, v102
	v_mul_f32_e32 v209, 0x3fb8aa3b, v19
	v_fma_f32 v210, v19, s11, -v209
	v_rndne_f32_e32 v211, v209
	v_fmac_f32_e32 v210, 0x32a5705f, v19
	v_sub_f32_e32 v209, v209, v211
	v_add_f32_e32 v209, v209, v210
	v_exp_f32_e32 v209, v209
	v_cvt_i32_f32_e32 v210, v211
	v_cmp_ngt_f32_e32 vcc, s3, v19
	v_ldexp_f32 v209, v209, v210
	s_nop 0
	v_cndmask_b32_e32 v209, 0, v209, vcc
	v_cmp_nlt_f32_e32 vcc, s2, v19
	s_nop 1
	v_cndmask_b32_e32 v209, v189, v209, vcc
	v_cmp_le_f32_e32 vcc, s94, v19
	s_nop 1
	v_cndmask_b32_e32 v19, 0, v209, vcc
	v_fmac_f32_e32 v103, v208, v19
	v_cvt_f16_f32_e32 v19, v19
	v_mul_u32_u24_e32 v211, 0x10001, v19
	v_pk_mul_f16 v209, v109, v211
	v_pk_mul_f16 v208, v108, v211
	;; [unrolled: 1-line block ×4, first 2 shown]
	v_lshl_add_u64 v[36:37], v[26:27], 0, v[70:71]
	global_load_dwordx4 v[212:215], v[36:37], off
	v_lshl_add_u64 v[36:37], v[28:29], 0, v[70:71]
	v_pk_mul_f16 v19, v197, v211
	v_pk_mul_f16 v210, v198, v211
	v_pk_mul_f16 v198, v107, v211
	v_pk_mul_f16 v197, v106, v211
	v_pk_mul_f16 v107, v105, v211
	v_pk_mul_f16 v106, v104, v211
	v_pk_mul_f16 v105, v101, v211
	v_pk_mul_f16 v104, v100, v211
	v_lshl_add_u64 v[26:27], v[26:27], 0, s[66:67]
	v_lshl_add_u64 v[28:29], v[28:29], 0, s[66:67]
	s_waitcnt vmcnt(0)
	ds_write_b128 v77, v[212:215]
	global_load_dwordx4 v[212:215], v[36:37], off
	s_waitcnt vmcnt(0)
	ds_write_b128 v175, v[212:215]
	s_waitcnt lgkmcnt(0)
	s_barrier
	ds_read_u16 v36, v123 offset:208
	v_cvt_f32_f16_e32 v214, v19
	v_cvt_f32_f16_sdwa v215, v19 dst_sel:DWORD dst_unused:UNUSED_PAD src0_sel:WORD_1
	ds_read_u16 v19, v124
	ds_read_u16 v216, v124 offset:32
	ds_read_u16 v37, v125
	ds_read_u16 v217, v125 offset:32
	v_cvt_f32_f16_e32 v212, v210
	v_cvt_f32_f16_sdwa v213, v210 dst_sel:DWORD dst_unused:UNUSED_PAD src0_sel:WORD_1
	s_waitcnt lgkmcnt(1)
	v_perm_b32 v37, v37, v19, s34
	ds_read_u16 v19, v123
	ds_read_u16 v218, v123 offset:32
	s_waitcnt lgkmcnt(1)
	v_perm_b32 v36, v36, v19, s34
	v_cvt_pk_f16_f32 v19, v16, v18
	v_cvt_pk_f16_f32 v18, v14, v15
	s_nop 1
	v_mfma_f32_16x16x16_f16 v[210:213], v[36:37], v[18:19], v[212:215]
	ds_read_u16 v37, v123 offset:3328
	ds_read_u16 v100, v123 offset:3536
	;; [unrolled: 1-line block ×4, first 2 shown]
	v_cvt_f32_f16_sdwa v215, v106 dst_sel:DWORD dst_unused:UNUSED_PAD src0_sel:WORD_1
	s_nop 2
	v_cvt_f16_f32_e32 v14, v210
	v_cvt_f16_f32_e32 v15, v211
	;; [unrolled: 1-line block ×4, first 2 shown]
	v_cvt_f32_f16_e32 v210, v14
	v_cvt_f32_f16_e32 v211, v15
	s_waitcnt lgkmcnt(0)
	v_perm_b32 v15, v214, v101, s34
	v_perm_b32 v14, v100, v37, s34
	v_cvt_f32_f16_e32 v212, v16
	v_cvt_f32_f16_e32 v213, v36
	ds_read_u16 v36, v123 offset:6656
	ds_read_u16 v37, v123 offset:6864
	;; [unrolled: 1-line block ×4, first 2 shown]
	v_mfma_f32_16x16x16_f16 v[14:17], v[14:15], v[20:21], v[210:213]
	s_waitcnt lgkmcnt(0)
	v_perm_b32 v101, v101, v100, s34
	v_perm_b32 v100, v37, v36, s34
	s_nop 4
	v_cvt_f16_f32_e32 v14, v14
	v_cvt_f16_f32_e32 v15, v15
	v_cvt_f16_f32_e32 v16, v16
	v_cvt_f16_f32_e32 v17, v17
	v_cvt_f32_f16_e32 v14, v14
	v_cvt_f32_f16_e32 v15, v15
	;; [unrolled: 1-line block ×4, first 2 shown]
	v_cvt_pk_f16_f32 v37, v202, v204
	v_cvt_pk_f16_f32 v36, v199, v201
	v_cvt_f32_f16_e32 v202, v208
	s_nop 0
	v_mfma_f32_16x16x16_f16 v[14:17], v[100:101], v[36:37], v[14:17]
	ds_read_u16 v100, v123 offset:9984
	ds_read_u16 v101, v123 offset:10192
	;; [unrolled: 1-line block ×4, first 2 shown]
	s_waitcnt lgkmcnt(0)
	v_perm_b32 v201, v200, v199, s34
	s_nop 1
	v_cvt_f16_f32_e32 v14, v14
	v_cvt_f16_f32_e32 v15, v15
	;; [unrolled: 1-line block ×4, first 2 shown]
	ds_read_u16 v199, v123 offset:240
	v_perm_b32 v200, v101, v100, s34
	v_cvt_f32_f16_e32 v14, v14
	v_cvt_f32_f16_e32 v15, v15
	;; [unrolled: 1-line block ×4, first 2 shown]
	v_cvt_pk_f16_f32 v101, v206, v207
	v_cvt_pk_f16_f32 v100, v203, v205
	v_perm_b32 v205, v217, v216, s34
	s_waitcnt lgkmcnt(0)
	v_perm_b32 v204, v199, v218, s34
	v_mfma_f32_16x16x16_f16 v[14:17], v[200:201], v[100:101], v[14:17]
	v_cvt_f32_f16_e32 v200, v209
	v_cvt_f32_f16_sdwa v201, v209 dst_sel:DWORD dst_unused:UNUSED_PAD src0_sel:WORD_1
	v_cvt_f32_f16_sdwa v203, v208 dst_sel:DWORD dst_unused:UNUSED_PAD src0_sel:WORD_1
	s_nop 1
	v_mfma_f32_16x16x16_f16 v[200:203], v[204:205], v[18:19], v[200:203]
	ds_read_u16 v204, v123 offset:3360
	ds_read_u16 v206, v123 offset:3568
	;; [unrolled: 1-line block ×4, first 2 shown]
	s_nop 3
	v_cvt_f16_f32_e32 v199, v200
	v_cvt_f16_f32_e32 v201, v201
	;; [unrolled: 1-line block ×4, first 2 shown]
	s_waitcnt lgkmcnt(0)
	v_perm_b32 v205, v207, v205, s34
	v_perm_b32 v204, v206, v204, s34
	v_cvt_f32_f16_e32 v200, v199
	v_cvt_f32_f16_e32 v201, v201
	;; [unrolled: 1-line block ×4, first 2 shown]
	s_nop 1
	v_mfma_f32_16x16x16_f16 v[200:203], v[204:205], v[20:21], v[200:203]
	ds_read_u16 v204, v123 offset:6688
	ds_read_u16 v206, v123 offset:6896
	;; [unrolled: 1-line block ×4, first 2 shown]
	s_nop 3
	v_cvt_f16_f32_e32 v199, v200
	v_cvt_f16_f32_e32 v201, v201
	;; [unrolled: 1-line block ×4, first 2 shown]
	s_waitcnt lgkmcnt(0)
	v_perm_b32 v205, v207, v205, s34
	v_perm_b32 v204, v206, v204, s34
	v_cvt_f32_f16_e32 v200, v199
	v_cvt_f32_f16_e32 v201, v201
	;; [unrolled: 1-line block ×4, first 2 shown]
	s_nop 1
	v_mfma_f32_16x16x16_f16 v[200:203], v[204:205], v[36:37], v[200:203]
	ds_read_u16 v204, v123 offset:10016
	ds_read_u16 v206, v123 offset:10224
	;; [unrolled: 1-line block ×4, first 2 shown]
	s_nop 3
	v_cvt_f16_f32_e32 v199, v200
	v_cvt_f16_f32_e32 v201, v201
	;; [unrolled: 1-line block ×4, first 2 shown]
	v_cvt_f32_f16_e32 v200, v199
	s_waitcnt lgkmcnt(0)
	v_perm_b32 v205, v207, v205, s34
	v_perm_b32 v204, v206, v204, s34
	ds_read_u16 v208, v123 offset:64
	ds_read_u16 v209, v123 offset:272
	ds_read_u16 v199, v124 offset:64
	ds_read_u16 v210, v125 offset:64
	v_cvt_f32_f16_e32 v201, v201
	v_cvt_f32_f16_e32 v202, v202
	;; [unrolled: 1-line block ×4, first 2 shown]
	s_waitcnt lgkmcnt(0)
	v_perm_b32 v199, v210, v199, s34
	v_mfma_f32_16x16x16_f16 v[200:203], v[204:205], v[100:101], v[200:203]
	v_cvt_f32_f16_e32 v204, v198
	v_cvt_f32_f16_sdwa v205, v198 dst_sel:DWORD dst_unused:UNUSED_PAD src0_sel:WORD_1
	v_perm_b32 v198, v209, v208, s34
	v_cvt_f32_f16_sdwa v207, v197 dst_sel:DWORD dst_unused:UNUSED_PAD src0_sel:WORD_1
	ds_read_u16 v208, v123 offset:3392
	ds_read_u16 v209, v123 offset:3600
	ds_read_u16 v210, v124 offset:3392
	ds_read_u16 v211, v125 offset:3392
	v_mfma_f32_16x16x16_f16 v[204:207], v[198:199], v[18:19], v[204:207]
	s_nop 7
	v_cvt_f16_f32_e32 v198, v205
	v_cvt_f16_f32_e32 v199, v206
	v_cvt_f16_f32_e32 v197, v204
	v_cvt_f16_f32_e32 v207, v207
	v_cvt_f32_f16_e32 v205, v198
	v_cvt_f32_f16_e32 v206, v199
	s_waitcnt lgkmcnt(0)
	v_perm_b32 v199, v211, v210, s34
	v_perm_b32 v198, v209, v208, s34
	v_cvt_f32_f16_e32 v204, v197
	v_cvt_f32_f16_e32 v207, v207
	ds_read_u16 v208, v123 offset:6720
	ds_read_u16 v209, v123 offset:6928
	ds_read_u16 v210, v124 offset:6720
	ds_read_u16 v211, v125 offset:6720
	v_mfma_f32_16x16x16_f16 v[204:207], v[198:199], v[20:21], v[204:207]
	s_nop 7
	v_cvt_f16_f32_e32 v198, v205
	v_cvt_f16_f32_e32 v199, v206
	v_cvt_f16_f32_e32 v197, v204
	v_cvt_f16_f32_e32 v207, v207
	v_cvt_f32_f16_e32 v205, v198
	v_cvt_f32_f16_e32 v206, v199
	s_waitcnt lgkmcnt(0)
	v_perm_b32 v199, v211, v210, s34
	v_perm_b32 v198, v209, v208, s34
	v_cvt_f32_f16_e32 v204, v197
	v_cvt_f32_f16_e32 v207, v207
	;; [unrolled: 17-line block ×3, first 2 shown]
	v_cvt_f32_f16_e32 v208, v109
	v_cvt_f32_f16_sdwa v209, v109 dst_sel:DWORD dst_unused:UNUSED_PAD src0_sel:WORD_1
	v_mfma_f32_16x16x16_f16 v[204:207], v[198:199], v[100:101], v[204:207]
	ds_read_u16 v197, v123 offset:96
	ds_read_u16 v198, v123 offset:304
	ds_read_u16 v199, v124 offset:96
	ds_read_u16 v212, v125 offset:96
	v_cvt_f32_f16_e32 v210, v108
	v_cvt_f32_f16_sdwa v211, v108 dst_sel:DWORD dst_unused:UNUSED_PAD src0_sel:WORD_1
	s_waitcnt lgkmcnt(2)
	v_perm_b32 v108, v198, v197, s34
	s_waitcnt lgkmcnt(0)
	v_perm_b32 v109, v212, v199, s34
	ds_read_u16 v199, v123 offset:3424
	ds_read_u16 v212, v123 offset:3632
	ds_read_u16 v213, v124 offset:3424
	ds_read_u16 v214, v125 offset:3424
	v_mfma_f32_16x16x16_f16 v[208:211], v[108:109], v[18:19], v[208:211]
	s_nop 7
	v_cvt_f16_f32_e32 v108, v208
	v_cvt_f16_f32_e32 v109, v209
	v_cvt_f16_f32_e32 v197, v210
	v_cvt_f16_f32_e32 v198, v211
	v_cvt_f32_f16_e32 v208, v108
	v_cvt_f32_f16_e32 v209, v109
	s_waitcnt lgkmcnt(0)
	v_perm_b32 v109, v214, v213, s34
	v_perm_b32 v108, v212, v199, s34
	v_cvt_f32_f16_e32 v210, v197
	v_cvt_f32_f16_e32 v211, v198
	ds_read_u16 v199, v123 offset:6752
	ds_read_u16 v212, v123 offset:6960
	ds_read_u16 v213, v124 offset:6752
	ds_read_u16 v214, v125 offset:6752
	v_mfma_f32_16x16x16_f16 v[208:211], v[108:109], v[20:21], v[208:211]
	s_nop 7
	v_cvt_f16_f32_e32 v108, v208
	v_cvt_f16_f32_e32 v109, v209
	v_cvt_f16_f32_e32 v197, v210
	v_cvt_f16_f32_e32 v198, v211
	v_cvt_f32_f16_e32 v208, v108
	v_cvt_f32_f16_e32 v209, v109
	s_waitcnt lgkmcnt(0)
	v_perm_b32 v109, v214, v213, s34
	v_perm_b32 v108, v212, v199, s34
	v_cvt_f32_f16_e32 v210, v197
	v_cvt_f32_f16_e32 v211, v198
	ds_read_u16 v199, v123 offset:10080
	ds_read_u16 v212, v123 offset:10288
	ds_read_u16 v213, v124 offset:10080
	ds_read_u16 v214, v125 offset:10080
	v_mfma_f32_16x16x16_f16 v[208:211], v[108:109], v[36:37], v[208:211]
	s_nop 7
	v_cvt_f16_f32_e32 v108, v208
	v_cvt_f16_f32_e32 v109, v209
	v_cvt_f16_f32_e32 v197, v210
	v_cvt_f16_f32_e32 v198, v211
	v_cvt_f32_f16_e32 v208, v108
	v_cvt_f32_f16_e32 v209, v109
	s_waitcnt lgkmcnt(0)
	v_perm_b32 v109, v214, v213, s34
	v_perm_b32 v108, v212, v199, s34
	v_cvt_f32_f16_e32 v210, v197
	v_cvt_f32_f16_e32 v211, v198
	v_cvt_f32_f16_e32 v212, v107
	v_cvt_f32_f16_sdwa v213, v107 dst_sel:DWORD dst_unused:UNUSED_PAD src0_sel:WORD_1
	v_mfma_f32_16x16x16_f16 v[208:211], v[108:109], v[100:101], v[208:211]
	ds_read_u16 v108, v123 offset:128
	ds_read_u16 v109, v123 offset:336
	;; [unrolled: 1-line block ×4, first 2 shown]
	v_cvt_f32_f16_e32 v214, v106
	s_waitcnt lgkmcnt(2)
	v_perm_b32 v106, v109, v108, s34
	s_waitcnt lgkmcnt(0)
	v_perm_b32 v107, v198, v197, s34
	s_nop 1
	v_mfma_f32_16x16x16_f16 v[106:109], v[106:107], v[18:19], v[212:215]
	ds_read_u16 v197, v123 offset:3456
	ds_read_u16 v198, v123 offset:3664
	ds_read_u16 v199, v124 offset:3456
	ds_read_u16 v212, v125 offset:3456
	s_nop 3
	v_cvt_f16_f32_e32 v106, v106
	v_cvt_f16_f32_e32 v107, v107
	v_cvt_f16_f32_e32 v108, v108
	v_cvt_f16_f32_e32 v109, v109
	s_waitcnt lgkmcnt(0)
	v_perm_b32 v199, v212, v199, s34
	v_perm_b32 v198, v198, v197, s34
	v_cvt_f32_f16_e32 v106, v106
	v_cvt_f32_f16_e32 v107, v107
	v_cvt_f32_f16_e32 v108, v108
	v_cvt_f32_f16_e32 v109, v109
	s_nop 1
	v_mfma_f32_16x16x16_f16 v[106:109], v[198:199], v[20:21], v[106:109]
	ds_read_u16 v197, v123 offset:6784
	ds_read_u16 v198, v123 offset:6992
	ds_read_u16 v199, v124 offset:6784
	ds_read_u16 v212, v125 offset:6784
	s_nop 3
	v_cvt_f16_f32_e32 v106, v106
	v_cvt_f16_f32_e32 v107, v107
	v_cvt_f16_f32_e32 v108, v108
	v_cvt_f16_f32_e32 v109, v109
	s_waitcnt lgkmcnt(0)
	v_perm_b32 v199, v212, v199, s34
	v_perm_b32 v198, v198, v197, s34
	v_cvt_f32_f16_e32 v106, v106
	v_cvt_f32_f16_e32 v107, v107
	v_cvt_f32_f16_e32 v108, v108
	v_cvt_f32_f16_e32 v109, v109
	;; [unrolled: 18-line block ×3, first 2 shown]
	s_nop 1
	v_mfma_f32_16x16x16_f16 v[212:215], v[198:199], v[100:101], v[106:109]
	ds_read_u16 v197, v123 offset:160
	ds_read_u16 v198, v123 offset:368
	;; [unrolled: 1-line block ×4, first 2 shown]
	v_cvt_f32_f16_e32 v106, v105
	v_cvt_f32_f16_sdwa v107, v105 dst_sel:DWORD dst_unused:UNUSED_PAD src0_sel:WORD_1
	v_cvt_f32_f16_e32 v108, v104
	v_cvt_f32_f16_sdwa v109, v104 dst_sel:DWORD dst_unused:UNUSED_PAD src0_sel:WORD_1
	s_waitcnt lgkmcnt(0)
	v_perm_b32 v105, v216, v199, s34
	v_perm_b32 v104, v198, v197, s34
	s_nop 1
	v_mfma_f32_16x16x16_f16 v[104:107], v[104:105], v[18:19], v[106:109]
	s_nop 2
	ds_read_u16 v108, v123 offset:3488
	ds_read_u16 v109, v123 offset:3696
	;; [unrolled: 1-line block ×4, first 2 shown]
	s_nop 0
	v_cvt_f16_f32_e32 v18, v104
	v_cvt_f16_f32_e32 v19, v105
	;; [unrolled: 1-line block ×4, first 2 shown]
	v_cvt_f32_f16_e32 v104, v18
	v_cvt_f32_f16_e32 v105, v19
	s_waitcnt lgkmcnt(0)
	v_perm_b32 v19, v198, v197, s34
	v_perm_b32 v18, v109, v108, s34
	v_cvt_f32_f16_e32 v106, v106
	v_cvt_f32_f16_e32 v107, v107
	v_cvt_pk_f16_f32 v109, v200, v201
	v_cvt_pk_f16_f32 v108, v202, v203
	v_mfma_f32_16x16x16_f16 v[18:21], v[18:19], v[20:21], v[104:107]
	s_nop 2
	ds_read_u16 v104, v123 offset:6816
	ds_read_u16 v106, v123 offset:7024
	;; [unrolled: 1-line block ×4, first 2 shown]
	v_cvt_pk_f16_f32 v198, v14, v15
	v_cvt_pk_f16_f32 v197, v16, v17
	v_cvt_f16_f32_e32 v18, v18
	v_cvt_f16_f32_e32 v19, v19
	v_cvt_f16_f32_e32 v20, v20
	v_cvt_f16_f32_e32 v21, v21
	s_waitcnt lgkmcnt(0)
	v_perm_b32 v105, v107, v105, s34
	v_perm_b32 v104, v106, v104, s34
	v_cvt_f32_f16_e32 v18, v18
	v_cvt_f32_f16_e32 v19, v19
	;; [unrolled: 1-line block ×4, first 2 shown]
	v_cvt_pk_f16_f32 v107, v204, v205
	v_cvt_pk_f16_f32 v106, v206, v207
	v_mfma_f32_16x16x16_f16 v[18:21], v[104:105], v[36:37], v[18:21]
	ds_read_u16 v36, v123 offset:10144
	ds_read_u16 v104, v123 offset:10352
	;; [unrolled: 1-line block ×4, first 2 shown]
	s_waitcnt lgkmcnt(0)
	s_barrier
	s_nop 1
	v_cvt_f16_f32_e32 v18, v18
	v_cvt_f16_f32_e32 v19, v19
	;; [unrolled: 1-line block ×4, first 2 shown]
	v_perm_b32 v37, v105, v37, s34
	v_perm_b32 v36, v104, v36, s34
	v_cvt_f32_f16_e32 v18, v18
	v_cvt_f32_f16_e32 v19, v19
	;; [unrolled: 1-line block ×4, first 2 shown]
	v_cvt_pk_f16_f32 v105, v212, v213
	v_cvt_pk_f16_f32 v104, v214, v215
	v_mfma_f32_16x16x16_f16 v[18:21], v[36:37], v[100:101], v[18:21]
	v_cvt_pk_f16_f32 v36, v208, v209
	v_cvt_pk_f16_f32 v37, v210, v211
	s_nop 5
	v_cvt_pk_f16_f32 v101, v18, v19
	v_cvt_pk_f16_f32 v100, v20, v21
	s_cbranch_scc1 .LBB14_185
; %bb.186:                              ;   in Loop: Header=BB14_12 Depth=1
	v_readlane_b32 s60, v230, 10
	v_readlane_b32 s61, v230, 11
	s_lshl_b32 s92, s35, 6
	s_mov_b32 s35, s61
	s_mov_b32 s93, s61
	v_writelane_b32 v230, s34, 10
	s_nop 1
	v_writelane_b32 v230, s35, 11
	s_branch .LBB14_188
.LBB14_187:                             ;   in Loop: Header=BB14_12 Depth=1
	v_mov_b32_e32 v102, 0xfeffffff
	v_mov_b32_e32 v103, 0
	s_mov_b64 s[92:93], 0
	v_mov_b32_e32 v100, 0
	v_mov_b32_e32 v101, 0
	;; [unrolled: 1-line block ×12, first 2 shown]
.LBB14_188:                             ;   in Loop: Header=BB14_12 Depth=1
	v_mad_i64_i32 v[14:15], s[60:61], v44, s10, 0
	s_lshl_b64 s[60:61], s[92:93], 1
	s_nop 0
	v_lshl_add_u64 v[16:17], v[98:99], 0, s[60:61]
	v_lshl_add_u64 v[14:15], v[14:15], 1, v[16:17]
	v_lshlrev_b32_e32 v44, 1, v42
	v_lshl_add_u64 v[14:15], v[14:15], 0, v[44:45]
	global_load_dword v14, v[14:15], off
	s_mul_i32 s35, s92, s55
	s_mul_hi_u32 s60, s92, s54
	s_add_i32 s61, s60, s35
	s_mul_i32 s60, s92, s54
	s_lshl_b64 s[60:61], s[60:61], 2
	v_lshl_add_u64 v[16:17], v[96:97], 0, s[60:61]
	v_lshlrev_b32_e32 v44, 2, v48
	v_lshl_add_u64 v[20:21], v[52:53], 2, v[16:17]
	v_add_u32_e32 v28, 0x800, v176
	v_add_u32_e32 v32, 0x1800, v176
	;; [unrolled: 1-line block ×3, first 2 shown]
	v_cmp_lt_i32_e32 vcc, v194, v111
	s_mul_i32 s35, s92, s57
	s_mul_hi_u32 s60, s92, s56
	s_add_i32 s61, s60, s35
	s_mul_i32 s60, s92, s56
	s_lshl_b64 s[60:61], s[60:61], 2
	s_waitcnt vmcnt(0)
	ds_write_b32 v69, v14 offset:13312
	v_lshl_add_u64 v[14:15], v[46:47], 2, v[16:17]
	v_lshl_add_u64 v[18:19], v[14:15], 0, v[44:45]
	v_lshlrev_b32_e32 v14, 2, v50
	v_mov_b32_e32 v15, v45
	v_lshl_add_u64 v[16:17], v[54:55], 2, v[16:17]
	v_lshl_add_u64 v[22:23], v[16:17], 0, v[14:15]
	global_load_dwordx4 v[16:19], v[18:19], off offset:128
	v_lshl_add_u64 v[20:21], v[20:21], 0, v[14:15]
	s_waitcnt vmcnt(0)
	ds_write_b128 v75, v[16:19]
	global_load_dwordx4 v[16:19], v[20:21], off
	s_waitcnt vmcnt(0)
	ds_write_b128 v77, v[16:19]
	global_load_dwordx4 v[16:19], v[22:23], off
	s_waitcnt vmcnt(0)
	ds_write_b128 v175, v[16:19]
	s_waitcnt lgkmcnt(0)
	s_barrier
	ds_read2_b64 v[16:19], v176 offset1:4
	s_waitcnt lgkmcnt(0)
	v_mfma_f32_16x16x16_f16 v[20:23], v[16:17], v[10:11], 0
	v_mfma_f32_16x16x16_f16 v[16:19], v[18:19], v[12:13], v[20:23]
	s_nop 6
	ds_read2_b64 v[20:23], v176 offset0:8 offset1:12
	s_waitcnt lgkmcnt(0)
	v_mfma_f32_16x16x16_f16 v[16:19], v[20:21], v[6:7], v[16:19]
	v_mfma_f32_16x16x16_f16 v[16:19], v[22:23], v[8:9], v[16:19]
	ds_read2_b64 v[20:23], v176 offset0:16 offset1:20
	s_waitcnt lgkmcnt(0)
	v_mfma_f32_16x16x16_f16 v[16:19], v[20:21], v[2:3], v[16:19]
	v_mfma_f32_16x16x16_f16 v[16:19], v[22:23], v[4:5], v[16:19]
	;; [unrolled: 4-line block ×3, first 2 shown]
	s_nop 6
	ds_read2_b64 v[24:27], v28 offset0:168 offset1:172
	s_waitcnt lgkmcnt(0)
	v_mfma_f32_16x16x16_f16 v[20:23], v[24:25], v[6:7], v[20:23]
	v_mfma_f32_16x16x16_f16 v[20:23], v[26:27], v[8:9], v[20:23]
	ds_read2_b64 v[24:27], v28 offset0:176 offset1:180
	s_waitcnt lgkmcnt(0)
	v_mfma_f32_16x16x16_f16 v[20:23], v[24:25], v[2:3], v[20:23]
	v_mfma_f32_16x16x16_f16 v[24:27], v[26:27], v[4:5], v[20:23]
	s_nop 6
	ds_read2_b64 v[20:23], v32 offset0:64 offset1:68
	s_waitcnt lgkmcnt(0)
	v_mfma_f32_16x16x16_f16 v[28:31], v[20:21], v[10:11], 0
	v_mfma_f32_16x16x16_f16 v[20:23], v[22:23], v[12:13], v[28:31]
	s_nop 6
	ds_read2_b64 v[28:31], v32 offset0:72 offset1:76
	s_waitcnt lgkmcnt(0)
	v_mfma_f32_16x16x16_f16 v[20:23], v[28:29], v[6:7], v[20:23]
	v_mfma_f32_16x16x16_f16 v[20:23], v[30:31], v[8:9], v[20:23]
	ds_read2_b64 v[28:31], v32 offset0:80 offset1:84
	s_waitcnt lgkmcnt(0)
	v_mfma_f32_16x16x16_f16 v[20:23], v[28:29], v[2:3], v[20:23]
	v_mfma_f32_16x16x16_f16 v[28:31], v[30:31], v[4:5], v[20:23]
	s_nop 6
	ds_read2_b64 v[20:23], v96 offset0:224 offset1:228
	s_waitcnt lgkmcnt(0)
	v_mfma_f32_16x16x16_f16 v[32:35], v[20:21], v[10:11], 0
	v_mfma_f32_16x16x16_f16 v[10:13], v[22:23], v[12:13], v[32:35]
	ds_read2_b64 v[20:23], v96 offset0:232 offset1:236
	s_waitcnt lgkmcnt(0)
	v_mfma_f32_16x16x16_f16 v[10:13], v[20:21], v[6:7], v[10:13]
	s_nop 3
	v_add_u32_e32 v34, v122, v49
	v_add_u32_e32 v33, v122, v51
	v_mfma_f32_16x16x16_f16 v[6:9], v[22:23], v[8:9], v[10:13]
	s_nop 2
	ds_read2_b64 v[10:13], v96 offset0:240 offset1:244
	s_waitcnt lgkmcnt(0)
	v_mfma_f32_16x16x16_f16 v[6:9], v[10:11], v[2:3], v[6:9]
	s_barrier
	v_mfma_f32_16x16x16_f16 v[2:5], v[12:13], v[4:5], v[6:9]
	s_nop 5
	ds_read_b32 v6, v120 offset:13312
	s_waitcnt lgkmcnt(0)
	v_cvt_f32_f16_e32 v7, v6
	v_cvt_f32_f16_sdwa v6, v6 dst_sel:DWORD dst_unused:UNUSED_PAD src0_sel:WORD_1
	v_add_f32_e32 v20, v16, v7
	v_add_f32_e32 v32, v17, v6
	ds_read_b32 v6, v121 offset:13312
	s_waitcnt lgkmcnt(0)
	v_cvt_f32_f16_e32 v7, v6
	v_cvt_f32_f16_sdwa v6, v6 dst_sel:DWORD dst_unused:UNUSED_PAD src0_sel:WORD_1
	v_add_f32_e32 v18, v18, v7
	v_add_f32_e32 v19, v19, v6
	v_add_u32_e32 v6, 0x3400, v177
	ds_read2_b32 v[6:7], v6 offset1:1
	s_waitcnt lgkmcnt(0)
	v_cvt_f32_f16_e32 v8, v6
	v_cvt_f32_f16_sdwa v6, v6 dst_sel:DWORD dst_unused:UNUSED_PAD src0_sel:WORD_1
	v_add_f32_e32 v23, v24, v8
	v_add_f32_e32 v22, v25, v6
	v_cvt_f32_f16_e32 v6, v7
	v_cvt_f32_f16_sdwa v7, v7 dst_sel:DWORD dst_unused:UNUSED_PAD src0_sel:WORD_1
	v_add_f32_e32 v21, v26, v6
	v_add_u32_e32 v6, 0x3400, v178
	v_add_f32_e32 v12, v27, v7
	ds_read2_b32 v[6:7], v6 offset1:1
	s_waitcnt lgkmcnt(0)
	v_cvt_f32_f16_e32 v8, v6
	v_cvt_f32_f16_sdwa v6, v6 dst_sel:DWORD dst_unused:UNUSED_PAD src0_sel:WORD_1
	v_add_f32_e32 v11, v28, v8
	v_add_f32_e32 v10, v29, v6
	v_cvt_f32_f16_e32 v6, v7
	v_cvt_f32_f16_sdwa v7, v7 dst_sel:DWORD dst_unused:UNUSED_PAD src0_sel:WORD_1
	v_add_f32_e32 v9, v30, v6
	v_add_u32_e32 v6, 0x3400, v179
	v_add_f32_e32 v8, v31, v7
	ds_read2_b32 v[6:7], v6 offset1:1
	s_waitcnt lgkmcnt(0)
	v_cvt_f32_f16_e32 v13, v6
	v_cvt_f32_f16_sdwa v6, v6 dst_sel:DWORD dst_unused:UNUSED_PAD src0_sel:WORD_1
	v_add_f32_e32 v13, v2, v13
	v_add_f32_e32 v2, v3, v6
	v_cvt_f32_f16_e32 v3, v7
	v_cvt_f32_f16_sdwa v6, v7 dst_sel:DWORD dst_unused:UNUSED_PAD src0_sel:WORD_1
	v_add_f32_e32 v7, 0x40051340, v19
	v_add_f32_e32 v4, v4, v3
	v_add_f32_e32 v3, v5, v6
	v_add_f32_e32 v5, 0x40051340, v20
	v_add_f32_e32 v6, 0x40051340, v32
	v_max3_f32 v5, v102, v5, v6
	v_add_f32_e32 v6, 0x40051340, v18
	v_max3_f32 v5, v5, v6, v7
	v_add_f32_e32 v6, 0x40051340, v23
	v_add_f32_e32 v7, 0x40051340, v22
	v_max3_f32 v5, v5, v6, v7
	v_add_f32_e32 v6, 0x40051340, v21
	;; [unrolled: 3-line block ×6, first 2 shown]
	v_add_f32_e32 v7, 0x40051340, v3
	v_max3_f32 v5, v5, v6, v7
	v_cndmask_b32_e32 v6, v110, v194, vcc
	v_lshlrev_b32_e32 v24, 2, v6
	ds_bpermute_b32 v6, v24, v5
	v_cmp_lt_i32_e32 vcc, v195, v111
	s_waitcnt lgkmcnt(0)
	v_max_f32_e32 v6, v6, v6
	v_max_f32_e32 v5, v5, v6
	v_cndmask_b32_e32 v6, v110, v195, vcc
	v_lshlrev_b32_e32 v17, 2, v6
	ds_bpermute_b32 v6, v17, v5
	s_waitcnt lgkmcnt(0)
	v_max_f32_e32 v6, v6, v6
	v_max_f32_e32 v16, v5, v6
	v_sub_f32_e32 v5, v20, v16
	v_mul_f32_e32 v6, 0x3fb8aa3b, v5
	v_fma_f32 v7, v5, s11, -v6
	v_rndne_f32_e32 v20, v6
	v_fmac_f32_e32 v7, 0x32a5705f, v5
	v_sub_f32_e32 v6, v6, v20
	v_add_f32_e32 v6, v6, v7
	v_exp_f32_e32 v6, v6
	v_cvt_i32_f32_e32 v7, v20
	v_cmp_ngt_f32_e32 vcc, s3, v5
	v_sub_f32_e32 v18, v18, v16
	v_sub_f32_e32 v19, v19, v16
	v_ldexp_f32 v6, v6, v7
	v_cndmask_b32_e32 v6, 0, v6, vcc
	v_cmp_nlt_f32_e32 vcc, s2, v5
	v_sub_f32_e32 v5, v32, v16
	v_mul_f32_e32 v7, 0x3fb8aa3b, v5
	v_fma_f32 v20, v5, s11, -v7
	v_rndne_f32_e32 v25, v7
	v_fmac_f32_e32 v20, 0x32a5705f, v5
	v_sub_f32_e32 v7, v7, v25
	v_add_f32_e32 v7, v7, v20
	v_exp_f32_e32 v7, v7
	v_cvt_i32_f32_e32 v20, v25
	v_cndmask_b32_e32 v6, v189, v6, vcc
	v_cmp_ngt_f32_e32 vcc, s3, v5
	v_sub_f32_e32 v22, v22, v16
	v_ldexp_f32 v7, v7, v20
	v_mul_f32_e32 v20, 0x3fb8aa3b, v18
	v_fma_f32 v25, v18, s11, -v20
	v_rndne_f32_e32 v26, v20
	v_fmac_f32_e32 v25, 0x32a5705f, v18
	v_sub_f32_e32 v20, v20, v26
	v_add_f32_e32 v20, v20, v25
	v_exp_f32_e32 v20, v20
	v_cvt_i32_f32_e32 v25, v26
	v_cndmask_b32_e32 v7, 0, v7, vcc
	v_cmp_nlt_f32_e32 vcc, s2, v5
	v_sub_f32_e32 v21, v21, v16
	v_ldexp_f32 v20, v20, v25
	v_cndmask_b32_e32 v7, v189, v7, vcc
	v_cmp_ngt_f32_e32 vcc, s3, v18
	v_sub_f32_e32 v12, v12, v16
	v_sub_f32_e32 v11, v11, v16
	v_cndmask_b32_e32 v20, 0, v20, vcc
	v_cmp_nlt_f32_e32 vcc, s2, v18
	v_sub_f32_e32 v10, v10, v16
	v_sub_f32_e32 v9, v9, v16
	v_cndmask_b32_e32 v18, v189, v20, vcc
	v_mul_f32_e32 v20, 0x3fb8aa3b, v19
	v_fma_f32 v25, v19, s11, -v20
	v_rndne_f32_e32 v26, v20
	v_fmac_f32_e32 v25, 0x32a5705f, v19
	v_sub_f32_e32 v20, v20, v26
	v_add_f32_e32 v20, v20, v25
	v_exp_f32_e32 v20, v20
	v_cvt_i32_f32_e32 v25, v26
	v_cmp_ngt_f32_e32 vcc, s3, v19
	v_sub_f32_e32 v8, v8, v16
	v_add_f32_e32 v5, v6, v7
	v_ldexp_f32 v20, v20, v25
	v_cndmask_b32_e32 v20, 0, v20, vcc
	v_cmp_nlt_f32_e32 vcc, s2, v19
	v_sub_f32_e32 v19, v23, v16
	v_mul_f32_e32 v23, 0x3fb8aa3b, v19
	v_fma_f32 v25, v19, s11, -v23
	v_rndne_f32_e32 v26, v23
	v_fmac_f32_e32 v25, 0x32a5705f, v19
	v_sub_f32_e32 v23, v23, v26
	v_add_f32_e32 v23, v23, v25
	v_exp_f32_e32 v23, v23
	v_cvt_i32_f32_e32 v25, v26
	v_cndmask_b32_e32 v20, v189, v20, vcc
	v_cmp_ngt_f32_e32 vcc, s3, v19
	v_sub_f32_e32 v2, v2, v16
	v_ldexp_f32 v23, v23, v25
	v_cndmask_b32_e32 v23, 0, v23, vcc
	v_cmp_nlt_f32_e32 vcc, s2, v19
	v_add_f32_e32 v5, v18, v5
	v_add_f32_e32 v5, v20, v5
	v_cndmask_b32_e32 v19, v189, v23, vcc
	v_mul_f32_e32 v23, 0x3fb8aa3b, v22
	v_fma_f32 v25, v22, s11, -v23
	v_rndne_f32_e32 v26, v23
	v_fmac_f32_e32 v25, 0x32a5705f, v22
	v_sub_f32_e32 v23, v23, v26
	v_add_f32_e32 v23, v23, v25
	v_exp_f32_e32 v23, v23
	v_cvt_i32_f32_e32 v25, v26
	v_cmp_ngt_f32_e32 vcc, s3, v22
	v_add_f32_e32 v5, v19, v5
	v_sub_f32_e32 v4, v4, v16
	v_ldexp_f32 v23, v23, v25
	v_cndmask_b32_e32 v23, 0, v23, vcc
	v_cmp_nlt_f32_e32 vcc, s2, v22
	v_mul_f32_e32 v22, 0x3fb8aa3b, v21
	v_rndne_f32_e32 v25, v22
	v_cndmask_b32_e32 v26, v189, v23, vcc
	v_fma_f32 v23, v21, s11, -v22
	v_fmac_f32_e32 v23, 0x32a5705f, v21
	v_sub_f32_e32 v22, v22, v25
	v_add_f32_e32 v22, v22, v23
	v_exp_f32_e32 v22, v22
	v_cvt_i32_f32_e32 v23, v25
	v_cmp_ngt_f32_e32 vcc, s3, v21
	v_add_f32_e32 v5, v26, v5
	v_sub_f32_e32 v3, v3, v16
	v_ldexp_f32 v22, v22, v23
	v_cndmask_b32_e32 v22, 0, v22, vcc
	v_cmp_nlt_f32_e32 vcc, s2, v21
	s_nop 1
	v_cndmask_b32_e32 v21, v189, v22, vcc
	v_mul_f32_e32 v22, 0x3fb8aa3b, v12
	v_fma_f32 v23, v12, s11, -v22
	v_rndne_f32_e32 v25, v22
	v_fmac_f32_e32 v23, 0x32a5705f, v12
	v_sub_f32_e32 v22, v22, v25
	v_add_f32_e32 v22, v22, v23
	v_exp_f32_e32 v22, v22
	v_cvt_i32_f32_e32 v23, v25
	v_cmp_ngt_f32_e32 vcc, s3, v12
	v_add_f32_e32 v5, v21, v5
	v_ldexp_f32 v22, v22, v23
	v_cndmask_b32_e32 v22, 0, v22, vcc
	v_cmp_nlt_f32_e32 vcc, s2, v12
	v_mul_f32_e32 v12, 0x3fb8aa3b, v11
	v_rndne_f32_e32 v23, v12
	v_cndmask_b32_e32 v27, v189, v22, vcc
	v_fma_f32 v22, v11, s11, -v12
	v_fmac_f32_e32 v22, 0x32a5705f, v11
	v_sub_f32_e32 v12, v12, v23
	v_add_f32_e32 v12, v12, v22
	v_exp_f32_e32 v12, v12
	v_cvt_i32_f32_e32 v22, v23
	v_cmp_ngt_f32_e32 vcc, s3, v11
	v_add_f32_e32 v5, v27, v5
	v_cvt_pk_f16_f32 v21, v21, v27
	v_ldexp_f32 v12, v12, v22
	v_cndmask_b32_e32 v12, 0, v12, vcc
	v_cmp_nlt_f32_e32 vcc, s2, v11
	v_mul_f32_e32 v11, 0x3fb8aa3b, v10
	v_rndne_f32_e32 v22, v11
	v_cndmask_b32_e32 v28, v189, v12, vcc
	v_fma_f32 v12, v10, s11, -v11
	v_fmac_f32_e32 v12, 0x32a5705f, v10
	v_sub_f32_e32 v11, v11, v22
	v_add_f32_e32 v11, v11, v12
	v_exp_f32_e32 v11, v11
	v_cvt_i32_f32_e32 v12, v22
	v_cmp_ngt_f32_e32 vcc, s3, v10
	v_add_f32_e32 v5, v28, v5
	v_ldexp_f32 v11, v11, v12
	v_cndmask_b32_e32 v11, 0, v11, vcc
	v_cmp_nlt_f32_e32 vcc, s2, v10
	v_mul_f32_e32 v10, 0x3fb8aa3b, v9
	v_rndne_f32_e32 v12, v10
	v_cndmask_b32_e32 v29, v189, v11, vcc
	v_fma_f32 v11, v9, s11, -v10
	v_fmac_f32_e32 v11, 0x32a5705f, v9
	v_sub_f32_e32 v10, v10, v12
	v_add_f32_e32 v10, v10, v11
	v_exp_f32_e32 v10, v10
	v_cvt_i32_f32_e32 v11, v12
	v_cmp_ngt_f32_e32 vcc, s3, v9
	v_add_f32_e32 v5, v29, v5
	;; [unrolled: 14-line block ×3, first 2 shown]
	v_ldexp_f32 v9, v9, v10
	v_cndmask_b32_e32 v9, 0, v9, vcc
	v_cmp_nlt_f32_e32 vcc, s2, v8
	v_sub_f32_e32 v8, v13, v16
	s_nop 0
	v_cndmask_b32_e32 v96, v189, v9, vcc
	v_mul_f32_e32 v9, 0x3fb8aa3b, v8
	v_fma_f32 v10, v8, s11, -v9
	v_rndne_f32_e32 v11, v9
	v_fmac_f32_e32 v10, 0x32a5705f, v8
	v_sub_f32_e32 v9, v9, v11
	v_add_f32_e32 v9, v9, v10
	v_exp_f32_e32 v9, v9
	v_cvt_i32_f32_e32 v10, v11
	v_cmp_ngt_f32_e32 vcc, s3, v8
	v_add_f32_e32 v5, v96, v5
	v_ldexp_f32 v9, v9, v10
	v_cndmask_b32_e32 v9, 0, v9, vcc
	v_cmp_nlt_f32_e32 vcc, s2, v8
	v_mul_f32_e32 v8, 0x3fb8aa3b, v2
	v_rndne_f32_e32 v10, v8
	v_cndmask_b32_e32 v35, v189, v9, vcc
	v_fma_f32 v9, v2, s11, -v8
	v_fmac_f32_e32 v9, 0x32a5705f, v2
	v_sub_f32_e32 v8, v8, v10
	v_add_f32_e32 v8, v8, v9
	v_exp_f32_e32 v8, v8
	v_cvt_i32_f32_e32 v9, v10
	v_cmp_ngt_f32_e32 vcc, s3, v2
	v_add_f32_e32 v5, v35, v5
	v_ldexp_f32 v8, v8, v9
	v_cndmask_b32_e32 v8, 0, v8, vcc
	v_cmp_nlt_f32_e32 vcc, s2, v2
	s_nop 1
	v_cndmask_b32_e32 v97, v189, v8, vcc
	v_add_f32_e32 v2, v97, v5
	v_mul_f32_e32 v5, 0x3fb8aa3b, v4
	v_fma_f32 v8, v4, s11, -v5
	v_rndne_f32_e32 v9, v5
	v_fmac_f32_e32 v8, 0x32a5705f, v4
	v_sub_f32_e32 v5, v5, v9
	v_add_f32_e32 v5, v5, v8
	v_exp_f32_e32 v5, v5
	v_cvt_i32_f32_e32 v8, v9
	v_cmp_ngt_f32_e32 vcc, s3, v4
	v_ldexp_f32 v5, v5, v8
	s_nop 0
	v_cndmask_b32_e32 v5, 0, v5, vcc
	v_cmp_nlt_f32_e32 vcc, s2, v4
	v_mul_f32_e32 v4, 0x3fb8aa3b, v3
	v_rndne_f32_e32 v8, v4
	v_cndmask_b32_e32 v98, v189, v5, vcc
	v_fma_f32 v5, v3, s11, -v4
	v_fmac_f32_e32 v5, 0x32a5705f, v3
	v_sub_f32_e32 v4, v4, v8
	v_add_f32_e32 v4, v4, v5
	v_exp_f32_e32 v4, v4
	v_cvt_i32_f32_e32 v5, v8
	v_cmp_ngt_f32_e32 vcc, s3, v3
	v_add_f32_e32 v2, v98, v2
	v_ldexp_f32 v4, v4, v5
	v_cndmask_b32_e32 v4, 0, v4, vcc
	v_cmp_nlt_f32_e32 vcc, s2, v3
	s_nop 1
	v_cndmask_b32_e32 v99, v189, v4, vcc
	v_add_f32_e32 v25, v99, v2
	v_sub_f32_e32 v2, v102, v16
	v_mul_f32_e32 v3, 0x3fb8aa3b, v2
	v_fma_f32 v4, v2, s11, -v3
	v_rndne_f32_e32 v5, v3
	v_fmac_f32_e32 v4, 0x32a5705f, v2
	v_sub_f32_e32 v3, v3, v5
	v_add_f32_e32 v3, v3, v4
	v_exp_f32_e32 v3, v3
	v_cvt_i32_f32_e32 v4, v5
	v_cmp_ngt_f32_e32 vcc, s3, v2
	v_ldexp_f32 v3, v3, v4
	s_nop 0
	v_cndmask_b32_e32 v3, 0, v3, vcc
	v_cmp_nlt_f32_e32 vcc, s2, v2
	s_nop 1
	v_cndmask_b32_e32 v3, v189, v3, vcc
	v_cmp_le_f32_e32 vcc, s94, v2
	s_nop 1
	v_cndmask_b32_e32 v2, 0, v3, vcc
	v_fmac_f32_e32 v25, v103, v2
	v_cvt_f16_f32_e32 v2, v2
	v_cmp_eq_u64_e32 vcc, 0, v[92:93]
	s_and_b64 vcc, exec, vcc
	v_mul_u32_u24_e32 v2, 0x10001, v2
	v_pk_mul_f16 v11, v36, v2
	v_pk_mul_f16 v10, v37, v2
	v_lshl_add_u64 v[36:37], v[94:95], 0, s[60:61]
	v_pk_mul_f16 v23, v198, v2
	v_pk_mul_f16 v22, v197, v2
	;; [unrolled: 1-line block ×10, first 2 shown]
	v_lshl_add_u64 v[2:3], v[56:57], 2, v[36:37]
	v_lshl_add_u64 v[2:3], v[2:3], 0, v[44:45]
	global_load_dwordx4 v[2:5], v[2:3], off offset:128
	v_cvt_f32_f16_e32 v94, v9
	v_cvt_f32_f16_sdwa v95, v9 dst_sel:DWORD dst_unused:UNUSED_PAD src0_sel:WORD_1
	s_waitcnt vmcnt(0)
	ds_write_b128 v75, v[2:5]
	v_lshl_add_u64 v[2:3], v[58:59], 2, v[36:37]
	v_lshl_add_u64 v[2:3], v[2:3], 0, v[14:15]
	global_load_dwordx4 v[2:5], v[2:3], off
	s_waitcnt vmcnt(0)
	ds_write_b128 v77, v[2:5]
	v_lshl_add_u64 v[2:3], v[60:61], 2, v[36:37]
	v_lshl_add_u64 v[2:3], v[2:3], 0, v[14:15]
	global_load_dwordx4 v[2:5], v[2:3], off
	s_waitcnt vmcnt(0)
	ds_write_b128 v175, v[2:5]
	s_waitcnt lgkmcnt(0)
	s_barrier
	ds_read_u16 v14, v123 offset:208
	v_cvt_f32_f16_e32 v4, v22
	v_cvt_f32_f16_sdwa v5, v22 dst_sel:DWORD dst_unused:UNUSED_PAD src0_sel:WORD_1
	ds_read_u16 v15, v34
	ds_read_u16 v36, v34 offset:32
	ds_read_u16 v22, v33
	ds_read_u16 v37, v33 offset:32
	v_cvt_f32_f16_e32 v2, v23
	v_cvt_f32_f16_sdwa v3, v23 dst_sel:DWORD dst_unused:UNUSED_PAD src0_sel:WORD_1
	v_cvt_pk_f16_f32 v23, v18, v20
	s_waitcnt lgkmcnt(1)
	v_perm_b32 v15, v22, v15, s34
	ds_read_u16 v22, v123
	ds_read_u16 v44, v123 offset:32
	v_cvt_pk_f16_f32 v20, v19, v26
	v_cvt_pk_f16_f32 v19, v32, v96
	;; [unrolled: 1-line block ×3, first 2 shown]
	s_waitcnt lgkmcnt(1)
	v_perm_b32 v14, v14, v22, s34
	v_cvt_pk_f16_f32 v22, v6, v7
	v_perm_b32 v29, v37, v36, s34
	v_cvt_f32_f16_e32 v96, v8
	v_mfma_f32_16x16x16_f16 v[2:5], v[14:15], v[22:23], v[2:5]
	ds_read_u16 v6, v123 offset:3328
	ds_read_u16 v14, v123 offset:3536
	ds_read_u16 v7, v34 offset:3328
	ds_read_u16 v15, v33 offset:3328
	s_nop 3
	v_cvt_f16_f32_e32 v2, v2
	v_cvt_f16_f32_e32 v3, v3
	;; [unrolled: 1-line block ×4, first 2 shown]
	s_waitcnt lgkmcnt(0)
	v_perm_b32 v7, v15, v7, s34
	v_perm_b32 v6, v14, v6, s34
	v_cvt_f32_f16_e32 v2, v2
	v_cvt_f32_f16_e32 v3, v3
	;; [unrolled: 1-line block ×4, first 2 shown]
	s_nop 1
	v_mfma_f32_16x16x16_f16 v[2:5], v[6:7], v[20:21], v[2:5]
	ds_read_u16 v6, v123 offset:6656
	ds_read_u16 v14, v123 offset:6864
	;; [unrolled: 1-line block ×4, first 2 shown]
	s_nop 3
	v_cvt_f16_f32_e32 v2, v2
	v_cvt_f16_f32_e32 v3, v3
	;; [unrolled: 1-line block ×4, first 2 shown]
	s_waitcnt lgkmcnt(0)
	v_perm_b32 v7, v15, v7, s34
	v_perm_b32 v6, v14, v6, s34
	v_cvt_f32_f16_e32 v2, v2
	v_cvt_f32_f16_e32 v3, v3
	;; [unrolled: 1-line block ×4, first 2 shown]
	s_nop 1
	v_mfma_f32_16x16x16_f16 v[2:5], v[6:7], v[18:19], v[2:5]
	ds_read_u16 v6, v123 offset:9984
	ds_read_u16 v14, v123 offset:10192
	;; [unrolled: 1-line block ×5, first 2 shown]
	s_nop 2
	v_cvt_f16_f32_e32 v2, v2
	v_cvt_f16_f32_e32 v3, v3
	;; [unrolled: 1-line block ×4, first 2 shown]
	s_waitcnt lgkmcnt(1)
	v_perm_b32 v7, v15, v7, s34
	v_perm_b32 v6, v14, v6, s34
	v_cvt_f32_f16_e32 v2, v2
	v_cvt_f32_f16_e32 v3, v3
	;; [unrolled: 1-line block ×4, first 2 shown]
	v_cvt_pk_f16_f32 v15, v98, v99
	v_cvt_pk_f16_f32 v14, v35, v97
	s_waitcnt lgkmcnt(0)
	v_perm_b32 v28, v27, v44, s34
	v_cvt_f32_f16_sdwa v97, v8 dst_sel:DWORD dst_unused:UNUSED_PAD src0_sel:WORD_1
	v_mfma_f32_16x16x16_f16 v[2:5], v[6:7], v[14:15], v[2:5]
	v_cvt_f32_f16_e32 v6, v102
	v_cvt_f32_f16_sdwa v7, v102 dst_sel:DWORD dst_unused:UNUSED_PAD src0_sel:WORD_1
	s_nop 5
	v_cvt_f16_f32_e32 v4, v4
	v_cvt_f16_f32_e32 v5, v5
	v_perm_b32 v26, v5, v4, s34
	v_cvt_f32_f16_e32 v4, v103
	v_cvt_f32_f16_sdwa v5, v103 dst_sel:DWORD dst_unused:UNUSED_PAD src0_sel:WORD_1
	s_nop 1
	v_mfma_f32_16x16x16_f16 v[4:7], v[28:29], v[22:23], v[4:7]
	ds_read_u16 v27, v123 offset:3360
	ds_read_u16 v28, v123 offset:3568
	ds_read_u16 v29, v34 offset:3360
	ds_read_u16 v32, v33 offset:3360
	s_nop 3
	v_cvt_f16_f32_e32 v4, v4
	v_cvt_f16_f32_e32 v5, v5
	v_cvt_f16_f32_e32 v6, v6
	v_cvt_f16_f32_e32 v7, v7
	s_waitcnt lgkmcnt(0)
	v_perm_b32 v29, v32, v29, s34
	v_perm_b32 v28, v28, v27, s34
	v_cvt_f32_f16_e32 v4, v4
	v_cvt_f32_f16_e32 v5, v5
	v_cvt_f32_f16_e32 v6, v6
	v_cvt_f32_f16_e32 v7, v7
	s_nop 1
	v_mfma_f32_16x16x16_f16 v[4:7], v[28:29], v[20:21], v[4:7]
	ds_read_u16 v27, v123 offset:6688
	ds_read_u16 v28, v123 offset:6896
	ds_read_u16 v29, v34 offset:6688
	ds_read_u16 v32, v33 offset:6688
	s_nop 3
	v_cvt_f16_f32_e32 v4, v4
	v_cvt_f16_f32_e32 v5, v5
	v_cvt_f16_f32_e32 v6, v6
	v_cvt_f16_f32_e32 v7, v7
	s_waitcnt lgkmcnt(0)
	v_perm_b32 v29, v32, v29, s34
	v_perm_b32 v28, v28, v27, s34
	v_cvt_f32_f16_e32 v4, v4
	v_cvt_f32_f16_e32 v5, v5
	v_cvt_f32_f16_e32 v6, v6
	v_cvt_f32_f16_e32 v7, v7
	s_nop 1
	v_mfma_f32_16x16x16_f16 v[4:7], v[28:29], v[18:19], v[4:7]
	ds_read_u16 v27, v123 offset:10016
	ds_read_u16 v28, v123 offset:10224
	ds_read_u16 v29, v34 offset:10016
	ds_read_u16 v32, v33 offset:10016
	s_nop 3
	v_cvt_f16_f32_e32 v4, v4
	v_cvt_f16_f32_e32 v5, v5
	v_cvt_f16_f32_e32 v6, v6
	v_cvt_f16_f32_e32 v7, v7
	s_waitcnt lgkmcnt(0)
	v_perm_b32 v29, v32, v29, s34
	v_perm_b32 v28, v28, v27, s34
	v_cvt_f32_f16_e32 v4, v4
	v_cvt_f32_f16_e32 v5, v5
	v_cvt_f32_f16_e32 v6, v6
	v_cvt_f32_f16_e32 v7, v7
	s_nop 1
	v_mfma_f32_16x16x16_f16 v[4:7], v[28:29], v[14:15], v[4:7]
	s_nop 7
	v_cvt_f16_f32_e32 v6, v6
	v_cvt_f16_f32_e32 v7, v7
	v_perm_b32 v27, v7, v6, s34
	ds_read_u16 v6, v123 offset:64
	ds_read_u16 v28, v123 offset:272
	;; [unrolled: 1-line block ×4, first 2 shown]
	s_waitcnt lgkmcnt(2)
	v_perm_b32 v6, v28, v6, s34
	s_waitcnt lgkmcnt(0)
	v_perm_b32 v7, v29, v7, s34
	ds_read_u16 v28, v123 offset:3392
	ds_read_u16 v32, v123 offset:3600
	;; [unrolled: 1-line block ×4, first 2 shown]
	v_mfma_f32_16x16x16_f16 v[6:9], v[6:7], v[22:23], v[94:97]
	s_waitcnt lgkmcnt(0)
	v_perm_b32 v29, v35, v29, s34
	v_perm_b32 v28, v32, v28, s34
	v_cvt_f32_f16_e32 v94, v11
	s_nop 3
	v_cvt_f16_f32_e32 v6, v6
	v_cvt_f16_f32_e32 v7, v7
	;; [unrolled: 1-line block ×4, first 2 shown]
	v_cvt_f32_f16_e32 v6, v6
	v_cvt_f32_f16_e32 v7, v7
	;; [unrolled: 1-line block ×4, first 2 shown]
	v_cvt_f32_f16_sdwa v95, v11 dst_sel:DWORD dst_unused:UNUSED_PAD src0_sel:WORD_1
	v_cvt_f32_f16_e32 v96, v10
	v_mfma_f32_16x16x16_f16 v[6:9], v[28:29], v[20:21], v[6:9]
	ds_read_u16 v28, v123 offset:6720
	ds_read_u16 v32, v123 offset:6928
	;; [unrolled: 1-line block ×4, first 2 shown]
	v_cvt_f32_f16_sdwa v97, v10 dst_sel:DWORD dst_unused:UNUSED_PAD src0_sel:WORD_1
	s_nop 2
	v_cvt_f16_f32_e32 v6, v6
	v_cvt_f16_f32_e32 v7, v7
	;; [unrolled: 1-line block ×4, first 2 shown]
	s_waitcnt lgkmcnt(0)
	v_perm_b32 v29, v35, v29, s34
	v_perm_b32 v28, v32, v28, s34
	v_cvt_f32_f16_e32 v6, v6
	v_cvt_f32_f16_e32 v7, v7
	;; [unrolled: 1-line block ×4, first 2 shown]
	s_nop 1
	v_mfma_f32_16x16x16_f16 v[6:9], v[28:29], v[18:19], v[6:9]
	ds_read_u16 v28, v123 offset:10048
	ds_read_u16 v32, v123 offset:10256
	;; [unrolled: 1-line block ×4, first 2 shown]
	s_nop 3
	v_cvt_f16_f32_e32 v6, v6
	v_cvt_f16_f32_e32 v7, v7
	;; [unrolled: 1-line block ×4, first 2 shown]
	s_waitcnt lgkmcnt(0)
	v_perm_b32 v29, v35, v29, s34
	v_perm_b32 v28, v32, v28, s34
	v_cvt_f32_f16_e32 v6, v6
	v_cvt_f32_f16_e32 v7, v7
	;; [unrolled: 1-line block ×4, first 2 shown]
	s_nop 1
	v_mfma_f32_16x16x16_f16 v[6:9], v[28:29], v[14:15], v[6:9]
	s_nop 7
	v_cvt_f16_f32_e32 v8, v8
	v_cvt_f16_f32_e32 v9, v9
	v_perm_b32 v28, v9, v8, s34
	ds_read_u16 v8, v123 offset:96
	ds_read_u16 v29, v123 offset:304
	;; [unrolled: 1-line block ×4, first 2 shown]
	s_waitcnt lgkmcnt(2)
	v_perm_b32 v8, v29, v8, s34
	s_waitcnt lgkmcnt(0)
	v_perm_b32 v9, v32, v9, s34
	ds_read_u16 v29, v123 offset:3424
	ds_read_u16 v32, v123 offset:3632
	;; [unrolled: 1-line block ×4, first 2 shown]
	v_mfma_f32_16x16x16_f16 v[8:11], v[8:9], v[22:23], v[94:97]
	s_waitcnt lgkmcnt(0)
	v_perm_b32 v37, v36, v35, s34
	v_perm_b32 v36, v32, v29, s34
	v_cvt_f32_f16_e32 v94, v13
	s_nop 3
	v_cvt_f16_f32_e32 v8, v8
	v_cvt_f16_f32_e32 v9, v9
	v_cvt_f16_f32_e32 v10, v10
	v_cvt_f16_f32_e32 v11, v11
	v_cvt_f32_f16_e32 v8, v8
	v_cvt_f32_f16_e32 v9, v9
	;; [unrolled: 1-line block ×4, first 2 shown]
	v_cvt_f32_f16_sdwa v95, v13 dst_sel:DWORD dst_unused:UNUSED_PAD src0_sel:WORD_1
	v_cvt_f32_f16_e32 v96, v12
	v_mfma_f32_16x16x16_f16 v[8:11], v[36:37], v[20:21], v[8:11]
	ds_read_u16 v29, v123 offset:6752
	ds_read_u16 v32, v123 offset:6960
	;; [unrolled: 1-line block ×4, first 2 shown]
	v_cvt_f32_f16_sdwa v97, v12 dst_sel:DWORD dst_unused:UNUSED_PAD src0_sel:WORD_1
	s_nop 2
	v_cvt_f16_f32_e32 v8, v8
	v_cvt_f16_f32_e32 v9, v9
	;; [unrolled: 1-line block ×4, first 2 shown]
	s_waitcnt lgkmcnt(0)
	v_perm_b32 v37, v36, v35, s34
	v_perm_b32 v36, v32, v29, s34
	v_cvt_f32_f16_e32 v8, v8
	v_cvt_f32_f16_e32 v9, v9
	;; [unrolled: 1-line block ×4, first 2 shown]
	s_nop 1
	v_mfma_f32_16x16x16_f16 v[8:11], v[36:37], v[18:19], v[8:11]
	ds_read_u16 v29, v123 offset:10080
	ds_read_u16 v32, v123 offset:10288
	;; [unrolled: 1-line block ×4, first 2 shown]
	s_nop 3
	v_cvt_f16_f32_e32 v8, v8
	v_cvt_f16_f32_e32 v9, v9
	;; [unrolled: 1-line block ×4, first 2 shown]
	s_waitcnt lgkmcnt(0)
	v_perm_b32 v37, v36, v35, s34
	v_perm_b32 v36, v32, v29, s34
	v_cvt_f32_f16_e32 v8, v8
	v_cvt_f32_f16_e32 v9, v9
	;; [unrolled: 1-line block ×4, first 2 shown]
	s_nop 1
	v_mfma_f32_16x16x16_f16 v[8:11], v[36:37], v[14:15], v[8:11]
	s_nop 7
	v_cvt_f16_f32_e32 v10, v10
	v_cvt_f16_f32_e32 v11, v11
	v_perm_b32 v29, v11, v10, s34
	ds_read_u16 v10, v123 offset:128
	ds_read_u16 v32, v123 offset:336
	;; [unrolled: 1-line block ×4, first 2 shown]
	s_waitcnt lgkmcnt(2)
	v_perm_b32 v10, v32, v10, s34
	s_waitcnt lgkmcnt(0)
	v_perm_b32 v11, v35, v11, s34
	ds_read_u16 v32, v123 offset:3456
	ds_read_u16 v35, v123 offset:3664
	;; [unrolled: 1-line block ×4, first 2 shown]
	v_mfma_f32_16x16x16_f16 v[10:13], v[10:11], v[22:23], v[94:97]
	s_waitcnt lgkmcnt(0)
	v_perm_b32 v37, v37, v36, s34
	v_perm_b32 v36, v35, v32, s34
	v_cvt_f32_f16_e32 v94, v31
	s_nop 3
	v_cvt_f16_f32_e32 v10, v10
	v_cvt_f16_f32_e32 v11, v11
	;; [unrolled: 1-line block ×4, first 2 shown]
	v_cvt_f32_f16_e32 v10, v10
	v_cvt_f32_f16_e32 v11, v11
	;; [unrolled: 1-line block ×4, first 2 shown]
	v_cvt_f32_f16_sdwa v95, v31 dst_sel:DWORD dst_unused:UNUSED_PAD src0_sel:WORD_1
	v_cvt_f32_f16_e32 v96, v30
	v_mfma_f32_16x16x16_f16 v[10:13], v[36:37], v[20:21], v[10:13]
	ds_read_u16 v32, v123 offset:6784
	ds_read_u16 v35, v123 offset:6992
	;; [unrolled: 1-line block ×4, first 2 shown]
	v_cvt_f32_f16_sdwa v97, v30 dst_sel:DWORD dst_unused:UNUSED_PAD src0_sel:WORD_1
	s_nop 2
	v_cvt_f16_f32_e32 v10, v10
	v_cvt_f16_f32_e32 v11, v11
	;; [unrolled: 1-line block ×4, first 2 shown]
	s_waitcnt lgkmcnt(0)
	v_perm_b32 v37, v37, v36, s34
	v_perm_b32 v36, v35, v32, s34
	v_cvt_f32_f16_e32 v10, v10
	v_cvt_f32_f16_e32 v11, v11
	;; [unrolled: 1-line block ×4, first 2 shown]
	s_nop 1
	v_mfma_f32_16x16x16_f16 v[10:13], v[36:37], v[18:19], v[10:13]
	ds_read_u16 v32, v123 offset:10112
	ds_read_u16 v35, v123 offset:10320
	ds_read_u16 v36, v34 offset:10112
	ds_read_u16 v37, v33 offset:10112
	s_nop 3
	v_cvt_f16_f32_e32 v10, v10
	v_cvt_f16_f32_e32 v11, v11
	;; [unrolled: 1-line block ×4, first 2 shown]
	s_waitcnt lgkmcnt(0)
	v_perm_b32 v37, v37, v36, s34
	v_perm_b32 v36, v35, v32, s34
	v_cvt_f32_f16_e32 v10, v10
	v_cvt_f32_f16_e32 v11, v11
	;; [unrolled: 1-line block ×4, first 2 shown]
	s_nop 1
	v_mfma_f32_16x16x16_f16 v[10:13], v[36:37], v[14:15], v[10:13]
	s_nop 7
	v_cvt_f16_f32_e32 v12, v12
	v_cvt_f16_f32_e32 v13, v13
	v_perm_b32 v32, v13, v12, s34
	ds_read_u16 v12, v123 offset:160
	ds_read_u16 v35, v123 offset:368
	;; [unrolled: 1-line block ×4, first 2 shown]
	s_waitcnt lgkmcnt(2)
	v_perm_b32 v12, v35, v12, s34
	s_waitcnt lgkmcnt(0)
	v_perm_b32 v13, v36, v13, s34
	ds_read_u16 v30, v123 offset:3488
	ds_read_u16 v31, v123 offset:3696
	;; [unrolled: 1-line block ×4, first 2 shown]
	v_mfma_f32_16x16x16_f16 v[94:97], v[12:13], v[22:23], v[94:97]
	s_nop 7
	v_cvt_f16_f32_e32 v12, v94
	v_cvt_f16_f32_e32 v13, v95
	;; [unrolled: 1-line block ×4, first 2 shown]
	v_cvt_f32_f16_e32 v94, v12
	v_cvt_f32_f16_e32 v95, v13
	s_waitcnt lgkmcnt(0)
	v_perm_b32 v13, v36, v35, s34
	v_perm_b32 v12, v31, v30, s34
	v_cvt_f32_f16_e32 v96, v22
	v_cvt_f32_f16_e32 v97, v23
	ds_read_u16 v30, v123 offset:6816
	ds_read_u16 v31, v123 offset:7024
	;; [unrolled: 1-line block ×4, first 2 shown]
	v_mfma_f32_16x16x16_f16 v[20:23], v[12:13], v[20:21], v[94:97]
	s_nop 7
	v_cvt_f16_f32_e32 v12, v20
	v_cvt_f16_f32_e32 v13, v21
	;; [unrolled: 1-line block ×4, first 2 shown]
	v_cvt_f32_f16_e32 v20, v12
	v_cvt_f32_f16_e32 v21, v13
	s_waitcnt lgkmcnt(0)
	v_perm_b32 v13, v36, v35, s34
	v_perm_b32 v12, v31, v30, s34
	v_cvt_f32_f16_e32 v22, v22
	v_cvt_f32_f16_e32 v23, v23
	s_nop 1
	v_mfma_f32_16x16x16_f16 v[18:21], v[12:13], v[18:19], v[20:23]
	ds_read_u16 v12, v123 offset:10144
	ds_read_u16 v13, v123 offset:10352
	s_nop 0
	ds_read_u16 v22, v34 offset:10144
	ds_read_u16 v23, v33 offset:10144
	s_waitcnt lgkmcnt(0)
	s_barrier
	s_nop 0
	v_cvt_f16_f32_e32 v18, v18
	v_cvt_f16_f32_e32 v19, v19
	;; [unrolled: 1-line block ×4, first 2 shown]
	v_perm_b32 v23, v23, v22, s34
	v_perm_b32 v22, v13, v12, s34
	v_cvt_f32_f16_e32 v18, v18
	v_cvt_f32_f16_e32 v19, v19
	;; [unrolled: 1-line block ×4, first 2 shown]
	s_nop 1
	v_mfma_f32_16x16x16_f16 v[12:15], v[22:23], v[14:15], v[18:21]
	s_nop 7
	v_cvt_f16_f32_e32 v14, v14
	v_cvt_f16_f32_e32 v15, v15
	v_perm_b32 v14, v15, v14, s34
	ds_bpermute_b32 v15, v24, v25
	s_waitcnt lgkmcnt(0)
	v_add_f32_e32 v15, v25, v15
	ds_bpermute_b32 v17, v17, v15
	s_waitcnt lgkmcnt(0)
	v_add_f32_e32 v17, v15, v17
	s_cbranch_vccnz .LBB14_251
; %bb.189:                              ;   in Loop: Header=BB14_12 Depth=1
	v_cvt_pk_f16_f32 v3, v2, v3
	v_lshlrev_b32_e32 v2, 2, v68
	v_readfirstlane_b32 s60, v92
	v_readfirstlane_b32 s61, v93
	v_cvt_pk_f16_f32 v4, v4, v5
	v_cvt_pk_f16_f32 v5, v6, v7
	v_max_f32_e32 v7, v16, v16
	v_cvt_pk_f16_f32 v8, v8, v9
	v_cvt_pk_f16_f32 v9, v10, v11
	global_load_dword v6, v2, s[60:61]
	v_cvt_pk_f16_f32 v10, v12, v13
	s_waitcnt vmcnt(0)
	v_max_f32_e32 v2, v6, v6
	v_max_f32_e32 v2, v7, v2
	v_sub_f32_e32 v7, v16, v2
	v_mul_f32_e32 v11, 0x3fb8aa3b, v7
	v_fma_f32 v12, v7, s11, -v11
	v_rndne_f32_e32 v13, v11
	v_fmac_f32_e32 v12, 0x32a5705f, v7
	v_sub_f32_e32 v11, v11, v13
	v_add_f32_e32 v11, v11, v12
	v_exp_f32_e32 v11, v11
	v_cvt_i32_f32_e32 v12, v13
	v_cmp_ngt_f32_e32 vcc, s3, v7
	v_ldexp_f32 v11, v11, v12
	s_nop 0
	v_cndmask_b32_e32 v11, 0, v11, vcc
	v_cmp_nlt_f32_e32 vcc, s2, v7
	v_sub_f32_e32 v12, v6, v2
	s_nop 0
	v_cndmask_b32_e32 v11, v189, v11, vcc
	v_cmp_le_f32_e32 vcc, s94, v7
	s_nop 1
	v_cndmask_b32_e32 v11, 0, v11, vcc
	v_cvt_f16_f32_e32 v6, v11
	v_cmp_ngt_f32_e32 vcc, s3, v12
	v_mul_u32_u24_e32 v13, 0x10001, v6
	v_pk_mul_f16 v7, v3, v13
	v_mul_f32_e32 v3, 0x3fb8aa3b, v12
	v_pk_mul_f16 v26, v26, v13
	v_pk_mul_f16 v6, v4, v13
	;; [unrolled: 1-line block ×11, first 2 shown]
	v_fma_f32 v10, v12, s11, -v3
	v_rndne_f32_e32 v13, v3
	v_fmac_f32_e32 v10, 0x32a5705f, v12
	v_sub_f32_e32 v3, v3, v13
	v_add_f32_e32 v3, v3, v10
	v_exp_f32_e32 v3, v3
	v_cvt_i32_f32_e32 v10, v13
	v_ldexp_f32 v3, v3, v10
	v_cndmask_b32_e32 v3, 0, v3, vcc
	v_cmp_nlt_f32_e32 vcc, s2, v12
	s_nop 1
	v_cndmask_b32_e32 v3, v189, v3, vcc
	v_fmac_f32_e32 v3, v17, v11
	v_mov_b64_e32 v[16:17], v[2:3]
	s_and_saveexec_b64 s[92:93], s[0:1]
.LBB14_190:                             ;   in Loop: Header=BB14_12 Depth=1
	ds_write2_b32 v173, v16, v17 offset0:48 offset1:49
.LBB14_191:                             ;   in Loop: Header=BB14_12 Depth=1
	s_or_b64 exec, exec, s[92:93]
	v_add_u32_e32 v2, v79, v140
	s_waitcnt lgkmcnt(0)
	s_barrier
	ds_write2_b32 v2, v7, v26 offset1:1
	ds_write2_b32 v2, v6, v27 offset0:8 offset1:9
	ds_write2_b32 v2, v5, v28 offset0:16 offset1:17
	;; [unrolled: 1-line block ×5, first 2 shown]
	v_mov_b32_e32 v2, 50
	s_waitcnt lgkmcnt(0)
	s_barrier
	s_and_saveexec_b64 s[92:93], s[90:91]
	s_cbranch_execz .LBB14_193
; %bb.192:                              ;   in Loop: Header=BB14_12 Depth=1
	ds_read_b32 v6, v154 offset:196
	ds_read_b32 v4, v155
	v_mad_u64_u32 v[2:3], s[60:61], v81, s9, v[78:79]
	v_mad_u64_u32 v[2:3], s[60:61], v2, 48, v[40:41]
	s_waitcnt lgkmcnt(0)
	v_cvt_f32_f16_sdwa v5, v4 dst_sel:DWORD dst_unused:UNUSED_PAD src0_sel:WORD_1
	v_cvt_f32_f16_e32 v4, v4
	v_ashrrev_i32_e32 v3, 31, v2
	v_lshl_add_u64 v[2:3], v[2:3], 3, v[90:91]
	v_pk_add_f32 v[4:5], v[4:5], 0 op_sel_hi:[1,0]
	s_nop 0
	v_div_scale_f32 v7, s[60:61], v6, v6, v5
	v_rcp_f32_e32 v8, v7
	s_nop 0
	v_fma_f32 v9, -v7, v8, 1.0
	v_fmac_f32_e32 v8, v9, v8
	v_div_scale_f32 v9, vcc, v5, v6, v5
	v_mul_f32_e32 v10, v9, v8
	v_fma_f32 v11, -v7, v10, v9
	v_fmac_f32_e32 v10, v11, v8
	v_fma_f32 v7, -v7, v10, v9
	v_div_fmas_f32 v7, v7, v8, v10
	v_div_fixup_f32 v5, v7, v6, v5
	v_div_scale_f32 v7, s[60:61], v6, v6, v4
	v_rcp_f32_e32 v8, v7
	s_nop 0
	v_fma_f32 v9, -v7, v8, 1.0
	v_fmac_f32_e32 v8, v9, v8
	v_div_scale_f32 v9, vcc, v4, v6, v4
	v_mul_f32_e32 v10, v9, v8
	v_fma_f32 v11, -v7, v10, v9
	v_fmac_f32_e32 v10, v11, v8
	v_fma_f32 v7, -v7, v10, v9
	v_div_fmas_f32 v7, v7, v8, v10
	v_div_fixup_f32 v4, v7, v6, v4
	global_store_dwordx2 v[2:3], v[4:5], off
	v_mov_b32_e32 v2, 0
.LBB14_193:                             ;   in Loop: Header=BB14_12 Depth=1
	s_or_b64 exec, exec, s[92:93]
	v_cmp_gt_i32_e32 vcc, 50, v2
	s_mov_b64 s[92:93], -1
	s_and_saveexec_b64 s[90:91], vcc
; %bb.194:                              ;   in Loop: Header=BB14_12 Depth=1
	v_cmp_eq_u32_e32 vcc, 0, v2
	s_orn2_b64 s[92:93], vcc, exec
; %bb.195:                              ;   in Loop: Header=BB14_12 Depth=1
	s_or_b64 exec, exec, s[90:91]
	s_and_saveexec_b64 s[90:91], s[92:93]
	s_cbranch_execz .LBB14_228
; %bb.196:                              ;   in Loop: Header=BB14_12 Depth=1
	v_mov_b32_e32 v2, 50
	s_and_saveexec_b64 s[92:93], s[88:89]
	s_cbranch_execz .LBB14_198
; %bb.197:                              ;   in Loop: Header=BB14_12 Depth=1
	ds_read_b32 v6, v156 offset:196
	ds_read_b32 v4, v157
	v_mad_u64_u32 v[2:3], s[60:61], v192, s9, v[78:79]
	v_mad_u64_u32 v[2:3], s[60:61], v2, 48, v[40:41]
	s_waitcnt lgkmcnt(0)
	v_cvt_f32_f16_sdwa v5, v4 dst_sel:DWORD dst_unused:UNUSED_PAD src0_sel:WORD_1
	v_cvt_f32_f16_e32 v4, v4
	v_ashrrev_i32_e32 v3, 31, v2
	v_lshl_add_u64 v[2:3], v[2:3], 3, v[90:91]
	v_pk_add_f32 v[4:5], v[4:5], 0 op_sel_hi:[1,0]
	s_nop 0
	v_div_scale_f32 v7, s[60:61], v6, v6, v5
	v_rcp_f32_e32 v8, v7
	s_nop 0
	v_fma_f32 v9, -v7, v8, 1.0
	v_fmac_f32_e32 v8, v9, v8
	v_div_scale_f32 v9, vcc, v5, v6, v5
	v_mul_f32_e32 v10, v9, v8
	v_fma_f32 v11, -v7, v10, v9
	v_fmac_f32_e32 v10, v11, v8
	v_fma_f32 v7, -v7, v10, v9
	v_div_fmas_f32 v7, v7, v8, v10
	v_div_fixup_f32 v5, v7, v6, v5
	v_div_scale_f32 v7, s[60:61], v6, v6, v4
	v_rcp_f32_e32 v8, v7
	s_nop 0
	v_fma_f32 v9, -v7, v8, 1.0
	v_fmac_f32_e32 v8, v9, v8
	v_div_scale_f32 v9, vcc, v4, v6, v4
	v_mul_f32_e32 v10, v9, v8
	v_fma_f32 v11, -v7, v10, v9
	v_fmac_f32_e32 v10, v11, v8
	v_fma_f32 v7, -v7, v10, v9
	v_div_fmas_f32 v7, v7, v8, v10
	v_div_fixup_f32 v4, v7, v6, v4
	global_store_dwordx2 v[2:3], v[4:5], off
	v_mov_b32_e32 v2, 0
.LBB14_198:                             ;   in Loop: Header=BB14_12 Depth=1
	s_or_b64 exec, exec, s[92:93]
	v_cmp_gt_i32_e32 vcc, 50, v2
	s_mov_b64 s[88:89], -1
	s_and_saveexec_b64 s[92:93], vcc
; %bb.199:                              ;   in Loop: Header=BB14_12 Depth=1
	v_cmp_eq_u32_e32 vcc, 0, v2
	s_orn2_b64 s[88:89], vcc, exec
; %bb.200:                              ;   in Loop: Header=BB14_12 Depth=1
	s_or_b64 exec, exec, s[92:93]
	s_and_b64 exec, exec, s[88:89]
	s_cbranch_execz .LBB14_228
; %bb.201:                              ;   in Loop: Header=BB14_12 Depth=1
	v_mov_b32_e32 v2, 50
	s_and_saveexec_b64 s[88:89], s[86:87]
	s_cbranch_execz .LBB14_203
; %bb.202:                              ;   in Loop: Header=BB14_12 Depth=1
	ds_read_b32 v6, v141 offset:196
	ds_read_b32 v4, v158
	v_mad_u64_u32 v[2:3], s[60:61], v191, s9, v[78:79]
	v_mad_u64_u32 v[2:3], s[60:61], v2, 48, v[40:41]
	s_waitcnt lgkmcnt(0)
	v_cvt_f32_f16_sdwa v5, v4 dst_sel:DWORD dst_unused:UNUSED_PAD src0_sel:WORD_1
	v_cvt_f32_f16_e32 v4, v4
	v_ashrrev_i32_e32 v3, 31, v2
	v_lshl_add_u64 v[2:3], v[2:3], 3, v[90:91]
	v_pk_add_f32 v[4:5], v[4:5], 0 op_sel_hi:[1,0]
	s_nop 0
	v_div_scale_f32 v7, s[60:61], v6, v6, v5
	v_rcp_f32_e32 v8, v7
	s_nop 0
	v_fma_f32 v9, -v7, v8, 1.0
	v_fmac_f32_e32 v8, v9, v8
	v_div_scale_f32 v9, vcc, v5, v6, v5
	v_mul_f32_e32 v10, v9, v8
	v_fma_f32 v11, -v7, v10, v9
	v_fmac_f32_e32 v10, v11, v8
	v_fma_f32 v7, -v7, v10, v9
	v_div_fmas_f32 v7, v7, v8, v10
	v_div_fixup_f32 v5, v7, v6, v5
	v_div_scale_f32 v7, s[60:61], v6, v6, v4
	v_rcp_f32_e32 v8, v7
	s_nop 0
	v_fma_f32 v9, -v7, v8, 1.0
	v_fmac_f32_e32 v8, v9, v8
	v_div_scale_f32 v9, vcc, v4, v6, v4
	v_mul_f32_e32 v10, v9, v8
	v_fma_f32 v11, -v7, v10, v9
	v_fmac_f32_e32 v10, v11, v8
	v_fma_f32 v7, -v7, v10, v9
	v_div_fmas_f32 v7, v7, v8, v10
	v_div_fixup_f32 v4, v7, v6, v4
	global_store_dwordx2 v[2:3], v[4:5], off
	v_mov_b32_e32 v2, 0
.LBB14_203:                             ;   in Loop: Header=BB14_12 Depth=1
	s_or_b64 exec, exec, s[88:89]
	v_cmp_gt_i32_e32 vcc, 50, v2
	s_mov_b64 s[86:87], -1
	s_and_saveexec_b64 s[88:89], vcc
; %bb.204:                              ;   in Loop: Header=BB14_12 Depth=1
	v_cmp_eq_u32_e32 vcc, 0, v2
	s_orn2_b64 s[86:87], vcc, exec
; %bb.205:                              ;   in Loop: Header=BB14_12 Depth=1
	s_or_b64 exec, exec, s[88:89]
	s_and_b64 exec, exec, s[86:87]
	;; [unrolled: 54-line block ×4, first 2 shown]
	s_cbranch_execz .LBB14_228
; %bb.216:                              ;   in Loop: Header=BB14_12 Depth=1
	v_mov_b32_e32 v2, 50
	s_and_saveexec_b64 s[82:83], s[80:81]
	s_cbranch_execz .LBB14_218
; %bb.217:                              ;   in Loop: Header=BB14_12 Depth=1
	ds_read_b32 v2, v163
	ds_read_b32 v6, v162 offset:196
	v_mad_u64_u32 v[4:5], s[60:61], v118, s9, v[78:79]
	v_mad_u64_u32 v[4:5], s[60:61], v4, 48, v[40:41]
	s_waitcnt lgkmcnt(1)
	v_cvt_f32_f16_sdwa v3, v2 dst_sel:DWORD dst_unused:UNUSED_PAD src0_sel:WORD_1
	v_cvt_f32_f16_e32 v2, v2
	v_ashrrev_i32_e32 v5, 31, v4
	v_lshl_add_u64 v[4:5], v[4:5], 3, v[90:91]
	v_pk_add_f32 v[2:3], v[2:3], 0 op_sel_hi:[1,0]
	s_waitcnt lgkmcnt(0)
	v_div_scale_f32 v7, s[60:61], v6, v6, v3
	v_rcp_f32_e32 v8, v7
	s_nop 0
	v_fma_f32 v9, -v7, v8, 1.0
	v_fmac_f32_e32 v8, v9, v8
	v_div_scale_f32 v9, vcc, v3, v6, v3
	v_mul_f32_e32 v10, v9, v8
	v_fma_f32 v11, -v7, v10, v9
	v_fmac_f32_e32 v10, v11, v8
	v_fma_f32 v7, -v7, v10, v9
	v_div_scale_f32 v9, s[60:61], v6, v6, v2
	v_rcp_f32_e32 v11, v9
	v_div_fmas_f32 v7, v7, v8, v10
	v_div_fixup_f32 v3, v7, v6, v3
	v_fma_f32 v7, -v9, v11, 1.0
	v_fmac_f32_e32 v11, v7, v11
	v_div_scale_f32 v7, vcc, v2, v6, v2
	v_mul_f32_e32 v8, v7, v11
	v_fma_f32 v10, -v9, v8, v7
	v_fmac_f32_e32 v8, v10, v11
	v_fma_f32 v7, -v9, v8, v7
	v_div_fmas_f32 v7, v7, v11, v8
	v_div_fixup_f32 v2, v7, v6, v2
	global_store_dwordx2 v[4:5], v[2:3], off
	v_mov_b32_e32 v2, 0
.LBB14_218:                             ;   in Loop: Header=BB14_12 Depth=1
	s_or_b64 exec, exec, s[82:83]
	v_cmp_gt_i32_e32 vcc, 50, v2
	s_mov_b64 s[80:81], -1
	s_and_saveexec_b64 s[82:83], vcc
; %bb.219:                              ;   in Loop: Header=BB14_12 Depth=1
	v_cmp_eq_u32_e32 vcc, 0, v2
	s_orn2_b64 s[80:81], vcc, exec
; %bb.220:                              ;   in Loop: Header=BB14_12 Depth=1
	s_or_b64 exec, exec, s[82:83]
	s_and_b64 exec, exec, s[80:81]
	s_cbranch_execz .LBB14_228
; %bb.221:                              ;   in Loop: Header=BB14_12 Depth=1
	v_mov_b32_e32 v2, 50
	s_and_saveexec_b64 s[80:81], s[78:79]
	s_cbranch_execz .LBB14_223
; %bb.222:                              ;   in Loop: Header=BB14_12 Depth=1
	ds_read_b32 v2, v164
	ds_read_b32 v6, v143 offset:196
	v_mad_u64_u32 v[4:5], s[60:61], v117, s9, v[78:79]
	v_mad_u64_u32 v[4:5], s[60:61], v4, 48, v[40:41]
	s_waitcnt lgkmcnt(1)
	v_cvt_f32_f16_sdwa v3, v2 dst_sel:DWORD dst_unused:UNUSED_PAD src0_sel:WORD_1
	v_cvt_f32_f16_e32 v2, v2
	v_ashrrev_i32_e32 v5, 31, v4
	v_lshl_add_u64 v[4:5], v[4:5], 3, v[90:91]
	v_pk_add_f32 v[2:3], v[2:3], 0 op_sel_hi:[1,0]
	s_waitcnt lgkmcnt(0)
	v_div_scale_f32 v7, s[60:61], v6, v6, v3
	v_rcp_f32_e32 v8, v7
	s_nop 0
	v_fma_f32 v9, -v7, v8, 1.0
	v_fmac_f32_e32 v8, v9, v8
	v_div_scale_f32 v9, vcc, v3, v6, v3
	v_mul_f32_e32 v10, v9, v8
	v_fma_f32 v11, -v7, v10, v9
	v_fmac_f32_e32 v10, v11, v8
	v_fma_f32 v7, -v7, v10, v9
	v_div_scale_f32 v9, s[60:61], v6, v6, v2
	v_rcp_f32_e32 v11, v9
	v_div_fmas_f32 v7, v7, v8, v10
	v_div_fixup_f32 v3, v7, v6, v3
	v_fma_f32 v7, -v9, v11, 1.0
	v_fmac_f32_e32 v11, v7, v11
	v_div_scale_f32 v7, vcc, v2, v6, v2
	v_mul_f32_e32 v8, v7, v11
	v_fma_f32 v10, -v9, v8, v7
	v_fmac_f32_e32 v8, v10, v11
	v_fma_f32 v7, -v9, v8, v7
	v_div_fmas_f32 v7, v7, v11, v8
	v_div_fixup_f32 v2, v7, v6, v2
	global_store_dwordx2 v[4:5], v[2:3], off
	v_mov_b32_e32 v2, 0
.LBB14_223:                             ;   in Loop: Header=BB14_12 Depth=1
	s_or_b64 exec, exec, s[80:81]
	v_cmp_gt_i32_e32 vcc, 50, v2
	s_mov_b64 s[78:79], -1
	s_and_saveexec_b64 s[80:81], vcc
; %bb.224:                              ;   in Loop: Header=BB14_12 Depth=1
	v_cmp_eq_u32_e32 vcc, 0, v2
	s_orn2_b64 s[78:79], vcc, exec
; %bb.225:                              ;   in Loop: Header=BB14_12 Depth=1
	s_or_b64 exec, exec, s[80:81]
	s_and_b64 exec, exec, s[78:79]
	s_cbranch_execz .LBB14_228
; %bb.226:                              ;   in Loop: Header=BB14_12 Depth=1
	s_and_b64 exec, exec, s[76:77]
	s_cbranch_execz .LBB14_228
; %bb.227:                              ;   in Loop: Header=BB14_12 Depth=1
	ds_read_b32 v2, v166
	ds_read_b32 v6, v165 offset:196
	v_mad_u64_u32 v[4:5], s[60:61], v116, s9, v[78:79]
	v_mad_u64_u32 v[4:5], s[60:61], v4, 48, v[40:41]
	s_waitcnt lgkmcnt(1)
	v_cvt_f32_f16_sdwa v3, v2 dst_sel:DWORD dst_unused:UNUSED_PAD src0_sel:WORD_1
	v_cvt_f32_f16_e32 v2, v2
	v_ashrrev_i32_e32 v5, 31, v4
	v_lshl_add_u64 v[4:5], v[4:5], 3, v[90:91]
	v_pk_add_f32 v[2:3], v[2:3], 0 op_sel_hi:[1,0]
	s_waitcnt lgkmcnt(0)
	v_div_scale_f32 v7, s[60:61], v6, v6, v3
	v_rcp_f32_e32 v8, v7
	s_nop 0
	v_fma_f32 v9, -v7, v8, 1.0
	v_fmac_f32_e32 v8, v9, v8
	v_div_scale_f32 v9, vcc, v3, v6, v3
	v_mul_f32_e32 v10, v9, v8
	v_fma_f32 v11, -v7, v10, v9
	v_fmac_f32_e32 v10, v11, v8
	v_fma_f32 v7, -v7, v10, v9
	v_div_scale_f32 v9, s[60:61], v6, v6, v2
	v_rcp_f32_e32 v11, v9
	v_div_fmas_f32 v7, v7, v8, v10
	v_div_fixup_f32 v3, v7, v6, v3
	v_fma_f32 v7, -v9, v11, 1.0
	v_fmac_f32_e32 v11, v7, v11
	v_div_scale_f32 v7, vcc, v2, v6, v2
	v_mul_f32_e32 v8, v7, v11
	v_fma_f32 v10, -v9, v8, v7
	v_fmac_f32_e32 v8, v10, v11
	v_fma_f32 v7, -v9, v8, v7
	v_div_fmas_f32 v7, v7, v11, v8
	v_div_fixup_f32 v2, v7, v6, v2
	global_store_dwordx2 v[4:5], v[2:3], off
.LBB14_228:                             ;   in Loop: Header=BB14_12 Depth=1
	s_or_b64 exec, exec, s[90:91]
	v_mov_b32_e32 v2, 50
	s_and_saveexec_b64 s[76:77], s[74:75]
	s_cbranch_execz .LBB14_230
; %bb.229:                              ;   in Loop: Header=BB14_12 Depth=1
	ds_read_b32 v2, v149 offset:128
	ds_read_b32 v6, v148 offset:196
	v_mad_u64_u32 v[4:5], s[60:61], v115, s9, v[74:75]
	v_mul_lo_u32 v4, v4, 48
	s_waitcnt lgkmcnt(1)
	v_cvt_f32_f16_sdwa v3, v2 dst_sel:DWORD dst_unused:UNUSED_PAD src0_sel:WORD_1
	v_cvt_f32_f16_e32 v2, v2
	v_ashrrev_i32_e32 v5, 31, v4
	v_or_b32_e32 v4, v4, v38
	v_lshl_add_u64 v[4:5], v[4:5], 3, v[90:91]
	v_pk_add_f32 v[2:3], v[2:3], 0 op_sel_hi:[1,0]
	s_waitcnt lgkmcnt(0)
	v_div_scale_f32 v7, s[60:61], v6, v6, v3
	v_rcp_f32_e32 v8, v7
	s_nop 0
	v_fma_f32 v9, -v7, v8, 1.0
	v_fmac_f32_e32 v8, v9, v8
	v_div_scale_f32 v9, vcc, v3, v6, v3
	v_mul_f32_e32 v10, v9, v8
	v_fma_f32 v11, -v7, v10, v9
	v_fmac_f32_e32 v10, v11, v8
	v_fma_f32 v7, -v7, v10, v9
	v_div_scale_f32 v9, s[60:61], v6, v6, v2
	v_rcp_f32_e32 v11, v9
	v_div_fmas_f32 v7, v7, v8, v10
	v_div_fixup_f32 v3, v7, v6, v3
	v_fma_f32 v7, -v9, v11, 1.0
	v_fmac_f32_e32 v11, v7, v11
	v_div_scale_f32 v7, vcc, v2, v6, v2
	v_mul_f32_e32 v8, v7, v11
	v_fma_f32 v10, -v9, v8, v7
	v_fmac_f32_e32 v8, v10, v11
	v_fma_f32 v7, -v9, v8, v7
	v_div_fmas_f32 v7, v7, v11, v8
	v_div_fixup_f32 v2, v7, v6, v2
	global_store_dwordx2 v[4:5], v[2:3], off offset:256
	v_mov_b32_e32 v2, 0
.LBB14_230:                             ;   in Loop: Header=BB14_12 Depth=1
	s_or_b64 exec, exec, s[76:77]
	v_cmp_gt_i32_e32 vcc, 50, v2
	s_mov_b64 s[76:77], -1
	s_and_saveexec_b64 s[74:75], vcc
; %bb.231:                              ;   in Loop: Header=BB14_12 Depth=1
	v_cmp_eq_u32_e32 vcc, 0, v2
	s_orn2_b64 s[76:77], vcc, exec
; %bb.232:                              ;   in Loop: Header=BB14_12 Depth=1
	s_or_b64 exec, exec, s[74:75]
                                        ; implicit-def: $vgpr4_vgpr5
                                        ; implicit-def: $vgpr2
	s_and_saveexec_b64 s[74:75], s[76:77]
	s_cbranch_execz .LBB14_248
; %bb.233:                              ;   in Loop: Header=BB14_12 Depth=1
	v_mov_b32_e32 v2, 50
	s_and_saveexec_b64 s[76:77], s[72:73]
	s_cbranch_execz .LBB14_235
; %bb.234:                              ;   in Loop: Header=BB14_12 Depth=1
	ds_read_b32 v2, v150 offset:128
	ds_read_b32 v6, v144 offset:196
	v_mad_u64_u32 v[4:5], s[60:61], v114, s9, v[74:75]
	v_mul_lo_u32 v4, v4, 48
	s_waitcnt lgkmcnt(1)
	v_cvt_f32_f16_sdwa v3, v2 dst_sel:DWORD dst_unused:UNUSED_PAD src0_sel:WORD_1
	v_cvt_f32_f16_e32 v2, v2
	v_ashrrev_i32_e32 v5, 31, v4
	v_or_b32_e32 v4, v4, v38
	v_lshl_add_u64 v[4:5], v[4:5], 3, v[90:91]
	v_pk_add_f32 v[2:3], v[2:3], 0 op_sel_hi:[1,0]
	s_waitcnt lgkmcnt(0)
	v_div_scale_f32 v7, s[60:61], v6, v6, v3
	v_rcp_f32_e32 v8, v7
	s_nop 0
	v_fma_f32 v9, -v7, v8, 1.0
	v_fmac_f32_e32 v8, v9, v8
	v_div_scale_f32 v9, vcc, v3, v6, v3
	v_mul_f32_e32 v10, v9, v8
	v_fma_f32 v11, -v7, v10, v9
	v_fmac_f32_e32 v10, v11, v8
	v_fma_f32 v7, -v7, v10, v9
	v_div_scale_f32 v9, s[60:61], v6, v6, v2
	v_rcp_f32_e32 v11, v9
	v_div_fmas_f32 v7, v7, v8, v10
	v_div_fixup_f32 v3, v7, v6, v3
	v_fma_f32 v7, -v9, v11, 1.0
	v_fmac_f32_e32 v11, v7, v11
	v_div_scale_f32 v7, vcc, v2, v6, v2
	v_mul_f32_e32 v8, v7, v11
	v_fma_f32 v10, -v9, v8, v7
	v_fmac_f32_e32 v8, v10, v11
	v_fma_f32 v7, -v9, v8, v7
	v_div_fmas_f32 v7, v7, v11, v8
	v_div_fixup_f32 v2, v7, v6, v2
	global_store_dwordx2 v[4:5], v[2:3], off offset:256
	v_mov_b32_e32 v2, 0
.LBB14_235:                             ;   in Loop: Header=BB14_12 Depth=1
	s_or_b64 exec, exec, s[76:77]
	v_cmp_gt_i32_e32 vcc, 50, v2
	s_mov_b64 s[78:79], -1
	s_and_saveexec_b64 s[72:73], vcc
; %bb.236:                              ;   in Loop: Header=BB14_12 Depth=1
	v_cmp_eq_u32_e32 vcc, 0, v2
	s_orn2_b64 s[78:79], vcc, exec
; %bb.237:                              ;   in Loop: Header=BB14_12 Depth=1
	s_or_b64 exec, exec, s[72:73]
	s_mov_b64 s[76:77], s[6:7]
                                        ; implicit-def: $vgpr4_vgpr5
                                        ; implicit-def: $vgpr2
	s_and_saveexec_b64 s[72:73], s[78:79]
	s_cbranch_execz .LBB14_247
; %bb.238:                              ;   in Loop: Header=BB14_12 Depth=1
	v_mov_b32_e32 v2, 50
	s_and_saveexec_b64 s[76:77], s[70:71]
	s_cbranch_execz .LBB14_240
; %bb.239:                              ;   in Loop: Header=BB14_12 Depth=1
	ds_read_b32 v2, v151 offset:128
	ds_read_b32 v6, v145 offset:196
	v_mad_u64_u32 v[4:5], s[60:61], v113, s9, v[74:75]
	v_mul_lo_u32 v4, v4, 48
	s_waitcnt lgkmcnt(1)
	v_cvt_f32_f16_sdwa v3, v2 dst_sel:DWORD dst_unused:UNUSED_PAD src0_sel:WORD_1
	v_cvt_f32_f16_e32 v2, v2
	v_ashrrev_i32_e32 v5, 31, v4
	v_or_b32_e32 v4, v4, v38
	v_lshl_add_u64 v[4:5], v[4:5], 3, v[90:91]
	v_pk_add_f32 v[2:3], v[2:3], 0 op_sel_hi:[1,0]
	s_waitcnt lgkmcnt(0)
	v_div_scale_f32 v7, s[60:61], v6, v6, v3
	v_rcp_f32_e32 v8, v7
	s_nop 0
	v_fma_f32 v9, -v7, v8, 1.0
	v_fmac_f32_e32 v8, v9, v8
	v_div_scale_f32 v9, vcc, v3, v6, v3
	v_mul_f32_e32 v10, v9, v8
	v_fma_f32 v11, -v7, v10, v9
	v_fmac_f32_e32 v10, v11, v8
	v_fma_f32 v7, -v7, v10, v9
	v_div_scale_f32 v9, s[60:61], v6, v6, v2
	v_rcp_f32_e32 v11, v9
	v_div_fmas_f32 v7, v7, v8, v10
	v_div_fixup_f32 v3, v7, v6, v3
	v_fma_f32 v7, -v9, v11, 1.0
	v_fmac_f32_e32 v11, v7, v11
	v_div_scale_f32 v7, vcc, v2, v6, v2
	v_mul_f32_e32 v8, v7, v11
	v_fma_f32 v10, -v9, v8, v7
	v_fmac_f32_e32 v8, v10, v11
	v_fma_f32 v7, -v9, v8, v7
	v_div_fmas_f32 v7, v7, v11, v8
	v_div_fixup_f32 v2, v7, v6, v2
	global_store_dwordx2 v[4:5], v[2:3], off offset:256
	v_mov_b32_e32 v2, 0
.LBB14_240:                             ;   in Loop: Header=BB14_12 Depth=1
	s_or_b64 exec, exec, s[76:77]
	v_cmp_gt_i32_e32 vcc, 50, v2
	s_mov_b64 s[78:79], -1
	s_and_saveexec_b64 s[70:71], vcc
; %bb.241:                              ;   in Loop: Header=BB14_12 Depth=1
	v_cmp_eq_u32_e32 vcc, 0, v2
	s_orn2_b64 s[78:79], vcc, exec
; %bb.242:                              ;   in Loop: Header=BB14_12 Depth=1
	s_or_b64 exec, exec, s[70:71]
	s_mov_b64 s[76:77], s[6:7]
                                        ; implicit-def: $vgpr4_vgpr5
                                        ; implicit-def: $vgpr2
	s_and_saveexec_b64 s[70:71], s[78:79]
	s_cbranch_execz .LBB14_246
; %bb.243:                              ;   in Loop: Header=BB14_12 Depth=1
	s_mov_b64 s[78:79], s[6:7]
                                        ; implicit-def: $vgpr4_vgpr5
                                        ; implicit-def: $vgpr2
	s_and_saveexec_b64 s[76:77], s[4:5]
	s_cbranch_execz .LBB14_245
; %bb.244:                              ;   in Loop: Header=BB14_12 Depth=1
	ds_read_b32 v2, v152 offset:128
	ds_read_b32 v6, v146 offset:196
	s_or_b64 s[78:79], s[6:7], exec
	s_waitcnt lgkmcnt(1)
	v_cvt_f32_f16_sdwa v5, v2 dst_sel:DWORD dst_unused:UNUSED_PAD src0_sel:WORD_1
	v_cvt_f32_f16_e32 v4, v2
	v_mad_u64_u32 v[2:3], s[4:5], v112, s9, v[74:75]
	v_pk_add_f32 v[4:5], v[4:5], 0 op_sel_hi:[1,0]
	s_waitcnt lgkmcnt(0)
	v_div_scale_f32 v3, s[4:5], v6, v6, v5
	v_rcp_f32_e32 v8, v3
	v_div_scale_f32 v7, vcc, v5, v6, v5
	v_div_scale_f32 v9, s[4:5], v6, v6, v4
	v_fma_f32 v11, -v3, v8, 1.0
	v_fmac_f32_e32 v8, v11, v8
	v_mul_f32_e32 v11, v7, v8
	v_rcp_f32_e32 v10, v9
	v_fma_f32 v12, -v3, v11, v7
	v_fmac_f32_e32 v11, v12, v8
	v_fma_f32 v3, -v3, v11, v7
	v_div_fmas_f32 v3, v3, v8, v11
	v_div_fixup_f32 v5, v3, v6, v5
	v_fma_f32 v3, -v9, v10, 1.0
	v_fmac_f32_e32 v10, v3, v10
	v_div_scale_f32 v3, vcc, v4, v6, v4
	v_mul_f32_e32 v7, v3, v10
	v_fma_f32 v8, -v9, v7, v3
	v_fmac_f32_e32 v7, v8, v10
	v_fma_f32 v3, -v9, v7, v3
	v_div_fmas_f32 v3, v3, v10, v7
	v_div_fixup_f32 v4, v3, v6, v4
.LBB14_245:                             ;   in Loop: Header=BB14_12 Depth=1
	s_or_b64 exec, exec, s[76:77]
	s_andn2_b64 s[4:5], s[6:7], exec
	s_and_b64 s[60:61], s[78:79], exec
	s_or_b64 s[76:77], s[4:5], s[60:61]
.LBB14_246:                             ;   in Loop: Header=BB14_12 Depth=1
	s_or_b64 exec, exec, s[70:71]
	s_andn2_b64 s[4:5], s[6:7], exec
	s_and_b64 s[60:61], s[76:77], exec
	s_or_b64 s[76:77], s[4:5], s[60:61]
.LBB14_247:                             ;   in Loop: Header=BB14_12 Depth=1
	s_or_b64 exec, exec, s[72:73]
	s_andn2_b64 s[4:5], s[6:7], exec
	s_and_b64 s[6:7], s[76:77], exec
	s_or_b64 s[6:7], s[4:5], s[6:7]
.LBB14_248:                             ;   in Loop: Header=BB14_12 Depth=1
	s_or_b64 exec, exec, s[74:75]
.LBB14_249:                             ;   in Loop: Header=BB14_12 Depth=1
	s_and_saveexec_b64 s[4:5], s[6:7]
	s_cbranch_execz .LBB14_11
; %bb.250:                              ;   in Loop: Header=BB14_12 Depth=1
	v_mul_lo_u32 v2, v2, 48
	v_ashrrev_i32_e32 v3, 31, v2
	v_or_b32_e32 v2, v2, v38
	v_lshl_add_u64 v[2:3], v[2:3], 3, v[90:91]
	global_store_dwordx2 v[2:3], v[4:5], off offset:256
	s_branch .LBB14_11
.LBB14_251:                             ;   in Loop: Header=BB14_12 Depth=1
	v_cvt_f16_f32_e32 v2, v2
	v_cvt_f16_f32_e32 v3, v3
	v_cvt_f16_f32_e32 v15, v4
	v_cvt_f16_f32_e32 v18, v5
	v_cvt_f16_f32_e32 v5, v6
	v_cvt_f16_f32_e32 v6, v7
	v_cvt_f16_f32_e32 v4, v8
	v_cvt_f16_f32_e32 v7, v9
	v_cvt_f16_f32_e32 v8, v10
	v_cvt_f16_f32_e32 v9, v11
	v_cvt_f16_f32_e32 v10, v12
	v_cvt_f16_f32_e32 v11, v13
	v_perm_b32 v4, v7, v4, s34
	v_perm_b32 v5, v6, v5, s34
	;; [unrolled: 1-line block ×6, first 2 shown]
	s_and_saveexec_b64 s[92:93], s[0:1]
	s_cbranch_execnz .LBB14_190
	s_branch .LBB14_191
.LBB14_252:
	s_andn2_b64 vcc, exec, s[4:5]
	s_cbranch_vccnz .LBB14_313
; %bb.253:
	s_abs_i32 s0, s97
	v_cvt_f32_u32_e32 v2, s0
	s_sub_i32 s3, 0, s0
	s_abs_i32 s2, s26
	s_xor_b32 s1, s26, s97
	v_rcp_iflag_f32_e32 v2, v2
	s_ashr_i32 s1, s1, 31
	v_mov_b32_e32 v12, s35
	v_mul_f32_e32 v2, 0x4f7ffffe, v2
	v_cvt_u32_f32_e32 v2, v2
	s_nop 0
	v_readfirstlane_b32 s4, v2
	s_mul_i32 s3, s3, s4
	s_mul_hi_u32 s3, s4, s3
	s_add_i32 s4, s4, s3
	s_mul_hi_u32 s3, s2, s4
	s_mul_i32 s4, s3, s0
	s_sub_i32 s2, s2, s4
	s_add_i32 s5, s3, 1
	s_sub_i32 s4, s2, s0
	s_cmp_ge_u32 s2, s0
	s_cselect_b32 s3, s5, s3
	s_cselect_b32 s2, s4, s2
	s_add_i32 s4, s3, 1
	s_cmp_ge_u32 s2, s0
	s_cselect_b32 s0, s4, s3
	s_abs_i32 s3, s96
	v_cvt_f32_u32_e32 v2, s3
	s_xor_b32 s0, s0, s1
	s_sub_i32 s4, 0, s3
	s_sub_i32 s2, s0, s1
	v_rcp_iflag_f32_e32 v2, v2
	s_mul_i32 s0, s2, s97
	s_sub_i32 s0, s26, s0
	s_abs_i32 s5, s0
	v_mul_f32_e32 v2, 0x4f7ffffe, v2
	v_cvt_u32_f32_e32 v2, v2
	s_xor_b32 s1, s0, s96
	s_ashr_i32 s1, s1, 31
	v_readfirstlane_b32 s6, v2
	s_mul_i32 s4, s4, s6
	s_mul_hi_u32 s4, s6, s4
	s_add_i32 s6, s6, s4
	s_mul_hi_u32 s4, s5, s6
	s_mul_i32 s6, s4, s3
	s_sub_i32 s5, s5, s6
	s_add_i32 s7, s4, 1
	s_sub_i32 s6, s5, s3
	s_cmp_ge_u32 s5, s3
	s_cselect_b32 s4, s7, s4
	s_cselect_b32 s5, s6, s5
	s_add_i32 s6, s4, 1
	s_cmp_ge_u32 s5, s3
	s_cselect_b32 s3, s6, s4
	s_abs_i32 s4, s95
	v_cvt_f32_u32_e32 v2, s4
	s_xor_b32 s3, s3, s1
	s_sub_i32 s5, 0, s4
	s_sub_i32 s3, s3, s1
	v_rcp_iflag_f32_e32 v2, v2
	s_mul_i32 s1, s3, s96
	s_sub_i32 s1, s0, s1
	s_abs_i32 s6, s1
	v_mul_f32_e32 v2, 0x4f7ffffe, v2
	v_cvt_u32_f32_e32 v2, v2
	s_xor_b32 s0, s1, s95
	s_ashr_i32 s0, s0, 31
	v_readfirstlane_b32 s7, v2
	s_mul_i32 s5, s5, s7
	s_mul_hi_u32 s5, s7, s5
	s_add_i32 s7, s7, s5
	s_mul_hi_u32 s5, s6, s7
	s_mul_i32 s7, s5, s4
	s_sub_i32 s6, s6, s7
	s_add_i32 s9, s5, 1
	s_sub_i32 s7, s6, s4
	s_cmp_ge_u32 s6, s4
	s_cselect_b32 s5, s9, s5
	s_cselect_b32 s6, s7, s6
	s_add_i32 s7, s5, 1
	s_cmp_ge_u32 s6, s4
	s_cselect_b32 s4, s7, s5
	s_xor_b32 s4, s4, s0
	s_sub_i32 s0, s4, s0
	s_mul_i32 s4, s0, s95
	s_sub_i32 s1, s1, s4
	s_ashr_i32 s4, s1, 31
	s_abs_i32 s1, s1
	s_mul_hi_u32 s5, s1, s22
	s_mul_i32 s6, s5, s99
	s_sub_i32 s1, s1, s6
	s_xor_b32 s4, s4, s14
	s_add_i32 s6, s5, 1
	s_sub_i32 s7, s1, s99
	s_cmp_ge_u32 s1, s99
	s_cselect_b32 s5, s6, s5
	s_cselect_b32 s1, s7, s1
	s_add_i32 s6, s5, 1
	s_cmp_ge_u32 s1, s99
	s_cselect_b32 s1, s6, s5
	v_readlane_b32 s6, v230, 6
	s_abs_i32 s9, s6
	v_cvt_f32_u32_e32 v2, s9
	s_xor_b32 s1, s1, s4
	s_sub_i32 s1, s1, s4
	s_cmp_eq_u64 s[46:47], 0
	v_rcp_iflag_f32_e32 v2, v2
	v_readlane_b32 s7, v230, 7
	v_mul_f32_e32 v2, 0x4f7ffffe, v2
	v_cvt_u32_f32_e32 v2, v2
	s_nop 0
	v_readfirstlane_b32 s14, v2
	s_cbranch_scc1 .LBB14_255
; %bb.254:
	v_readlane_b32 s4, v230, 0
	s_mul_i32 s4, s2, s4
	s_add_i32 s4, s1, s4
	s_ashr_i32 s5, s4, 31
	s_lshl_b64 s[4:5], s[4:5], 2
	s_add_u32 s4, s46, s4
	s_addc_u32 s5, s47, s5
	v_mov_b32_e32 v2, 0
	global_load_dword v2, v2, s[4:5]
	s_waitcnt vmcnt(0)
	v_ashrrev_i32_e32 v3, 31, v2
	v_lshrrev_b32_e32 v3, 26, v3
	v_add_u32_e32 v2, v2, v3
	v_ashrrev_i32_e32 v2, 6, v2
	v_min_i32_e32 v12, s35, v2
.LBB14_255:
	s_mul_i32 s4, s3, s33
	s_lshl_b32 s22, s0, 3
	s_add_i32 s0, s22, s4
	s_mul_i32 s4, s2, s25
	s_ashr_i32 s5, s4, 31
	s_add_u32 s4, s36, s4
	s_mul_i32 s0, s0, s24
	s_addc_u32 s5, s37, s5
	s_ashr_i32 s7, s0, 31
	s_add_u32 s6, s4, s0
	s_addc_u32 s7, s5, s7
	s_lshl_b32 s11, s1, 3
	v_lshrrev_b32_e32 v3, 3, v41
	v_and_b32_e32 v2, 7, v41
	v_add_u32_e32 v3, s11, v3
	v_or_b32_e32 v4, s22, v2
	v_cmp_le_i32_e64 s[0:1], s8, v3
	v_cmp_le_i32_e64 s[4:5], s33, v4
	s_mov_b32 s24, 0x10001
	v_lshl_add_u32 v68, v40, 2, 0
	v_cmp_gt_i32_e32 vcc, s33, v4
	s_or_b64 s[0:1], s[0:1], s[4:5]
	s_and_saveexec_b64 s[4:5], s[0:1]
	s_xor_b64 s[0:1], exec, s[4:5]
	v_readlane_b32 s26, v230, 5
; %bb.256:
	s_movk_i32 s4, 0xd0
	v_mad_u32_u24 v3, v41, s4, v68
	v_mov_b32_e32 v4, 0
	ds_write_b32 v3, v4
                                        ; implicit-def: $vgpr3
; %bb.257:
	s_or_saveexec_b64 s[0:1], s[0:1]
	v_mul_lo_u32 v1, v1, s24
	s_xor_b64 exec, exec, s[0:1]
	s_cbranch_execz .LBB14_259
; %bb.258:
	v_mul_lo_u32 v3, v3, s27
	v_mul_lo_u32 v4, v2, s26
	v_add3_u32 v4, v4, v40, v3
	v_ashrrev_i32_e32 v5, 31, v4
	v_lshl_add_u64 v[4:5], v[4:5], 3, s[6:7]
	global_load_dwordx2 v[4:5], v[4:5], off
	s_movk_i32 s4, 0xd0
	s_waitcnt vmcnt(0)
	v_cvt_pk_f16_f32 v3, v4, v5
	v_pk_mul_f16 v3, v3, v1
	v_mad_u32_u24 v4, v41, s4, v68
	ds_write_b32 v4, v3
.LBB14_259:
	s_or_b64 exec, exec, s[0:1]
	v_add_u32_e32 v3, 8, v41
	v_lshrrev_b32_e32 v4, 3, v3
	v_add_u32_e32 v4, s11, v4
	v_cmp_le_i32_e64 s[0:1], s8, v4
	s_xor_b64 s[4:5], vcc, -1
	s_or_b64 s[0:1], s[0:1], s[4:5]
	s_and_saveexec_b64 s[24:25], s[0:1]
	s_xor_b64 s[0:1], exec, s[24:25]
; %bb.260:
	s_movk_i32 s24, 0xd0
	v_mad_u32_u24 v3, v3, s24, v68
	v_mov_b32_e32 v4, 0
	ds_write_b32 v3, v4
                                        ; implicit-def: $vgpr4
                                        ; implicit-def: $vgpr3
; %bb.261:
	s_andn2_saveexec_b64 s[0:1], s[0:1]
	s_cbranch_execz .LBB14_263
; %bb.262:
	v_mul_lo_u32 v4, v4, s27
	v_mul_lo_u32 v5, v2, s26
	v_add3_u32 v4, v5, v40, v4
	v_ashrrev_i32_e32 v5, 31, v4
	v_lshl_add_u64 v[4:5], v[4:5], 3, s[6:7]
	global_load_dwordx2 v[4:5], v[4:5], off
	s_movk_i32 s24, 0xd0
	v_mad_u32_u24 v3, v3, s24, v68
	s_waitcnt vmcnt(0)
	v_cvt_pk_f16_f32 v4, v4, v5
	v_pk_mul_f16 v4, v4, v1
	ds_write_b32 v3, v4
.LBB14_263:
	s_or_b64 exec, exec, s[0:1]
	v_add_u32_e32 v69, 16, v41
	v_lshrrev_b32_e32 v3, 3, v69
	v_add_u32_e32 v3, s11, v3
	v_cmp_le_i32_e32 vcc, s8, v3
	s_or_b64 s[0:1], vcc, s[4:5]
	s_and_saveexec_b64 s[24:25], s[0:1]
	s_xor_b64 s[0:1], exec, s[24:25]
; %bb.264:
	s_movk_i32 s24, 0xd0
	v_mad_u32_u24 v3, v69, s24, v68
	v_mov_b32_e32 v4, 0
	ds_write_b32 v3, v4
                                        ; implicit-def: $vgpr3
; %bb.265:
	s_andn2_saveexec_b64 s[0:1], s[0:1]
	s_cbranch_execz .LBB14_267
; %bb.266:
	v_mul_lo_u32 v3, v3, s27
	v_mul_lo_u32 v4, v2, s26
	v_add3_u32 v4, v4, v40, v3
	v_ashrrev_i32_e32 v5, 31, v4
	v_lshl_add_u64 v[4:5], v[4:5], 3, s[6:7]
	global_load_dwordx2 v[4:5], v[4:5], off
	s_movk_i32 s24, 0xd0
	s_waitcnt vmcnt(0)
	v_cvt_pk_f16_f32 v3, v4, v5
	v_pk_mul_f16 v3, v3, v1
	v_mad_u32_u24 v4, v69, s24, v68
	ds_write_b32 v4, v3
.LBB14_267:
	s_or_b64 exec, exec, s[0:1]
	v_add_u32_e32 v3, 24, v41
	v_lshrrev_b32_e32 v4, 3, v3
	v_add_u32_e32 v4, s11, v4
	v_cmp_le_i32_e32 vcc, s8, v4
	s_or_b64 s[0:1], vcc, s[4:5]
	s_and_saveexec_b64 s[24:25], s[0:1]
	s_xor_b64 s[0:1], exec, s[24:25]
; %bb.268:
	s_movk_i32 s24, 0xd0
	v_mad_u32_u24 v3, v3, s24, v68
	v_mov_b32_e32 v4, 0
	ds_write_b32 v3, v4
                                        ; implicit-def: $vgpr4
                                        ; implicit-def: $vgpr3
; %bb.269:
	s_andn2_saveexec_b64 s[0:1], s[0:1]
	s_cbranch_execz .LBB14_271
; %bb.270:
	v_mul_lo_u32 v4, v4, s27
	v_mul_lo_u32 v5, v2, s26
	v_add3_u32 v4, v5, v40, v4
	v_ashrrev_i32_e32 v5, 31, v4
	v_lshl_add_u64 v[4:5], v[4:5], 3, s[6:7]
	global_load_dwordx2 v[4:5], v[4:5], off
	s_movk_i32 s24, 0xd0
	v_mad_u32_u24 v3, v3, s24, v68
	s_waitcnt vmcnt(0)
	v_cvt_pk_f16_f32 v4, v4, v5
	v_pk_mul_f16 v4, v4, v1
	ds_write_b32 v3, v4
.LBB14_271:
	s_or_b64 exec, exec, s[0:1]
	v_add_u32_e32 v70, 32, v41
	v_lshrrev_b32_e32 v3, 3, v70
	v_add_u32_e32 v3, s11, v3
	v_cmp_le_i32_e32 vcc, s8, v3
	s_or_b64 s[0:1], vcc, s[4:5]
	s_and_saveexec_b64 s[24:25], s[0:1]
	s_xor_b64 s[0:1], exec, s[24:25]
; %bb.272:
	s_movk_i32 s24, 0xd0
	v_mad_u32_u24 v3, v70, s24, v68
	v_mov_b32_e32 v4, 0
	ds_write_b32 v3, v4
                                        ; implicit-def: $vgpr3
; %bb.273:
	s_andn2_saveexec_b64 s[0:1], s[0:1]
	s_cbranch_execz .LBB14_275
; %bb.274:
	v_mul_lo_u32 v3, v3, s27
	v_mul_lo_u32 v4, v2, s26
	v_add3_u32 v4, v4, v40, v3
	v_ashrrev_i32_e32 v5, 31, v4
	v_lshl_add_u64 v[4:5], v[4:5], 3, s[6:7]
	global_load_dwordx2 v[4:5], v[4:5], off
	s_movk_i32 s24, 0xd0
	s_waitcnt vmcnt(0)
	v_cvt_pk_f16_f32 v3, v4, v5
	v_pk_mul_f16 v3, v3, v1
	v_mad_u32_u24 v4, v70, s24, v68
	ds_write_b32 v4, v3
.LBB14_275:
	s_or_b64 exec, exec, s[0:1]
	v_add_u32_e32 v3, 40, v41
	v_lshrrev_b32_e32 v4, 3, v3
	v_add_u32_e32 v4, s11, v4
	v_cmp_le_i32_e32 vcc, s8, v4
	s_or_b64 s[0:1], vcc, s[4:5]
	;; [unrolled: 63-line block ×3, first 2 shown]
	s_and_saveexec_b64 s[4:5], s[0:1]
	s_xor_b64 s[0:1], exec, s[4:5]
; %bb.284:
	s_movk_i32 s4, 0xd0
	v_mad_u32_u24 v2, v3, s4, v68
	v_mov_b32_e32 v3, 0
	ds_write_b32 v2, v3
                                        ; implicit-def: $vgpr4
                                        ; implicit-def: $vgpr2
                                        ; implicit-def: $vgpr3
; %bb.285:
	s_or_saveexec_b64 s[0:1], s[0:1]
	v_and_b32_e32 v78, 0x3ff, v0
	s_xor_b64 exec, exec, s[0:1]
	s_cbranch_execz .LBB14_287
; %bb.286:
	v_mul_lo_u32 v0, v4, s27
	v_mul_lo_u32 v2, v2, s26
	v_add3_u32 v4, v2, v40, v0
	v_ashrrev_i32_e32 v5, 31, v4
	v_lshl_add_u64 v[4:5], v[4:5], 3, s[6:7]
	global_load_dwordx2 v[4:5], v[4:5], off
	s_movk_i32 s4, 0xd0
	v_mad_u32_u24 v2, v3, s4, v68
	s_waitcnt vmcnt(0)
	v_cvt_pk_f16_f32 v0, v4, v5
	v_pk_mul_f16 v0, v0, v1
	ds_write_b32 v2, v0
.LBB14_287:
	s_or_b64 exec, exec, s[0:1]
	v_lshrrev_b32_e32 v0, 4, v78
	v_lshl_add_u32 v72, v39, 2, v0
	v_lshrrev_b32_e32 v2, 3, v72
	v_and_b32_e32 v0, 7, v72
	v_add_u32_e32 v3, s11, v2
	v_or_b32_e32 v2, s22, v0
	v_cmp_le_i32_e64 s[0:1], s8, v3
	v_cmp_le_i32_e64 s[4:5], s33, v2
	v_and_b32_e32 v71, 15, v78
	v_cmp_gt_i32_e32 vcc, s33, v2
	s_or_b64 s[0:1], s[0:1], s[4:5]
	s_and_saveexec_b64 s[4:5], s[0:1]
	s_xor_b64 s[0:1], exec, s[4:5]
; %bb.288:
	v_mul_u32_u24_e32 v2, 0xd0, v72
	v_lshlrev_b32_e32 v3, 2, v71
	v_add3_u32 v2, 0, v2, v3
	v_mov_b32_e32 v3, 0
	ds_write_b32 v2, v3 offset:128
                                        ; implicit-def: $vgpr3
; %bb.289:
	s_or_saveexec_b64 s[0:1], s[0:1]
	v_or_b32_e32 v2, 32, v71
	v_lshl_add_u32 v74, v71, 2, 0
	s_xor_b64 exec, exec, s[0:1]
	s_cbranch_execz .LBB14_291
; %bb.290:
	v_mul_lo_u32 v3, v3, s27
	v_mul_lo_u32 v4, v0, s26
	v_add3_u32 v4, v4, v2, v3
	v_ashrrev_i32_e32 v5, 31, v4
	v_lshl_add_u64 v[4:5], v[4:5], 3, s[6:7]
	global_load_dwordx2 v[4:5], v[4:5], off
	s_movk_i32 s4, 0xd0
	s_waitcnt vmcnt(0)
	v_cvt_pk_f16_f32 v3, v4, v5
	v_pk_mul_f16 v3, v3, v1
	v_mad_u32_u24 v4, v72, s4, v74
	ds_write_b32 v4, v3 offset:128
.LBB14_291:
	s_or_b64 exec, exec, s[0:1]
	v_add_u32_e32 v75, 16, v72
	v_lshrrev_b32_e32 v3, 3, v75
	v_add_u32_e32 v3, s11, v3
	v_cmp_le_i32_e64 s[0:1], s8, v3
	s_xor_b64 s[4:5], vcc, -1
	s_sub_i32 s22, 0, s9
	s_or_b64 s[0:1], s[0:1], s[4:5]
	s_and_saveexec_b64 s[24:25], s[0:1]
	s_xor_b64 s[0:1], exec, s[24:25]
; %bb.292:
	v_mul_u32_u24_e32 v3, 0xd0, v75
	v_lshlrev_b32_e32 v4, 2, v71
	v_add3_u32 v3, 0, v3, v4
	v_mov_b32_e32 v4, 0
	ds_write_b32 v3, v4 offset:128
                                        ; implicit-def: $vgpr3
; %bb.293:
	s_or_saveexec_b64 s[0:1], s[0:1]
	s_mul_i32 s22, s22, s14
	s_xor_b64 exec, exec, s[0:1]
	s_cbranch_execz .LBB14_295
; %bb.294:
	v_mul_lo_u32 v3, v3, s27
	v_mul_lo_u32 v4, v0, s26
	v_add3_u32 v4, v4, v2, v3
	v_ashrrev_i32_e32 v5, 31, v4
	v_lshl_add_u64 v[4:5], v[4:5], 3, s[6:7]
	global_load_dwordx2 v[4:5], v[4:5], off
	s_movk_i32 s24, 0xd0
	s_waitcnt vmcnt(0)
	v_cvt_pk_f16_f32 v3, v4, v5
	v_pk_mul_f16 v3, v3, v1
	v_mad_u32_u24 v4, v75, s24, v74
	ds_write_b32 v4, v3 offset:128
.LBB14_295:
	s_or_b64 exec, exec, s[0:1]
	v_add_u32_e32 v76, 32, v72
	v_lshrrev_b32_e32 v3, 3, v76
	v_add_u32_e32 v3, s11, v3
	v_cmp_le_i32_e32 vcc, s8, v3
	s_mul_hi_u32 s24, s14, s22
	s_or_b64 s[0:1], vcc, s[4:5]
	s_and_saveexec_b64 s[28:29], s[0:1]
	s_xor_b64 s[0:1], exec, s[28:29]
; %bb.296:
	v_mul_u32_u24_e32 v3, 0xd0, v76
	v_lshlrev_b32_e32 v4, 2, v71
	v_add3_u32 v3, 0, v3, v4
	v_mov_b32_e32 v4, 0
	ds_write_b32 v3, v4 offset:128
                                        ; implicit-def: $vgpr3
; %bb.297:
	s_or_saveexec_b64 s[0:1], s[0:1]
	s_abs_i32 s22, s2
	s_add_i32 s14, s14, s24
	s_xor_b64 exec, exec, s[0:1]
	s_cbranch_execz .LBB14_299
; %bb.298:
	v_mul_lo_u32 v3, v3, s27
	v_mul_lo_u32 v4, v0, s26
	v_add3_u32 v4, v4, v2, v3
	v_ashrrev_i32_e32 v5, 31, v4
	v_lshl_add_u64 v[4:5], v[4:5], 3, s[6:7]
	global_load_dwordx2 v[4:5], v[4:5], off
	s_movk_i32 s24, 0xd0
	s_waitcnt vmcnt(0)
	v_cvt_pk_f16_f32 v3, v4, v5
	v_pk_mul_f16 v3, v3, v1
	v_mad_u32_u24 v4, v76, s24, v74
	ds_write_b32 v4, v3 offset:128
.LBB14_299:
	s_or_b64 exec, exec, s[0:1]
	v_add_u32_e32 v77, 48, v72
	v_lshrrev_b32_e32 v3, 3, v77
	v_add_u32_e32 v3, s11, v3
	v_cmp_le_i32_e32 vcc, s8, v3
	s_mul_hi_u32 s14, s22, s14
	s_or_b64 s[0:1], vcc, s[4:5]
	s_and_saveexec_b64 s[4:5], s[0:1]
	s_xor_b64 s[0:1], exec, s[4:5]
; %bb.300:
	v_mul_u32_u24_e32 v0, 0xd0, v77
	v_lshlrev_b32_e32 v1, 2, v71
	v_add3_u32 v0, 0, v0, v1
	v_mov_b32_e32 v1, 0
	ds_write_b32 v0, v1 offset:128
                                        ; implicit-def: $vgpr3
                                        ; implicit-def: $vgpr0
                                        ; implicit-def: $vgpr2
                                        ; implicit-def: $vgpr1
; %bb.301:
	s_or_saveexec_b64 s[0:1], s[0:1]
	s_ashr_i32 s4, s2, 31
	s_xor_b64 exec, exec, s[0:1]
	s_cbranch_execz .LBB14_303
; %bb.302:
	v_mul_lo_u32 v3, v3, s27
	v_mul_lo_u32 v0, v0, s26
	v_add3_u32 v2, v0, v2, v3
	v_ashrrev_i32_e32 v3, 31, v2
	v_lshl_add_u64 v[2:3], v[2:3], 3, s[6:7]
	global_load_dwordx2 v[2:3], v[2:3], off
	s_movk_i32 s5, 0xd0
	s_waitcnt vmcnt(0)
	v_cvt_pk_f16_f32 v0, v2, v3
	v_pk_mul_f16 v0, v0, v1
	v_mad_u32_u24 v1, v77, s5, v74
	ds_write_b32 v1, v0 offset:128
.LBB14_303:
	s_or_b64 exec, exec, s[0:1]
	s_mul_hi_u32 s0, s12, s2
	s_mul_i32 s1, s12, s4
	s_add_i32 s0, s0, s1
	s_mul_i32 s1, s13, s2
	s_add_i32 s0, s0, s1
	s_mul_i32 s1, s12, s2
	s_add_u32 s1, s38, s1
	s_mul_i32 s5, s3, s23
	s_addc_u32 s0, s39, s0
	s_ashr_i32 s6, s5, 31
	s_add_u32 s44, s1, s5
	s_mul_i32 s14, s14, s9
	s_addc_u32 s45, s0, s6
	s_sub_i32 s0, s22, s14
	s_sub_i32 s1, s0, s9
	s_cmp_ge_u32 s0, s9
	s_cselect_b32 s0, s1, s0
	s_sub_i32 s1, s0, s9
	s_cmp_ge_u32 s0, s9
	s_cselect_b32 s0, s1, s0
	s_xor_b32 s0, s0, s4
	s_sub_i32 s0, s0, s4
	s_ashr_i32 s1, s0, 31
	s_mul_i32 s1, s20, s1
	s_mul_hi_u32 s5, s20, s0
	s_add_i32 s1, s5, s1
	s_mul_i32 s5, s21, s0
	s_add_i32 s1, s1, s5
	s_mul_i32 s0, s20, s0
	s_add_u32 s42, s42, s0
	s_addc_u32 s43, s43, s1
	s_mul_hi_u32 s0, s18, s2
	s_mul_i32 s1, s18, s4
	s_add_i32 s0, s0, s1
	s_mul_i32 s1, s19, s2
	s_add_i32 s0, s0, s1
	s_mul_i32 s1, s18, s2
	s_add_u32 s1, s40, s1
	s_mul_i32 s3, s3, s15
	s_addc_u32 s0, s41, s0
	s_ashr_i32 s2, s3, 31
	s_add_u32 s38, s1, s3
	v_lshrrev_b32_e32 v16, 3, v78
	s_addc_u32 s39, s0, s2
	s_movk_i32 s0, 0xd00
	v_and_b32_e32 v1, 0x7e, v16
	v_mad_u32_u24 v0, v39, s0, 0
	v_mul_u32_u24_e32 v95, 0xd0, v71
	v_lshlrev_b32_e32 v79, 2, v1
	v_add3_u32 v0, v0, v95, v79
	s_waitcnt lgkmcnt(0)
	s_barrier
	ds_read2_b64 v[8:11], v0 offset1:4
	ds_read2_b64 v[4:7], v0 offset0:8 offset1:12
	ds_read2_b64 v[0:3], v0 offset0:16 offset1:20
	v_add_u32_e32 v114, -1, v12
	v_add_u32_e32 v12, s11, v41
	v_mul_hi_u32 v13, s16, v12
	v_add_u32_e32 v13, v12, v13
	v_lshrrev_b32_e32 v13, s17, v13
	v_cmp_lt_i32_e32 vcc, s70, v114
	v_mul_lo_u32 v13, v13, s8
	s_movk_i32 s0, 0xd0
	v_sub_u32_e32 v17, v12, v13
	s_waitcnt lgkmcnt(0)
	s_barrier
	s_cbranch_vccnz .LBB14_306
; %bb.304:
	v_lshlrev_b32_e32 v14, 2, v78
	v_lshlrev_b32_e32 v12, 1, v78
	;; [unrolled: 1-line block ×3, first 2 shown]
	v_and_or_b32 v52, v14, 12, 32
	v_lshl_add_u32 v15, v39, 3, v16
	v_and_b32_e32 v56, 28, v14
	v_mov_b32_e32 v14, 0x1a00
	v_and_b32_e32 v48, 62, v12
	v_lshrrev_b32_e32 v12, 2, v78
	v_mad_u32_u24 v111, v15, s0, v14
	v_and_or_b32 v14, v78, 8, v80
	v_add_u32_e32 v13, v80, v12
	v_and_b32_e32 v12, 0xfc, v12
	v_lshrrev_b32_e32 v14, 3, v14
	v_mul_u32_u24_e32 v107, 0x90, v14
	v_add_u32_e32 v14, 16, v12
	v_lshrrev_b32_e32 v105, 1, v14
	v_add_u32_e32 v14, 18, v12
	v_lshrrev_b32_e32 v106, 1, v14
	;; [unrolled: 2-line block ×4, first 2 shown]
	v_lshrrev_b32_e32 v104, 1, v14
	v_add_u32_e32 v14, 48, v12
	v_add_u32_e32 v12, 50, v12
	v_lshrrev_b32_e32 v102, 1, v12
	v_mbcnt_lo_u32_b32 v12, -1, 0
	v_mbcnt_hi_u32_b32 v96, -1, v12
	v_and_b32_e32 v12, 64, v96
	v_add_u32_e32 v97, 64, v12
	v_lshlrev_b32_e32 v12, 1, v16
	v_mul_u32_u24_e32 v100, 0xd0, v13
	v_mul_lo_u32 v54, s54, v13
	v_mul_lo_u32 v58, s54, v15
	;; [unrolled: 1-line block ×4, first 2 shown]
	v_and_b32_e32 v13, 0xfc, v12
	v_mov_b32_e32 v49, 0
	s_ashr_i32 s55, s54, 31
	v_lshl_add_u32 v60, s54, 5, v58
	s_ashr_i32 s57, s56, 31
	v_lshl_add_u32 v46, s56, 5, v44
	v_mul_u32_u24_e32 v92, 0xd0, v13
	v_or_b32_e32 v13, 2, v12
	v_or_b32_e32 v12, 3, v12
	v_mad_i64_i32 v[50:51], s[2:3], v17, s10, 0
	v_ashrrev_i32_e32 v55, 31, v54
	v_mov_b32_e32 v53, v49
	v_mul_u32_u24_e32 v109, 0xd0, v15
	v_mov_b32_e32 v57, v49
	v_ashrrev_i32_e32 v59, 31, v58
	v_ashrrev_i32_e32 v61, 31, v60
	v_or_b32_e32 v108, 1, v16
	v_lshrrev_b32_e32 v101, 1, v14
	v_xor_b32_e32 v98, 32, v96
	v_xor_b32_e32 v99, 16, v96
	v_ashrrev_i32_e32 v43, 31, v42
	v_ashrrev_i32_e32 v45, 31, v44
	;; [unrolled: 1-line block ×3, first 2 shown]
	v_mul_u32_u24_e32 v93, 0xd0, v13
	v_mul_u32_u24_e32 v94, 0xd0, v12
	v_mov_b64_e32 v[12:13], s[56:57]
	v_mov_b64_e32 v[14:15], s[54:55]
	v_mul_u32_u24_e32 v115, 0x90, v41
	v_lshlrev_b32_e32 v90, 1, v71
	s_cbranch_execz .LBB14_307
; %bb.305:
	v_mov_b32_e32 v133, 0xfeffffff
	v_mov_b32_e32 v116, 0
	;; [unrolled: 1-line block ×14, first 2 shown]
	s_branch .LBB14_310
.LBB14_306:
                                        ; implicit-def: $vgpr48
                                        ; implicit-def: $vgpr50_vgpr51
                                        ; implicit-def: $vgpr14_vgpr15
                                        ; implicit-def: $vgpr80
                                        ; implicit-def: $vgpr100
                                        ; implicit-def: $vgpr54_vgpr55
                                        ; implicit-def: $vgpr52
                                        ; implicit-def: $vgpr109
                                        ; implicit-def: $vgpr56
                                        ; implicit-def: $vgpr58_vgpr59
                                        ; implicit-def: $vgpr111
                                        ; implicit-def: $vgpr60_vgpr61
                                        ; implicit-def: $vgpr107
                                        ; implicit-def: $vgpr110
                                        ; implicit-def: $vgpr108
                                        ; implicit-def: $vgpr105
                                        ; implicit-def: $vgpr106
                                        ; implicit-def: $vgpr103
                                        ; implicit-def: $vgpr104
                                        ; implicit-def: $vgpr101
                                        ; implicit-def: $vgpr102
                                        ; implicit-def: $vgpr96
                                        ; implicit-def: $vgpr97
                                        ; implicit-def: $vgpr98
                                        ; implicit-def: $vgpr99
                                        ; implicit-def: $vgpr12_vgpr13
                                        ; implicit-def: $vgpr42_vgpr43
                                        ; implicit-def: $vgpr44_vgpr45
                                        ; implicit-def: $vgpr46_vgpr47
                                        ; implicit-def: $vgpr92
                                        ; implicit-def: $vgpr93
                                        ; implicit-def: $vgpr94
	v_mul_u32_u24_e32 v115, 0x90, v41
	v_lshlrev_b32_e32 v90, 1, v71
.LBB14_307:
	v_lshlrev_b32_e32 v12, 1, v78
	v_and_b32_e32 v48, 62, v12
	v_mad_i64_i32 v[50:51], s[0:1], v17, s10, 0
	v_mov_b32_e32 v63, 0
	v_lshlrev_b32_e32 v62, 1, v48
	v_lshl_add_u64 v[12:13], v[50:51], 1, s[42:43]
	v_lshl_add_u64 v[64:65], v[12:13], 0, v[62:63]
	v_lshlrev_b32_e32 v80, 4, v39
	v_lshrrev_b32_e32 v13, 2, v78
	v_lshlrev_b32_e32 v17, 2, v78
	v_add_u32_e32 v14, v80, v13
	s_movk_i32 s0, 0xd0
	v_and_b32_e32 v12, 12, v17
	v_mad_u32_u24 v15, v14, s0, 0
	v_lshlrev_b32_e32 v18, 2, v12
	s_movk_i32 s1, 0x80
	v_add3_u32 v118, v15, v18, s1
	v_lshl_add_u32 v15, v39, 3, v16
	v_and_b32_e32 v56, 28, v17
	v_mul_u32_u24_e32 v109, 0xd0, v15
	v_lshlrev_b32_e32 v17, 2, v56
	v_add3_u32 v119, 0, v109, v17
	v_mov_b32_e32 v17, 0x1a00
	v_mad_u32_u24 v111, v15, s0, v17
	v_and_or_b32 v17, v78, 8, v80
	v_and_b32_e32 v13, 0xfc, v13
	v_lshrrev_b32_e32 v17, 3, v17
	s_movk_i32 s0, 0x90
	v_mul_u32_u24_e32 v107, 0x90, v17
	v_mad_u32_u24 v17, v17, s0, 0
	v_add_u32_e32 v19, 18, v13
	v_add_u32_e32 v20, 34, v13
	v_lshrrev_b32_e32 v110, 1, v13
	v_lshl_add_u32 v122, v13, 1, v17
	v_add_u32_e32 v18, 16, v13
	v_lshrrev_b32_e32 v106, 1, v19
	v_add_u32_e32 v19, 32, v13
	v_lshrrev_b32_e32 v104, 1, v20
	v_add_u32_e32 v20, 48, v13
	v_add_u32_e32 v13, 50, v13
	v_lshrrev_b32_e32 v102, 1, v13
	v_mbcnt_lo_u32_b32 v13, -1, 0
	v_mbcnt_hi_u32_b32 v96, -1, v13
	v_and_b32_e32 v13, 64, v96
	v_add_u32_e32 v97, 64, v13
	v_xor_b32_e32 v98, 32, v96
	v_cmp_lt_i32_e32 vcc, v98, v97
	v_xor_b32_e32 v99, 16, v96
	v_mul_u32_u24_e32 v100, 0xd0, v14
	v_cndmask_b32_e32 v13, v96, v98, vcc
	v_cmp_lt_i32_e32 vcc, v99, v97
	v_lshlrev_b32_e32 v124, 2, v13
	v_mul_lo_u32 v54, s54, v14
	v_cndmask_b32_e32 v13, v96, v99, vcc
	v_lshlrev_b32_e32 v125, 2, v13
	v_lshlrev_b32_e32 v13, 1, v16
	v_mul_lo_u32 v42, s56, v14
	v_and_b32_e32 v14, 0xfc, v13
	v_mul_lo_u32 v58, s54, v15
	v_or_b32_e32 v108, 1, v16
	v_mul_lo_u32 v44, s56, v15
	v_mul_u32_u24_e32 v92, 0xd0, v14
	v_or_b32_e32 v14, 2, v13
	v_or_b32_e32 v13, 3, v13
	v_lshl_add_u32 v60, s54, 5, v58
	v_lshl_add_u32 v123, v108, 2, v17
	v_lshrrev_b32_e32 v105, 1, v18
	v_lshl_add_u32 v18, v18, 1, v17
	v_lshrrev_b32_e32 v103, 1, v19
	v_lshl_add_u32 v19, v19, 1, v17
	v_lshl_add_u32 v17, v20, 1, v17
	;; [unrolled: 1-line block ×3, first 2 shown]
	v_mul_u32_u24_e32 v93, 0xd0, v14
	v_mul_u32_u24_e32 v94, 0xd0, v13
	v_mov_b32_e32 v49, v63
	v_add3_u32 v117, 0, v115, v62
	s_ashr_i32 s55, s54, 31
	v_ashrrev_i32_e32 v55, 31, v54
	v_or_b32_e32 v52, 32, v12
	v_mov_b32_e32 v53, v63
	v_mov_b32_e32 v57, v63
	v_ashrrev_i32_e32 v59, 31, v58
	v_add_u32_e32 v120, 0x1a00, v119
	v_ashrrev_i32_e32 v61, 31, v60
	v_add3_u32 v121, 0, v95, v79
	v_lshrrev_b32_e32 v101, 1, v20
	s_ashr_i32 s57, s56, 31
	v_ashrrev_i32_e32 v43, 31, v42
	v_ashrrev_i32_e32 v45, 31, v44
	;; [unrolled: 1-line block ×3, first 2 shown]
	v_add3_u32 v126, 0, v92, v90
	v_add3_u32 v127, 0, v93, v90
	;; [unrolled: 1-line block ×3, first 2 shown]
	s_lshl_b32 s40, s70, 6
	v_mov_b32_e32 v133, 0xfeffffff
	v_lshlrev_b32_e32 v62, 2, v12
	v_lshlrev_b32_e32 v66, 2, v56
	v_add_u32_e32 v129, 0x3400, v18
	v_add_u32_e32 v130, 0x3400, v19
	;; [unrolled: 1-line block ×3, first 2 shown]
	s_mov_b32 s2, 0x3fb8aa3b
	s_mov_b32 s3, 0xc2ce8ed0
	;; [unrolled: 1-line block ×5, first 2 shown]
	v_mov_b32_e32 v132, 0x7f800000
	v_mov_b32_e32 v116, v63
	v_mov_b32_e32 v86, v63
	v_mov_b32_e32 v85, v63
	v_mov_b32_e32 v88, v63
	v_mov_b32_e32 v87, v63
	v_mov_b32_e32 v91, v63
	v_mov_b32_e32 v89, v63
	v_mov_b32_e32 v113, v63
	v_mov_b32_e32 v112, v63
	v_mov_b32_e32 v84, v63
	v_mov_b32_e32 v83, v63
	v_mov_b32_e32 v82, v63
	v_mov_b32_e32 v81, v63
.LBB14_308:                             ; =>This Inner Loop Header: Depth=1
	s_mul_hi_i32 s1, s40, s54
	s_mul_i32 s0, s40, s54
	s_ashr_i32 s41, s40, 31
	s_lshl_b64 s[0:1], s[0:1], 2
	s_add_u32 s0, s44, s0
	v_lshl_add_u64 v[12:13], s[40:41], 1, v[64:65]
	s_addc_u32 s1, s45, s1
	global_load_dword v30, v[12:13], off
	v_lshl_add_u64 v[12:13], v[54:55], 2, s[0:1]
	v_mov_b32_e32 v67, v63
	v_lshl_add_u64 v[14:15], v[58:59], 2, s[0:1]
	v_lshl_add_u64 v[16:17], v[60:61], 2, s[0:1]
	v_lshl_add_u64 v[24:25], v[12:13], 0, v[62:63]
	v_lshl_add_u64 v[26:27], v[14:15], 0, v[66:67]
	v_lshl_add_u64 v[28:29], v[16:17], 0, v[66:67]
	global_load_dwordx4 v[12:15], v[24:25], off offset:128
	global_load_dwordx4 v[16:19], v[26:27], off
	global_load_dwordx4 v[20:23], v[28:29], off
	v_add_u32_e32 v136, 0x800, v121
	v_add_u32_e32 v137, 0x1800, v121
	;; [unrolled: 1-line block ×3, first 2 shown]
	s_mul_hi_i32 s1, s40, s56
	s_mul_i32 s0, s40, s56
	s_lshl_b64 s[0:1], s[0:1], 2
	s_add_u32 s0, s38, s0
	s_addc_u32 s1, s39, s1
	v_lshl_add_u64 v[144:145], v[44:45], 2, s[0:1]
	v_lshl_add_u64 v[146:147], v[46:47], 2, s[0:1]
	;; [unrolled: 1-line block ×3, first 2 shown]
	v_mov_b32_e32 v134, v116
	v_lshl_add_u64 v[156:157], v[146:147], 0, v[66:67]
	v_mov_b32_e32 v135, v133
	s_add_i32 s70, s70, 1
	v_cmp_lt_i32_e32 vcc, s70, v114
	s_add_i32 s40, s40, 64
	s_and_b64 vcc, exec, vcc
	s_waitcnt vmcnt(3)
	ds_write_b32 v117, v30 offset:13312
	s_waitcnt vmcnt(2)
	ds_write_b128 v118, v[12:15]
	s_waitcnt vmcnt(1)
	ds_write_b128 v119, v[16:19]
	;; [unrolled: 2-line block ×3, first 2 shown]
	s_waitcnt lgkmcnt(0)
	s_barrier
	ds_read2_b64 v[24:27], v121 offset1:4
	ds_read2_b64 v[28:31], v136 offset0:160 offset1:164
	ds_read2_b64 v[18:21], v137 offset0:64 offset1:68
	;; [unrolled: 1-line block ×3, first 2 shown]
	s_waitcnt lgkmcnt(3)
	v_mfma_f32_16x16x16_f16 v[36:39], v[24:25], v[8:9], 0
	ds_read2_b64 v[140:143], v138 offset0:232 offset1:236
	s_waitcnt lgkmcnt(3)
	v_mfma_f32_16x16x16_f16 v[32:35], v[28:29], v[8:9], 0
	s_waitcnt lgkmcnt(2)
	v_mfma_f32_16x16x16_f16 v[22:25], v[18:19], v[8:9], 0
	;; [unrolled: 2-line block ×3, first 2 shown]
	v_mfma_f32_16x16x16_f16 v[26:29], v[26:27], v[10:11], v[36:39]
	v_mfma_f32_16x16x16_f16 v[30:33], v[30:31], v[10:11], v[32:35]
	s_nop 1
	v_lshl_add_u64 v[38:39], v[42:43], 2, s[0:1]
	v_lshl_add_u64 v[152:153], v[38:39], 0, v[62:63]
	v_mfma_f32_16x16x16_f16 v[12:15], v[14:15], v[10:11], v[16:19]
	ds_read2_b64 v[34:37], v136 offset0:168 offset1:172
	s_nop 1
	ds_read2_b64 v[16:19], v121 offset0:8 offset1:12
	v_mfma_f32_16x16x16_f16 v[20:23], v[20:21], v[10:11], v[22:25]
	s_waitcnt lgkmcnt(0)
	v_mfma_f32_16x16x16_f16 v[24:27], v[16:17], v[4:5], v[26:29]
	v_mfma_f32_16x16x16_f16 v[28:31], v[34:35], v[4:5], v[30:33]
	s_nop 2
	ds_read2_b64 v[32:35], v137 offset0:72 offset1:76
	v_mfma_f32_16x16x16_f16 v[16:19], v[18:19], v[6:7], v[24:27]
	s_nop 2
	ds_read2_b64 v[24:27], v121 offset0:16 offset1:20
	s_waitcnt lgkmcnt(1)
	v_mfma_f32_16x16x16_f16 v[20:23], v[32:33], v[4:5], v[20:23]
	v_mfma_f32_16x16x16_f16 v[12:15], v[140:141], v[4:5], v[12:15]
	;; [unrolled: 1-line block ×3, first 2 shown]
	ds_read2_b64 v[36:39], v136 offset0:176 offset1:180
	ds_read2_b64 v[144:147], v137 offset0:80 offset1:84
	;; [unrolled: 1-line block ×3, first 2 shown]
	s_waitcnt lgkmcnt(0)
	s_barrier
	v_mfma_f32_16x16x16_f16 v[32:35], v[34:35], v[6:7], v[20:23]
	ds_read_b32 v67, v122 offset:13312
	ds_read_b32 v116, v123 offset:13312
	ds_read2_b32 v[158:159], v129 offset1:1
	ds_read2_b32 v[160:161], v130 offset1:1
	;; [unrolled: 1-line block ×3, first 2 shown]
	v_mfma_f32_16x16x16_f16 v[140:143], v[142:143], v[6:7], v[12:15]
	s_waitcnt lgkmcnt(4)
	v_cvt_f32_f16_e32 v133, v67
	v_cvt_f32_f16_sdwa v67, v67 dst_sel:DWORD dst_unused:UNUSED_PAD src0_sel:WORD_1
	v_mfma_f32_16x16x16_f16 v[148:151], v[24:25], v[0:1], v[16:19]
	global_load_dwordx4 v[12:15], v[152:153], off offset:128
	s_nop 1
	global_load_dwordx4 v[16:19], v[154:155], off
	global_load_dwordx4 v[20:23], v[156:157], off
	s_waitcnt lgkmcnt(1)
	v_cvt_f32_f16_sdwa v152, v161 dst_sel:DWORD dst_unused:UNUSED_PAD src0_sel:WORD_1
	v_mfma_f32_16x16x16_f16 v[28:31], v[36:37], v[0:1], v[28:31]
	s_waitcnt lgkmcnt(0)
	v_cvt_f32_f16_e32 v153, v162
	v_cvt_f32_f16_sdwa v154, v163 dst_sel:DWORD dst_unused:UNUSED_PAD src0_sel:WORD_1
	s_waitcnt vmcnt(2)
	ds_write_b128 v118, v[12:15]
	s_waitcnt vmcnt(1)
	ds_write_b128 v119, v[16:19]
	;; [unrolled: 2-line block ×3, first 2 shown]
	v_mfma_f32_16x16x16_f16 v[32:35], v[144:145], v[0:1], v[32:35]
	v_cvt_f32_f16_e32 v144, v116
	v_cvt_f32_f16_sdwa v116, v116 dst_sel:DWORD dst_unused:UNUSED_PAD src0_sel:WORD_1
	v_cvt_f32_f16_e32 v145, v159
	v_mfma_f32_16x16x16_f16 v[24:27], v[26:27], v[2:3], v[148:151]
	s_waitcnt lgkmcnt(0)
	s_barrier
	v_mfma_f32_16x16x16_f16 v[140:143], v[136:137], v[0:1], v[140:143]
	v_cvt_f32_f16_e32 v136, v158
	v_cvt_f32_f16_sdwa v137, v158 dst_sel:DWORD dst_unused:UNUSED_PAD src0_sel:WORD_1
	v_cvt_f32_f16_sdwa v148, v159 dst_sel:DWORD dst_unused:UNUSED_PAD src0_sel:WORD_1
	v_mfma_f32_16x16x16_f16 v[28:31], v[38:39], v[2:3], v[28:31]
	v_cvt_f32_f16_e32 v149, v160
	v_cvt_f32_f16_sdwa v150, v160 dst_sel:DWORD dst_unused:UNUSED_PAD src0_sel:WORD_1
	v_add_f32_e32 v24, v24, v133
	v_mfma_f32_16x16x16_f16 v[32:35], v[146:147], v[2:3], v[32:35]
	v_add_f32_e32 v25, v25, v67
	v_cvt_f32_f16_e32 v151, v161
	v_add_f32_e32 v26, v26, v144
	v_add_f32_e32 v27, v27, v116
	;; [unrolled: 1-line block ×4, first 2 shown]
	v_cvt_f32_f16_sdwa v146, v162 dst_sel:DWORD dst_unused:UNUSED_PAD src0_sel:WORD_1
	v_mfma_f32_16x16x16_f16 v[36:39], v[138:139], v[2:3], v[140:143]
	v_add_f32_e32 v28, v28, v136
	v_add_f32_e32 v29, v29, v137
	;; [unrolled: 1-line block ×4, first 2 shown]
	v_max3_f32 v67, v135, v67, v116
	v_cvt_f32_f16_e32 v147, v163
	v_add_f32_e32 v30, v30, v145
	v_add_f32_e32 v31, v31, v148
	v_add_f32_e32 v137, 0x40051340, v28
	v_add_f32_e32 v138, 0x40051340, v29
	v_max3_f32 v67, v67, v133, v136
	v_add_f32_e32 v32, v32, v149
	v_add_f32_e32 v33, v33, v150
	v_add_f32_e32 v139, 0x40051340, v30
	v_add_f32_e32 v140, 0x40051340, v31
	v_max3_f32 v67, v67, v137, v138
	;; [unrolled: 5-line block ×5, first 2 shown]
	v_add_f32_e32 v147, 0x40051340, v38
	v_add_f32_e32 v148, 0x40051340, v39
	v_max3_f32 v67, v67, v145, v146
	v_max3_f32 v67, v67, v147, v148
	ds_bpermute_b32 v116, v124, v67
	s_waitcnt lgkmcnt(0)
	v_max_f32_e32 v116, v116, v116
	v_max_f32_e32 v67, v67, v116
	ds_bpermute_b32 v116, v125, v67
	s_waitcnt lgkmcnt(0)
	v_max_f32_e32 v116, v116, v116
	v_max_f32_e32 v133, v67, v116
	v_sub_f32_e32 v24, v24, v133
	v_sub_f32_e32 v25, v25, v133
	v_sub_f32_e32 v26, v26, v133
	v_sub_f32_e32 v27, v27, v133
	v_sub_f32_e32 v28, v28, v133
	v_sub_f32_e32 v29, v29, v133
	v_sub_f32_e32 v30, v30, v133
	v_sub_f32_e32 v31, v31, v133
	v_sub_f32_e32 v32, v32, v133
	v_sub_f32_e32 v33, v33, v133
	v_sub_f32_e32 v34, v34, v133
	v_sub_f32_e32 v35, v35, v133
	v_sub_f32_e32 v36, v36, v133
	v_sub_f32_e32 v37, v37, v133
	v_sub_f32_e32 v38, v38, v133
	v_sub_f32_e32 v39, v39, v133
	v_sub_f32_e32 v67, v135, v133
	v_mul_f32_e32 v116, 0x3fb8aa3b, v24
	v_mul_f32_e32 v135, 0x3fb8aa3b, v25
	;; [unrolled: 1-line block ×17, first 2 shown]
	v_fma_f32 v151, v24, s2, -v116
	v_rndne_f32_e32 v152, v116
	v_fma_f32 v153, v25, s2, -v135
	v_rndne_f32_e32 v154, v135
	;; [unrolled: 2-line block ×17, first 2 shown]
	v_fmac_f32_e32 v151, 0x32a5705f, v24
	v_sub_f32_e32 v116, v116, v152
	v_fmac_f32_e32 v153, 0x32a5705f, v25
	v_sub_f32_e32 v135, v135, v154
	;; [unrolled: 2-line block ×17, first 2 shown]
	v_add_f32_e32 v116, v116, v151
	v_add_f32_e32 v135, v135, v153
	v_cvt_i32_f32_e32 v152, v152
	v_cvt_i32_f32_e32 v154, v154
	v_add_f32_e32 v136, v136, v155
	v_add_f32_e32 v137, v137, v157
	;; [unrolled: 1-line block ×15, first 2 shown]
	v_exp_f32_e32 v116, v116
	v_exp_f32_e32 v135, v135
	v_cvt_i32_f32_e32 v156, v156
	v_cvt_i32_f32_e32 v158, v158
	v_cvt_i32_f32_e32 v160, v160
	v_cvt_i32_f32_e32 v162, v162
	v_cvt_i32_f32_e32 v164, v164
	v_cvt_i32_f32_e32 v166, v166
	v_cvt_i32_f32_e32 v168, v168
	v_cvt_i32_f32_e32 v170, v170
	v_cvt_i32_f32_e32 v172, v172
	v_cvt_i32_f32_e32 v174, v174
	v_cvt_i32_f32_e32 v176, v176
	v_cvt_i32_f32_e32 v178, v178
	v_cvt_i32_f32_e32 v180, v180
	v_cvt_i32_f32_e32 v182, v182
	v_cvt_i32_f32_e32 v184, v184
	v_exp_f32_e32 v136, v136
	v_exp_f32_e32 v137, v137
	;; [unrolled: 1-line block ×15, first 2 shown]
	v_ldexp_f32 v116, v116, v152
	v_ldexp_f32 v135, v135, v154
	v_cmp_ngt_f32_e64 s[0:1], s3, v25
	v_cmp_ngt_f32_e64 s[36:37], s3, v24
	v_ldexp_f32 v136, v136, v156
	v_cmp_ngt_f32_e64 s[4:5], s3, v26
	v_ldexp_f32 v137, v137, v158
	;; [unrolled: 2-line block ×15, first 2 shown]
	v_cmp_ngt_f32_e64 s[34:35], s3, v67
	v_cndmask_b32_e64 v116, 0, v116, s[36:37]
	v_cndmask_b32_e64 v135, 0, v135, s[0:1]
	v_cmp_nlt_f32_e64 s[0:1], s33, v25
	v_cmp_nlt_f32_e64 s[36:37], s33, v24
	v_cndmask_b32_e64 v25, 0, v136, s[4:5]
	v_cmp_nlt_f32_e64 s[4:5], s33, v26
	v_cndmask_b32_e64 v26, 0, v137, s[6:7]
	;; [unrolled: 2-line block ×16, first 2 shown]
	v_cndmask_b32_e64 v116, v132, v135, s[0:1]
	v_cndmask_b32_e64 v135, v132, v25, s[4:5]
	;; [unrolled: 1-line block ×4, first 2 shown]
	v_cmp_le_f32_e64 s[0:1], s46, v67
	v_add_f32_e32 v32, v24, v116
	v_cndmask_b32_e64 v136, v132, v26, s[6:7]
	v_cndmask_b32_e64 v67, 0, v25, s[0:1]
	v_add_f32_e32 v32, v135, v32
	v_cndmask_b32_e64 v137, v132, v27, s[8:9]
	v_cndmask_b32_e64 v145, v132, v33, s[20:21]
	v_cvt_f16_f32_e32 v33, v67
	v_add_f32_e32 v32, v136, v32
	v_cndmask_b32_e64 v138, v132, v28, s[10:11]
	v_add_f32_e32 v32, v137, v32
	v_cndmask_b32_e64 v139, v132, v29, s[12:13]
	;; [unrolled: 2-line block ×4, first 2 shown]
	v_cvt_pk_f16_f32 v29, v139, v30
	v_mul_u32_u24_e32 v33, 0x10001, v33
	v_add_f32_e32 v30, v30, v32
	v_cvt_pk_f16_f32 v39, v135, v136
	v_pk_mul_f16 v81, v81, v33
	v_add_f32_e32 v135, v31, v30
	v_cvt_f32_f16_e32 v142, v81
	v_cvt_f32_f16_sdwa v143, v81 dst_sel:DWORD dst_unused:UNUSED_PAD src0_sel:WORD_1
	v_add_f32_e32 v81, v144, v135
	v_cndmask_b32_e64 v146, v132, v34, s[22:23]
	v_add_f32_e32 v81, v145, v81
	v_cndmask_b32_e64 v147, v132, v35, s[24:25]
	v_cndmask_b32_e64 v148, v132, v36, s[26:27]
	;; [unrolled: 1-line block ×3, first 2 shown]
	v_pk_mul_f16 v32, v113, v33
	v_pk_mul_f16 v34, v112, v33
	;; [unrolled: 1-line block ×10, first 2 shown]
	v_add_f32_e32 v81, v146, v81
	v_cndmask_b32_e64 v150, v132, v38, s[30:31]
	v_cvt_pk_f16_f32 v38, v24, v116
	v_cvt_pk_f16_f32 v28, v137, v138
	;; [unrolled: 1-line block ×5, first 2 shown]
	v_pk_mul_f16 v116, v82, v33
	v_cvt_f32_f16_e32 v82, v88
	v_cvt_f32_f16_sdwa v83, v88 dst_sel:DWORD dst_unused:UNUSED_PAD src0_sel:WORD_1
	v_cvt_f32_f16_e32 v84, v87
	v_cvt_f32_f16_sdwa v85, v87 dst_sel:DWORD dst_unused:UNUSED_PAD src0_sel:WORD_1
	;; [unrolled: 2-line block ×6, first 2 shown]
	v_add_f32_e32 v81, v147, v81
	ds_read_u16 v12, v126 offset:208
	ds_read_u16 v14, v126
	ds_read_u16 v15, v126 offset:32
	ds_read_u16 v16, v126 offset:240
	;; [unrolled: 1-line block ×14, first 2 shown]
	ds_read_u16 v13, v127
	ds_read_u16 v21, v127 offset:32
	ds_read_u16 v112, v127 offset:3328
	;; [unrolled: 1-line block ×7, first 2 shown]
	ds_read_u16 v113, v128
	ds_read_u16 v147, v128 offset:32
	ds_read_u16 v135, v128 offset:3328
	;; [unrolled: 1-line block ×71, first 2 shown]
	s_waitcnt lgkmcnt(14)
	v_perm_b32 v13, v113, v13, s47
	v_perm_b32 v113, v135, v112, s47
	;; [unrolled: 1-line block ×14, first 2 shown]
	v_mfma_f32_16x16x16_f16 v[20:23], v[20:21], v[38:39], v[82:85]
	v_cvt_f32_f16_e32 v30, v32
	v_cvt_f32_f16_sdwa v31, v32 dst_sel:DWORD dst_unused:UNUSED_PAD src0_sel:WORD_1
	v_cvt_f32_f16_e32 v32, v34
	v_perm_b32 v83, v176, v175, s47
	v_perm_b32 v82, v174, v91, s47
	v_cvt_f32_f16_sdwa v33, v34 dst_sel:DWORD dst_unused:UNUSED_PAD src0_sel:WORD_1
	v_cvt_f32_f16_e32 v34, v35
	v_cvt_f32_f16_sdwa v35, v35 dst_sel:DWORD dst_unused:UNUSED_PAD src0_sel:WORD_1
	v_cvt_f32_f16_e32 v36, v37
	;; [unrolled: 2-line block ×3, first 2 shown]
	v_cvt_f32_f16_sdwa v141, v116 dst_sel:DWORD dst_unused:UNUSED_PAD src0_sel:WORD_1
	v_mfma_f32_16x16x16_f16 v[12:15], v[12:13], v[38:39], v[30:33]
	v_add_f32_e32 v81, v148, v81
	v_add_f32_e32 v81, v149, v81
	;; [unrolled: 1-line block ×3, first 2 shown]
	v_mfma_f32_16x16x16_f16 v[16:19], v[16:17], v[38:39], v[34:37]
	v_fmac_f32_e32 v116, v134, v67
	s_nop 2
	v_cvt_f16_f32_e32 v12, v12
	v_cvt_f16_f32_e32 v13, v13
	v_mfma_f32_16x16x16_f16 v[30:33], v[158:159], v[38:39], v[86:89]
	v_cvt_f16_f32_e32 v14, v14
	v_cvt_f16_f32_e32 v15, v15
	v_cvt_f16_f32_e32 v16, v16
	v_mfma_f32_16x16x16_f16 v[34:37], v[166:167], v[38:39], v[136:139]
	v_cvt_f16_f32_e32 v17, v17
	;; [unrolled: 4-line block ×3, first 2 shown]
	v_cvt_f16_f32_e32 v21, v21
	v_cvt_f16_f32_e32 v22, v22
	;; [unrolled: 1-line block ×15, first 2 shown]
	v_perm_b32 v153, v181, v163, s47
	v_perm_b32 v152, v156, v152, s47
	;; [unrolled: 1-line block ×9, first 2 shown]
	v_cvt_f32_f16_e32 v12, v12
	v_cvt_f32_f16_e32 v13, v13
	;; [unrolled: 1-line block ×24, first 2 shown]
	v_mfma_f32_16x16x16_f16 v[12:15], v[112:113], v[28:29], v[12:15]
	v_cvt_pk_f16_f32 v25, v149, v150
	v_perm_b32 v135, v173, v145, s47
	v_perm_b32 v134, v188, v187, s47
	v_mfma_f32_16x16x16_f16 v[16:19], v[146:147], v[28:29], v[16:19]
	v_perm_b32 v149, v180, v157, s47
	s_nop 2
	v_cvt_f16_f32_e32 v12, v12
	v_cvt_f16_f32_e32 v13, v13
	v_mfma_f32_16x16x16_f16 v[20:23], v[152:153], v[28:29], v[20:23]
	v_cvt_f16_f32_e32 v14, v14
	v_cvt_f16_f32_e32 v15, v15
	v_cvt_f16_f32_e32 v16, v16
	v_mfma_f32_16x16x16_f16 v[30:33], v[160:161], v[28:29], v[30:33]
	v_cvt_f16_f32_e32 v17, v17
	;; [unrolled: 4-line block ×4, first 2 shown]
	v_cvt_f16_f32_e32 v28, v30
	v_cvt_f16_f32_e32 v29, v31
	;; [unrolled: 1-line block ×12, first 2 shown]
	v_perm_b32 v148, v190, v189, s47
	v_perm_b32 v155, v182, v164, s47
	;; [unrolled: 1-line block ×4, first 2 shown]
	s_waitcnt lgkmcnt(11)
	v_perm_b32 v171, v215, v207, s47
	v_perm_b32 v170, v201, v193, s47
	s_waitcnt lgkmcnt(8)
	v_perm_b32 v89, v218, v210, s47
	v_perm_b32 v88, v202, v194, s47
	v_cvt_f32_f16_e32 v12, v12
	v_cvt_f32_f16_e32 v13, v13
	;; [unrolled: 1-line block ×24, first 2 shown]
	v_mfma_f32_16x16x16_f16 v[12:15], v[134:135], v[26:27], v[12:15]
	v_perm_b32 v145, v211, v203, s47
	s_waitcnt lgkmcnt(7)
	v_perm_b32 v144, v219, v195, s47
	v_perm_b32 v151, v212, v204, s47
	v_mfma_f32_16x16x16_f16 v[16:19], v[148:149], v[26:27], v[16:19]
	s_waitcnt lgkmcnt(6)
	v_perm_b32 v150, v220, v196, s47
	s_nop 0
	v_cvt_f16_f32_e32 v12, v12
	v_cvt_f16_f32_e32 v13, v13
	v_mfma_f32_16x16x16_f16 v[20:23], v[154:155], v[26:27], v[20:23]
	v_cvt_f16_f32_e32 v14, v14
	v_cvt_f16_f32_e32 v15, v15
	v_cvt_f16_f32_e32 v16, v16
	v_mfma_f32_16x16x16_f16 v[28:31], v[162:163], v[26:27], v[28:31]
	v_cvt_f16_f32_e32 v17, v17
	;; [unrolled: 4-line block ×4, first 2 shown]
	v_cvt_f16_f32_e32 v26, v28
	v_cvt_f16_f32_e32 v27, v29
	;; [unrolled: 1-line block ×12, first 2 shown]
	v_perm_b32 v157, v213, v205, s47
	s_waitcnt lgkmcnt(5)
	v_perm_b32 v156, v221, v198, s47
	v_perm_b32 v165, v214, v206, s47
	s_waitcnt lgkmcnt(4)
	v_perm_b32 v164, v222, v200, s47
	;; [unrolled: 3-line block ×4, first 2 shown]
	v_cvt_f32_f16_e32 v12, v12
	v_cvt_f32_f16_e32 v13, v13
	;; [unrolled: 1-line block ×24, first 2 shown]
	v_mfma_f32_16x16x16_f16 v[12:15], v[144:145], v[24:25], v[12:15]
	s_barrier
	v_mfma_f32_16x16x16_f16 v[16:19], v[150:151], v[24:25], v[16:19]
	v_mfma_f32_16x16x16_f16 v[20:23], v[156:157], v[24:25], v[20:23]
	s_nop 4
	v_cvt_pk_f16_f32 v113, v12, v13
	s_nop 0
	v_cvt_pk_f16_f32 v91, v16, v17
	v_cvt_pk_f16_f32 v89, v18, v19
	v_mfma_f32_16x16x16_f16 v[26:29], v[164:165], v[24:25], v[26:29]
	v_cvt_pk_f16_f32 v112, v14, v15
	v_cvt_pk_f16_f32 v88, v20, v21
	;; [unrolled: 1-line block ×3, first 2 shown]
	v_mfma_f32_16x16x16_f16 v[30:33], v[172:173], v[24:25], v[30:33]
	v_mfma_f32_16x16x16_f16 v[34:37], v[136:137], v[24:25], v[34:37]
	s_nop 2
	v_cvt_pk_f16_f32 v86, v26, v27
	v_cvt_pk_f16_f32 v85, v28, v29
	s_nop 1
	v_cvt_pk_f16_f32 v84, v30, v31
	v_cvt_pk_f16_f32 v83, v32, v33
	;; [unrolled: 1-line block ×4, first 2 shown]
	s_cbranch_vccnz .LBB14_308
; %bb.309:
	v_mov_b64_e32 v[12:13], s[56:57]
	v_mov_b64_e32 v[14:15], s[54:55]
.LBB14_310:
	s_lshl_b32 s0, s70, 6
	s_ashr_i32 s1, s0, 31
	s_lshl_b64 s[2:3], s[0:1], 1
	s_add_u32 s2, s42, s2
	s_addc_u32 s3, s43, s3
	v_lshl_add_u64 v[16:17], v[50:51], 1, s[2:3]
	v_lshl_add_u64 v[16:17], v[48:49], 1, v[16:17]
	global_load_dword v36, v[16:17], off
	v_mul_lo_u32 v16, v14, s1
	v_mul_hi_u32 v17, v14, s0
	v_add_u32_e32 v16, v17, v16
	v_mul_lo_u32 v15, v15, s0
	v_add_u32_e32 v15, v16, v15
	v_mul_lo_u32 v14, v14, s0
	v_lshlrev_b64 v[14:15], 2, v[14:15]
	v_lshl_add_u64 v[18:19], s[44:45], 0, v[14:15]
	v_lshl_add_u64 v[14:15], v[54:55], 2, v[18:19]
	v_lshlrev_b64 v[16:17], 2, v[52:53]
	v_lshl_add_u64 v[20:21], v[14:15], 0, v[16:17]
	v_lshl_add_u64 v[22:23], v[58:59], 2, v[18:19]
	;; [unrolled: 3-line block ×3, first 2 shown]
	v_lshl_add_u64 v[18:19], v[18:19], 0, v[14:15]
	global_load_dwordx4 v[24:27], v[20:21], off
	global_load_dwordx4 v[28:31], v[22:23], off
	;; [unrolled: 1-line block ×3, first 2 shown]
	v_lshlrev_b32_e32 v18, 1, v48
	v_lshlrev_b32_e32 v19, 2, v52
	v_lshlrev_b32_e32 v22, 2, v56
	v_add3_u32 v23, 0, v95, v79
	v_add3_u32 v18, 0, v115, v18
	v_add3_u32 v20, 0, v100, v19
	v_add3_u32 v21, 0, v109, v22
	v_add3_u32 v22, 0, v111, v22
	v_add_u32_e32 v19, 0x1800, v23
	v_add_u32_e32 v64, 0x2000, v23
	v_cmp_lt_i32_e32 vcc, v98, v97
	s_mov_b32 s4, 0x3fb8aa3b
	s_mov_b32 s3, 0xc2ce8ed0
	;; [unrolled: 1-line block ×3, first 2 shown]
	s_waitcnt vmcnt(3)
	ds_write_b32 v18, v36 offset:13312
	s_waitcnt vmcnt(2)
	ds_write_b128 v20, v[24:27]
	s_waitcnt vmcnt(1)
	ds_write_b128 v21, v[28:31]
	;; [unrolled: 2-line block ×3, first 2 shown]
	v_add_u32_e32 v18, 0x800, v23
	s_waitcnt lgkmcnt(0)
	s_barrier
	ds_read2_b64 v[24:27], v23 offset1:4
	ds_read2_b64 v[32:35], v18 offset0:160 offset1:164
	ds_read2_b64 v[48:51], v19 offset0:64 offset1:68
	;; [unrolled: 1-line block ×3, first 2 shown]
	s_waitcnt lgkmcnt(3)
	v_mfma_f32_16x16x16_f16 v[28:31], v[24:25], v[8:9], 0
	s_waitcnt lgkmcnt(2)
	v_mfma_f32_16x16x16_f16 v[36:39], v[32:33], v[8:9], 0
	v_mfma_f32_16x16x16_f16 v[24:27], v[26:27], v[10:11], v[28:31]
	;; [unrolled: 1-line block ×3, first 2 shown]
	s_nop 5
	ds_read2_b64 v[36:39], v23 offset0:8 offset1:12
	s_waitcnt lgkmcnt(2)
	v_mfma_f32_16x16x16_f16 v[52:55], v[48:49], v[8:9], 0
	s_waitcnt lgkmcnt(1)
	v_mfma_f32_16x16x16_f16 v[60:63], v[56:57], v[8:9], 0
	v_mfma_f32_16x16x16_f16 v[32:35], v[50:51], v[10:11], v[52:55]
	ds_read2_b64 v[48:51], v18 offset0:168 offset1:172
	v_mfma_f32_16x16x16_f16 v[8:11], v[58:59], v[10:11], v[60:63]
	s_nop 2
	ds_read2_b64 v[52:55], v19 offset0:72 offset1:76
	ds_read2_b64 v[56:59], v64 offset0:232 offset1:236
	s_waitcnt lgkmcnt(3)
	v_mfma_f32_16x16x16_f16 v[24:27], v[36:37], v[4:5], v[24:27]
	v_mfma_f32_16x16x16_f16 v[24:27], v[38:39], v[6:7], v[24:27]
	ds_read2_b64 v[36:39], v23 offset0:16 offset1:20
	s_waitcnt lgkmcnt(3)
	v_mfma_f32_16x16x16_f16 v[28:31], v[48:49], v[4:5], v[28:31]
	s_waitcnt lgkmcnt(2)
	v_mfma_f32_16x16x16_f16 v[32:35], v[52:53], v[4:5], v[32:35]
	v_add_u32_e32 v52, 0, v107
	v_lshl_add_u32 v23, v105, 2, v52
	v_lshl_add_u32 v60, v106, 2, v52
	s_waitcnt lgkmcnt(1)
	v_mfma_f32_16x16x16_f16 v[8:11], v[56:57], v[4:5], v[8:11]
	v_lshl_add_u32 v56, v110, 2, v52
	v_lshl_add_u32 v57, v108, 2, v52
	v_mfma_f32_16x16x16_f16 v[28:31], v[50:51], v[6:7], v[28:31]
	ds_read2_b64 v[48:51], v18 offset0:176 offset1:180
	v_lshl_add_u32 v18, v103, 2, v52
	v_mfma_f32_16x16x16_f16 v[32:35], v[54:55], v[6:7], v[32:35]
	v_mfma_f32_16x16x16_f16 v[4:7], v[58:59], v[6:7], v[8:11]
	v_lshl_add_u32 v58, v104, 2, v52
	s_nop 1
	ds_read2_b64 v[8:11], v19 offset0:80 offset1:84
	s_waitcnt lgkmcnt(2)
	v_mfma_f32_16x16x16_f16 v[24:27], v[36:37], v[0:1], v[24:27]
	v_lshl_add_u32 v19, v101, 2, v52
	v_lshl_add_u32 v36, v102, 2, v52
	ds_read2_b64 v[52:55], v64 offset0:240 offset1:244
	s_waitcnt lgkmcnt(2)
	v_mfma_f32_16x16x16_f16 v[28:31], v[48:49], v[0:1], v[28:31]
	s_waitcnt lgkmcnt(0)
	s_barrier
	v_mfma_f32_16x16x16_f16 v[32:35], v[8:9], v[0:1], v[32:35]
	ds_read_b32 v8, v56 offset:13312
	ds_read_b32 v9, v57 offset:13312
	ds_read_b32 v23, v23 offset:13312
	ds_read_b32 v37, v60 offset:13312
	ds_read_b32 v18, v18 offset:13312
	ds_read_b32 v48, v58 offset:13312
	ds_read_b32 v19, v19 offset:13312
	ds_read_b32 v36, v36 offset:13312
	s_waitcnt lgkmcnt(7)
	v_cvt_f32_f16_e32 v49, v8
	v_mfma_f32_16x16x16_f16 v[4:7], v[52:53], v[0:1], v[4:7]
	v_cvt_f32_f16_sdwa v52, v8 dst_sel:DWORD dst_unused:UNUSED_PAD src0_sel:WORD_1
	s_waitcnt lgkmcnt(6)
	v_cvt_f32_f16_e32 v53, v9
	v_mfma_f32_16x16x16_f16 v[24:27], v[38:39], v[2:3], v[24:27]
	v_cvt_f32_f16_sdwa v38, v9 dst_sel:DWORD dst_unused:UNUSED_PAD src0_sel:WORD_1
	s_waitcnt lgkmcnt(5)
	v_cvt_f32_f16_e32 v39, v23
	v_cvt_f32_f16_sdwa v23, v23 dst_sel:DWORD dst_unused:UNUSED_PAD src0_sel:WORD_1
	v_mfma_f32_16x16x16_f16 v[28:31], v[50:51], v[2:3], v[28:31]
	s_waitcnt lgkmcnt(3)
	v_cvt_f32_f16_e32 v51, v18
	v_cvt_f32_f16_sdwa v18, v18 dst_sel:DWORD dst_unused:UNUSED_PAD src0_sel:WORD_1
	v_cvt_f32_f16_e32 v50, v37
	v_mfma_f32_16x16x16_f16 v[8:11], v[10:11], v[2:3], v[32:35]
	v_cvt_f32_f16_sdwa v37, v37 dst_sel:DWORD dst_unused:UNUSED_PAD src0_sel:WORD_1
	s_nop 1
	v_add_f32_e32 v23, v29, v23
	v_mfma_f32_16x16x16_f16 v[0:3], v[54:55], v[2:3], v[4:7]
	s_waitcnt lgkmcnt(2)
	v_cvt_f32_f16_e32 v32, v48
	s_nop 0
	v_add_f32_e32 v9, v9, v18
	s_waitcnt lgkmcnt(1)
	v_cvt_f32_f16_e32 v18, v19
	v_cvt_f32_f16_sdwa v19, v19 dst_sel:DWORD dst_unused:UNUSED_PAD src0_sel:WORD_1
	v_add_f32_e32 v4, v24, v49
	s_waitcnt lgkmcnt(0)
	v_cvt_f32_f16_e32 v24, v36
	v_add_f32_e32 v5, v25, v52
	v_cvt_f32_f16_sdwa v33, v48 dst_sel:DWORD dst_unused:UNUSED_PAD src0_sel:WORD_1
	v_add_f32_e32 v6, v26, v53
	v_add_f32_e32 v7, v27, v38
	;; [unrolled: 1-line block ×8, first 2 shown]
	v_max3_f32 v0, v133, v0, v1
	v_add_f32_e32 v1, 0x40051340, v6
	v_add_f32_e32 v2, 0x40051340, v7
	;; [unrolled: 1-line block ×4, first 2 shown]
	v_cvt_f32_f16_sdwa v25, v36 dst_sel:DWORD dst_unused:UNUSED_PAD src0_sel:WORD_1
	v_max3_f32 v0, v0, v1, v2
	v_add_f32_e32 v1, 0x40051340, v26
	v_add_f32_e32 v2, 0x40051340, v23
	;; [unrolled: 1-line block ×3, first 2 shown]
	v_max3_f32 v0, v0, v1, v2
	v_add_f32_e32 v1, 0x40051340, v27
	v_add_f32_e32 v2, 0x40051340, v28
	;; [unrolled: 1-line block ×4, first 2 shown]
	v_max3_f32 v0, v0, v1, v2
	v_add_f32_e32 v1, 0x40051340, v8
	v_add_f32_e32 v2, 0x40051340, v9
	v_max3_f32 v0, v0, v1, v2
	v_add_f32_e32 v1, 0x40051340, v10
	v_add_f32_e32 v2, 0x40051340, v11
	;; [unrolled: 1-line block ×3, first 2 shown]
	v_max3_f32 v0, v0, v1, v2
	v_add_f32_e32 v1, 0x40051340, v29
	v_add_f32_e32 v2, 0x40051340, v48
	v_max3_f32 v0, v0, v1, v2
	v_add_f32_e32 v1, 0x40051340, v49
	v_add_f32_e32 v2, 0x40051340, v50
	v_max3_f32 v0, v0, v1, v2
	v_cndmask_b32_e32 v1, v96, v98, vcc
	v_lshlrev_b32_e32 v25, 2, v1
	ds_bpermute_b32 v1, v25, v0
	v_cmp_lt_i32_e32 vcc, v99, v97
	s_waitcnt lgkmcnt(0)
	v_max_f32_e32 v1, v1, v1
	v_max_f32_e32 v0, v0, v1
	v_cndmask_b32_e32 v1, v96, v99, vcc
	v_lshlrev_b32_e32 v30, 2, v1
	ds_bpermute_b32 v1, v30, v0
	s_waitcnt lgkmcnt(0)
	v_max_f32_e32 v1, v1, v1
	v_max_f32_e32 v24, v0, v1
	v_sub_f32_e32 v0, v4, v24
	v_mul_f32_e32 v1, 0x3fb8aa3b, v0
	v_fma_f32 v2, v0, s4, -v1
	v_rndne_f32_e32 v3, v1
	v_fmac_f32_e32 v2, 0x32a5705f, v0
	v_sub_f32_e32 v1, v1, v3
	v_add_f32_e32 v1, v1, v2
	v_exp_f32_e32 v1, v1
	v_cvt_i32_f32_e32 v2, v3
	v_cmp_ngt_f32_e32 vcc, s3, v0
	v_ldexp_f32 v1, v1, v2
	v_sub_f32_e32 v2, v5, v24
	v_mul_f32_e32 v3, 0x3fb8aa3b, v2
	v_fma_f32 v4, v2, s4, -v3
	v_rndne_f32_e32 v5, v3
	v_fmac_f32_e32 v4, 0x32a5705f, v2
	v_sub_f32_e32 v3, v3, v5
	v_add_f32_e32 v3, v3, v4
	v_exp_f32_e32 v3, v3
	v_cvt_i32_f32_e32 v5, v5
	v_cndmask_b32_e32 v1, 0, v1, vcc
	v_mov_b32_e32 v4, 0x7f800000
	v_cmp_nlt_f32_e32 vcc, s2, v0
	v_ldexp_f32 v0, v3, v5
	s_nop 0
	v_cndmask_b32_e32 v18, v4, v1, vcc
	v_sub_f32_e32 v1, v6, v24
	v_mul_f32_e32 v3, 0x3fb8aa3b, v1
	v_fma_f32 v5, v1, s4, -v3
	v_rndne_f32_e32 v6, v3
	v_fmac_f32_e32 v5, 0x32a5705f, v1
	v_sub_f32_e32 v3, v3, v6
	v_add_f32_e32 v3, v3, v5
	v_exp_f32_e32 v3, v3
	v_cvt_i32_f32_e32 v5, v6
	v_cmp_ngt_f32_e32 vcc, s3, v2
	s_nop 1
	v_cndmask_b32_e32 v0, 0, v0, vcc
	v_cmp_nlt_f32_e32 vcc, s2, v2
	v_sub_f32_e32 v2, v7, v24
	s_nop 0
	v_cndmask_b32_e32 v19, v4, v0, vcc
	v_ldexp_f32 v0, v3, v5
	v_mul_f32_e32 v3, 0x3fb8aa3b, v2
	v_fma_f32 v5, v2, s4, -v3
	v_rndne_f32_e32 v6, v3
	v_fmac_f32_e32 v5, 0x32a5705f, v2
	v_sub_f32_e32 v3, v3, v6
	v_add_f32_e32 v3, v3, v5
	v_exp_f32_e32 v3, v3
	v_cvt_i32_f32_e32 v5, v6
	v_cmp_ngt_f32_e32 vcc, s3, v1
	s_nop 1
	v_cndmask_b32_e32 v0, 0, v0, vcc
	v_cmp_nlt_f32_e32 vcc, s2, v1
	v_sub_f32_e32 v1, v26, v24
	v_sub_f32_e32 v26, v133, v24
	v_cndmask_b32_e32 v31, v4, v0, vcc
	v_ldexp_f32 v0, v3, v5
	v_mul_f32_e32 v3, 0x3fb8aa3b, v1
	v_fma_f32 v5, v1, s4, -v3
	v_rndne_f32_e32 v6, v3
	v_fmac_f32_e32 v5, 0x32a5705f, v1
	v_sub_f32_e32 v3, v3, v6
	v_add_f32_e32 v3, v3, v5
	v_exp_f32_e32 v3, v3
	v_cvt_i32_f32_e32 v5, v6
	v_cmp_ngt_f32_e32 vcc, s3, v2
	s_nop 1
	v_cndmask_b32_e32 v0, 0, v0, vcc
	v_cmp_nlt_f32_e32 vcc, s2, v2
	v_sub_f32_e32 v2, v23, v24
	s_nop 0
	v_cndmask_b32_e32 v32, v4, v0, vcc
	v_ldexp_f32 v0, v3, v5
	v_mul_f32_e32 v3, 0x3fb8aa3b, v2
	v_fma_f32 v5, v2, s4, -v3
	v_rndne_f32_e32 v6, v3
	v_fmac_f32_e32 v5, 0x32a5705f, v2
	v_sub_f32_e32 v3, v3, v6
	v_add_f32_e32 v3, v3, v5
	v_exp_f32_e32 v3, v3
	v_cvt_i32_f32_e32 v5, v6
	v_cmp_ngt_f32_e32 vcc, s3, v1
	s_nop 1
	v_cndmask_b32_e32 v0, 0, v0, vcc
	v_cmp_nlt_f32_e32 vcc, s2, v1
	v_sub_f32_e32 v1, v27, v24
	v_mul_f32_e32 v27, 0x3fb8aa3b, v26
	v_cndmask_b32_e32 v33, v4, v0, vcc
	v_ldexp_f32 v0, v3, v5
	v_mul_f32_e32 v3, 0x3fb8aa3b, v1
	v_fma_f32 v5, v1, s4, -v3
	v_rndne_f32_e32 v6, v3
	v_fmac_f32_e32 v5, 0x32a5705f, v1
	v_sub_f32_e32 v3, v3, v6
	v_add_f32_e32 v3, v3, v5
	v_exp_f32_e32 v3, v3
	v_cvt_i32_f32_e32 v5, v6
	v_cmp_ngt_f32_e32 vcc, s3, v2
	s_nop 1
	v_cndmask_b32_e32 v0, 0, v0, vcc
	v_cmp_nlt_f32_e32 vcc, s2, v2
	v_sub_f32_e32 v2, v28, v24
	v_fma_f32 v28, v26, s4, -v27
	v_cndmask_b32_e32 v34, v4, v0, vcc
	v_ldexp_f32 v0, v3, v5
	v_mul_f32_e32 v3, 0x3fb8aa3b, v2
	v_fma_f32 v5, v2, s4, -v3
	v_rndne_f32_e32 v6, v3
	v_fmac_f32_e32 v5, 0x32a5705f, v2
	v_sub_f32_e32 v3, v3, v6
	v_add_f32_e32 v3, v3, v5
	v_exp_f32_e32 v3, v3
	v_cvt_i32_f32_e32 v5, v6
	v_cmp_ngt_f32_e32 vcc, s3, v1
	v_fmac_f32_e32 v28, 0x32a5705f, v26
	s_nop 0
	v_cndmask_b32_e32 v0, 0, v0, vcc
	v_cmp_nlt_f32_e32 vcc, s2, v1
	v_sub_f32_e32 v1, v8, v24
	s_nop 0
	v_cndmask_b32_e32 v35, v4, v0, vcc
	v_ldexp_f32 v0, v3, v5
	v_mul_f32_e32 v3, 0x3fb8aa3b, v1
	v_fma_f32 v5, v1, s4, -v3
	v_rndne_f32_e32 v6, v3
	v_fmac_f32_e32 v5, 0x32a5705f, v1
	v_sub_f32_e32 v3, v3, v6
	v_add_f32_e32 v3, v3, v5
	v_exp_f32_e32 v3, v3
	v_cvt_i32_f32_e32 v5, v6
	v_cmp_ngt_f32_e32 vcc, s3, v2
	s_nop 1
	v_cndmask_b32_e32 v0, 0, v0, vcc
	v_cmp_nlt_f32_e32 vcc, s2, v2
	v_sub_f32_e32 v2, v9, v24
	s_nop 0
	v_cndmask_b32_e32 v36, v4, v0, vcc
	v_ldexp_f32 v0, v3, v5
	v_mul_f32_e32 v3, 0x3fb8aa3b, v2
	v_fma_f32 v5, v2, s4, -v3
	v_rndne_f32_e32 v6, v3
	v_fmac_f32_e32 v5, 0x32a5705f, v2
	v_sub_f32_e32 v3, v3, v6
	v_add_f32_e32 v3, v3, v5
	v_exp_f32_e32 v3, v3
	v_cvt_i32_f32_e32 v5, v6
	v_cmp_ngt_f32_e32 vcc, s3, v1
	;; [unrolled: 16-line block ×3, first 2 shown]
	s_nop 1
	v_cndmask_b32_e32 v0, 0, v0, vcc
	v_cmp_nlt_f32_e32 vcc, s2, v2
	s_nop 1
	v_cndmask_b32_e32 v38, v4, v0, vcc
	v_ldexp_f32 v0, v3, v5
	v_sub_f32_e32 v5, v11, v24
	v_cmp_ngt_f32_e32 vcc, s3, v1
	v_mul_f32_e32 v2, 0x3fb8aa3b, v5
	v_fma_f32 v3, v5, s4, -v2
	v_cndmask_b32_e32 v0, 0, v0, vcc
	v_cmp_nlt_f32_e32 vcc, s2, v1
	v_rndne_f32_e32 v6, v2
	v_mul_hi_u32 v1, v12, s0
	v_cndmask_b32_e32 v39, v4, v0, vcc
	v_mul_lo_u32 v0, v12, s1
	v_fmac_f32_e32 v3, 0x32a5705f, v5
	v_sub_f32_e32 v2, v2, v6
	v_add_u32_e32 v0, v1, v0
	v_mul_lo_u32 v1, v13, s0
	v_add_f32_e32 v2, v2, v3
	v_add_u32_e32 v1, v0, v1
	v_mul_lo_u32 v0, v12, s0
	v_exp_f32_e32 v2, v2
	v_cvt_i32_f32_e32 v3, v6
	v_lshlrev_b64 v[0:1], 2, v[0:1]
	v_lshl_add_u64 v[6:7], s[38:39], 0, v[0:1]
	v_lshl_add_u64 v[0:1], v[42:43], 2, v[6:7]
	;; [unrolled: 1-line block ×4, first 2 shown]
	v_ldexp_f32 v23, v2, v3
	v_lshl_add_u64 v[16:17], v[0:1], 0, v[14:15]
	global_load_dwordx4 v[0:3], v[12:13], off
	global_load_dwordx4 v[8:11], v[16:17], off
	v_lshl_add_u64 v[6:7], v[46:47], 2, v[6:7]
	v_lshl_add_u64 v[6:7], v[6:7], 0, v[14:15]
	global_load_dwordx4 v[12:15], v[6:7], off
	v_sub_f32_e32 v6, v29, v24
	v_mul_f32_e32 v7, 0x3fb8aa3b, v6
	v_fma_f32 v16, v6, s4, -v7
	v_rndne_f32_e32 v17, v7
	v_fmac_f32_e32 v16, 0x32a5705f, v6
	v_sub_f32_e32 v7, v7, v17
	v_add_f32_e32 v7, v7, v16
	v_exp_f32_e32 v7, v7
	v_cvt_i32_f32_e32 v16, v17
	v_cmp_ngt_f32_e32 vcc, s3, v5
	v_rndne_f32_e32 v29, v27
	v_sub_f32_e32 v27, v27, v29
	v_cndmask_b32_e32 v17, 0, v23, vcc
	v_cmp_nlt_f32_e32 vcc, s2, v5
	v_ldexp_f32 v5, v7, v16
	v_sub_f32_e32 v7, v48, v24
	v_mul_f32_e32 v16, 0x3fb8aa3b, v7
	v_cndmask_b32_e32 v42, v4, v17, vcc
	v_fma_f32 v17, v7, s4, -v16
	v_rndne_f32_e32 v23, v16
	v_fmac_f32_e32 v17, 0x32a5705f, v7
	v_sub_f32_e32 v16, v16, v23
	v_add_f32_e32 v16, v16, v17
	v_exp_f32_e32 v16, v16
	v_cvt_i32_f32_e32 v17, v23
	v_cmp_ngt_f32_e32 vcc, s3, v6
	v_add_f32_e32 v27, v27, v28
	v_exp_f32_e32 v27, v27
	v_cndmask_b32_e32 v5, 0, v5, vcc
	v_cmp_nlt_f32_e32 vcc, s2, v6
	v_cvt_i32_f32_e32 v28, v29
	s_mov_b32 s0, 0xc1a00000
	v_cndmask_b32_e32 v43, v4, v5, vcc
	v_ldexp_f32 v5, v16, v17
	v_sub_f32_e32 v16, v49, v24
	v_mul_f32_e32 v6, 0x3fb8aa3b, v16
	v_fma_f32 v17, v16, s4, -v6
	v_rndne_f32_e32 v23, v6
	v_fmac_f32_e32 v17, 0x32a5705f, v16
	v_sub_f32_e32 v6, v6, v23
	v_add_f32_e32 v6, v6, v17
	v_exp_f32_e32 v6, v6
	v_cvt_i32_f32_e32 v17, v23
	v_cmp_ngt_f32_e32 vcc, s3, v7
	v_add3_u32 v47, 0, v93, v90
	s_waitcnt vmcnt(2)
	ds_write_b128 v20, v[0:3]
	s_waitcnt vmcnt(1)
	ds_write_b128 v21, v[8:11]
	;; [unrolled: 2-line block ×3, first 2 shown]
	v_cndmask_b32_e32 v5, 0, v5, vcc
	v_cmp_nlt_f32_e32 vcc, s2, v7
	s_waitcnt lgkmcnt(0)
	s_barrier
	v_cndmask_b32_e32 v44, v4, v5, vcc
	v_ldexp_f32 v5, v6, v17
	v_sub_f32_e32 v6, v50, v24
	v_mul_f32_e32 v7, 0x3fb8aa3b, v6
	v_fma_f32 v17, v6, s4, -v7
	v_rndne_f32_e32 v23, v7
	v_cmp_ngt_f32_e32 vcc, s3, v16
	v_fmac_f32_e32 v17, 0x32a5705f, v6
	v_sub_f32_e32 v7, v7, v23
	v_cndmask_b32_e32 v5, 0, v5, vcc
	v_add_f32_e32 v7, v7, v17
	v_cvt_i32_f32_e32 v17, v23
	v_ldexp_f32 v23, v27, v28
	v_cmp_ngt_f32_e32 vcc, s3, v26
	v_exp_f32_e32 v7, v7
	s_nop 0
	v_cndmask_b32_e32 v23, 0, v23, vcc
	v_cmp_nlt_f32_e32 vcc, s2, v26
	v_ldexp_f32 v7, v7, v17
	v_add3_u32 v17, 0, v92, v90
	v_cndmask_b32_e32 v23, v4, v23, vcc
	v_cmp_le_f32_e32 vcc, s0, v26
	v_add3_u32 v48, 0, v94, v90
	s_mov_b32 s0, 0x5040100
	v_cndmask_b32_e32 v45, 0, v23, vcc
	v_cvt_f16_f32_e32 v23, v45
	v_cmp_nlt_f32_e32 vcc, s2, v16
	v_cvt_pk_f16_f32 v21, v31, v32
	v_cvt_pk_f16_f32 v27, v39, v42
	v_mul_u32_u24_e32 v16, 0x10001, v23
	v_cndmask_b32_e32 v46, v4, v5, vcc
	v_pk_mul_f16 v5, v113, v16
	v_pk_mul_f16 v23, v112, v16
	v_cvt_f32_f16_e32 v0, v5
	v_cvt_f32_f16_sdwa v1, v5 dst_sel:DWORD dst_unused:UNUSED_PAD src0_sel:WORD_1
	ds_read_u16 v8, v47
	ds_read_u16 v5, v47 offset:32
	ds_read_u16 v10, v47 offset:3328
	;; [unrolled: 1-line block ×7, first 2 shown]
	ds_read_u16 v9, v48
	ds_read_u16 v13, v48 offset:32
	ds_read_u16 v14, v48 offset:3328
	;; [unrolled: 1-line block ×7, first 2 shown]
	s_waitcnt lgkmcnt(7)
	v_perm_b32 v9, v9, v8, s0
	ds_read_u16 v8, v17 offset:208
	ds_read_u16 v20, v17
	ds_read_u16 v54, v17 offset:32
	ds_read_u16 v55, v17 offset:240
	;; [unrolled: 1-line block ×6, first 2 shown]
	s_waitcnt lgkmcnt(6)
	v_perm_b32 v8, v8, v20, s0
	v_cvt_f32_f16_e32 v2, v23
	v_cvt_f32_f16_sdwa v3, v23 dst_sel:DWORD dst_unused:UNUSED_PAD src0_sel:WORD_1
	v_cvt_pk_f16_f32 v20, v18, v19
	v_cvt_pk_f16_f32 v23, v35, v36
	v_cmp_ngt_f32_e32 vcc, s3, v6
	v_mfma_f32_16x16x16_f16 v[0:3], v[8:9], v[20:21], v[0:3]
	v_perm_b32 v9, v14, v10, s0
	ds_read_u16 v8, v17 offset:3328
	ds_read_u16 v10, v17 offset:3360
	;; [unrolled: 1-line block ×12, first 2 shown]
	s_waitcnt lgkmcnt(6)
	v_perm_b32 v8, v22, v8, s0
	v_cvt_f16_f32_e32 v0, v0
	v_cvt_f16_f32_e32 v1, v1
	;; [unrolled: 1-line block ×4, first 2 shown]
	v_cvt_f32_f16_e32 v0, v0
	v_cvt_f32_f16_e32 v1, v1
	;; [unrolled: 1-line block ×4, first 2 shown]
	v_cvt_pk_f16_f32 v22, v33, v34
	v_cndmask_b32_e32 v7, 0, v7, vcc
	v_cmp_nlt_f32_e32 vcc, s2, v6
	v_mfma_f32_16x16x16_f16 v[0:3], v[8:9], v[22:23], v[0:3]
	v_cvt_pk_f16_f32 v26, v37, v38
	v_cndmask_b32_e32 v93, v4, v7, vcc
	ds_read_u16 v4, v47 offset:6656
	ds_read_u16 v94, v47 offset:6688
	;; [unrolled: 1-line block ×10, first 2 shown]
	v_cvt_f16_f32_e32 v0, v0
	v_cvt_f16_f32_e32 v1, v1
	;; [unrolled: 1-line block ×4, first 2 shown]
	s_waitcnt lgkmcnt(4)
	v_perm_b32 v7, v6, v4, s0
	ds_read_u16 v4, v17 offset:6656
	ds_read_u16 v6, v17 offset:6864
	;; [unrolled: 1-line block ×8, first 2 shown]
	s_waitcnt lgkmcnt(6)
	v_perm_b32 v6, v6, v4, s0
	v_cvt_f32_f16_e32 v0, v0
	v_cvt_f32_f16_e32 v1, v1
	;; [unrolled: 1-line block ×4, first 2 shown]
	v_pk_mul_f16 v4, v91, v16
	v_cvt_pk_f16_f32 v29, v46, v93
	v_mfma_f32_16x16x16_f16 v[0:3], v[6:7], v[26:27], v[0:3]
	ds_read_u16 v6, v47 offset:9984
	ds_read_u16 v91, v47 offset:10016
	;; [unrolled: 1-line block ×14, first 2 shown]
	s_waitcnt lgkmcnt(6)
	v_perm_b32 v7, v7, v6, s0
	ds_read_u16 v6, v17 offset:9984
	ds_read_u16 v120, v17 offset:10016
	;; [unrolled: 1-line block ×12, first 2 shown]
	v_cvt_f16_f32_e32 v0, v0
	v_cvt_f16_f32_e32 v1, v1
	;; [unrolled: 1-line block ×4, first 2 shown]
	s_waitcnt lgkmcnt(6)
	v_perm_b32 v6, v8, v6, s0
	v_cvt_f32_f16_e32 v0, v0
	v_cvt_f32_f16_e32 v1, v1
	;; [unrolled: 1-line block ×4, first 2 shown]
	v_cvt_pk_f16_f32 v28, v43, v44
	v_pk_mul_f16 v9, v89, v16
	v_perm_b32 v5, v13, v5, s0
	v_mfma_f32_16x16x16_f16 v[0:3], v[6:7], v[28:29], v[0:3]
	v_cvt_f32_f16_e32 v6, v4
	v_cvt_f32_f16_sdwa v7, v4 dst_sel:DWORD dst_unused:UNUSED_PAD src0_sel:WORD_1
	v_perm_b32 v4, v55, v54, s0
	v_cvt_f32_f16_e32 v8, v9
	v_cvt_f32_f16_sdwa v9, v9 dst_sel:DWORD dst_unused:UNUSED_PAD src0_sel:WORD_1
	v_pk_mul_f16 v87, v87, v16
	v_perm_b32 v13, v51, v12, s0
	v_mfma_f32_16x16x16_f16 v[4:7], v[4:5], v[20:21], v[6:9]
	v_pk_mul_f16 v85, v85, v16
	s_mov_b32 s1, 0
	s_nop 0
	v_perm_b32 v9, v50, v11, s0
	v_perm_b32 v8, v64, v10, s0
	s_nop 2
	v_cvt_f16_f32_e32 v4, v4
	v_cvt_f16_f32_e32 v5, v5
	;; [unrolled: 1-line block ×4, first 2 shown]
	v_cvt_f32_f16_e32 v4, v4
	v_cvt_f32_f16_e32 v5, v5
	;; [unrolled: 1-line block ×4, first 2 shown]
	ds_read_u16 v11, v17 offset:272
	ds_read_u16 v50, v17 offset:304
	;; [unrolled: 1-line block ×3, first 2 shown]
	v_mfma_f32_16x16x16_f16 v[4:7], v[8:9], v[22:23], v[4:7]
	v_perm_b32 v9, v98, v94, s0
	v_perm_b32 v8, v103, v102, s0
	v_pk_mul_f16 v10, v88, v16
	s_nop 4
	v_cvt_f16_f32_e32 v4, v4
	v_cvt_f16_f32_e32 v5, v5
	;; [unrolled: 1-line block ×4, first 2 shown]
	v_cvt_f32_f16_e32 v4, v4
	v_cvt_f32_f16_e32 v5, v5
	;; [unrolled: 1-line block ×4, first 2 shown]
	s_waitcnt lgkmcnt(2)
	v_perm_b32 v12, v11, v58, s0
	v_cvt_f32_f16_sdwa v11, v87 dst_sel:DWORD dst_unused:UNUSED_PAD src0_sel:WORD_1
	v_mfma_f32_16x16x16_f16 v[4:7], v[8:9], v[26:27], v[4:7]
	v_perm_b32 v9, v113, v91, s0
	v_perm_b32 v8, v124, v120, s0
	ds_read_u16 v55, v47 offset:3392
	ds_read_u16 v64, v47 offset:3424
	;; [unrolled: 1-line block ×3, first 2 shown]
	s_nop 2
	v_cvt_f16_f32_e32 v4, v4
	v_cvt_f16_f32_e32 v5, v5
	;; [unrolled: 1-line block ×4, first 2 shown]
	v_cvt_f32_f16_e32 v4, v4
	v_cvt_f32_f16_e32 v5, v5
	;; [unrolled: 1-line block ×4, first 2 shown]
	s_waitcnt lgkmcnt(4)
	v_perm_b32 v50, v50, v59, s0
	s_waitcnt lgkmcnt(3)
	v_perm_b32 v54, v54, v60, s0
	v_mfma_f32_16x16x16_f16 v[4:7], v[8:9], v[28:29], v[4:7]
	v_cvt_f32_f16_e32 v8, v10
	v_cvt_f32_f16_sdwa v9, v10 dst_sel:DWORD dst_unused:UNUSED_PAD src0_sel:WORD_1
	v_cvt_f32_f16_e32 v10, v87
	ds_read_u16 v51, v48 offset:3392
	ds_read_u16 v58, v48 offset:3424
	ds_read_u16 v87, v48 offset:3456
	v_mfma_f32_16x16x16_f16 v[8:11], v[12:13], v[20:21], v[8:11]
	s_waitcnt lgkmcnt(2)
	v_perm_b32 v13, v51, v55, s0
	v_perm_b32 v12, v65, v14, s0
	ds_read_u16 v14, v17 offset:6928
	ds_read_u16 v55, v17 offset:6960
	;; [unrolled: 1-line block ×3, first 2 shown]
	s_nop 1
	v_cvt_f16_f32_e32 v8, v8
	v_cvt_f16_f32_e32 v9, v9
	;; [unrolled: 1-line block ×4, first 2 shown]
	v_cvt_f32_f16_e32 v8, v8
	v_cvt_f32_f16_e32 v9, v9
	;; [unrolled: 1-line block ×4, first 2 shown]
	v_perm_b32 v51, v52, v15, s0
	v_cvt_f32_f16_sdwa v15, v85 dst_sel:DWORD dst_unused:UNUSED_PAD src0_sel:WORD_1
	v_mfma_f32_16x16x16_f16 v[8:11], v[12:13], v[22:23], v[8:11]
	v_perm_b32 v13, v99, v95, s0
	s_waitcnt lgkmcnt(2)
	v_perm_b32 v12, v14, v104, s0
	v_pk_mul_f16 v14, v86, v16
	v_pk_mul_f16 v52, v84, v16
	s_nop 2
	v_cvt_f16_f32_e32 v8, v8
	v_cvt_f16_f32_e32 v9, v9
	;; [unrolled: 1-line block ×4, first 2 shown]
	v_cvt_f32_f16_e32 v8, v8
	v_cvt_f32_f16_e32 v9, v9
	;; [unrolled: 1-line block ×4, first 2 shown]
	v_cmp_gt_u32_e32 vcc, 16, v78
	s_nop 0
	v_mfma_f32_16x16x16_f16 v[8:11], v[12:13], v[26:27], v[8:11]
	v_perm_b32 v13, v114, v108, s0
	v_perm_b32 v12, v125, v121, s0
	s_nop 5
	v_cvt_f16_f32_e32 v8, v8
	v_cvt_f16_f32_e32 v9, v9
	v_cvt_f16_f32_e32 v10, v10
	v_cvt_f16_f32_e32 v11, v11
	v_cvt_f32_f16_e32 v8, v8
	v_cvt_f32_f16_e32 v9, v9
	;; [unrolled: 1-line block ×4, first 2 shown]
	s_nop 1
	v_mfma_f32_16x16x16_f16 v[8:11], v[12:13], v[28:29], v[8:11]
	v_cvt_f32_f16_e32 v12, v14
	v_cvt_f32_f16_sdwa v13, v14 dst_sel:DWORD dst_unused:UNUSED_PAD src0_sel:WORD_1
	v_cvt_f32_f16_e32 v14, v85
	s_nop 1
	v_mfma_f32_16x16x16_f16 v[12:15], v[50:51], v[20:21], v[12:15]
	v_perm_b32 v51, v58, v64, s0
	v_perm_b32 v50, v66, v62, s0
	v_pk_mul_f16 v58, v83, v16
	s_nop 4
	v_cvt_f16_f32_e32 v12, v12
	v_cvt_f16_f32_e32 v13, v13
	;; [unrolled: 1-line block ×4, first 2 shown]
	v_cvt_f32_f16_e32 v12, v12
	v_cvt_f32_f16_e32 v13, v13
	;; [unrolled: 1-line block ×4, first 2 shown]
	s_nop 1
	v_mfma_f32_16x16x16_f16 v[12:15], v[50:51], v[22:23], v[12:15]
	v_perm_b32 v51, v100, v96, s0
	s_waitcnt lgkmcnt(1)
	v_perm_b32 v50, v55, v105, s0
	v_perm_b32 v55, v53, v49, s0
	v_cvt_f32_f16_sdwa v53, v58 dst_sel:DWORD dst_unused:UNUSED_PAD src0_sel:WORD_1
	s_nop 2
	v_cvt_f16_f32_e32 v12, v12
	v_cvt_f16_f32_e32 v13, v13
	;; [unrolled: 1-line block ×4, first 2 shown]
	v_cvt_f32_f16_e32 v12, v12
	v_cvt_f32_f16_e32 v13, v13
	;; [unrolled: 1-line block ×4, first 2 shown]
	s_nop 1
	v_mfma_f32_16x16x16_f16 v[12:15], v[50:51], v[26:27], v[12:15]
	v_perm_b32 v51, v115, v109, s0
	v_perm_b32 v50, v126, v122, s0
	s_nop 5
	v_cvt_f16_f32_e32 v12, v12
	v_cvt_f16_f32_e32 v13, v13
	;; [unrolled: 1-line block ×4, first 2 shown]
	v_cvt_f32_f16_e32 v12, v12
	v_cvt_f32_f16_e32 v13, v13
	;; [unrolled: 1-line block ×4, first 2 shown]
	s_nop 1
	v_mfma_f32_16x16x16_f16 v[12:15], v[50:51], v[28:29], v[12:15]
	v_cvt_f32_f16_e32 v50, v52
	v_cvt_f32_f16_sdwa v51, v52 dst_sel:DWORD dst_unused:UNUSED_PAD src0_sel:WORD_1
	v_cvt_f32_f16_e32 v52, v58
	ds_read_u16 v58, v17 offset:3456
	ds_read_u16 v47, v47 offset:6784
	ds_read_u16 v59, v48 offset:6784
	v_mfma_f32_16x16x16_f16 v[48:51], v[54:55], v[20:21], v[50:53]
	v_add_f32_e32 v54, v18, v19
	s_nop 1
	v_perm_b32 v53, v87, v89, s0
	s_waitcnt lgkmcnt(2)
	v_perm_b32 v52, v67, v58, s0
	s_nop 1
	v_cvt_f16_f32_e32 v48, v48
	v_cvt_f16_f32_e32 v49, v49
	;; [unrolled: 1-line block ×4, first 2 shown]
	v_cvt_f32_f16_e32 v48, v48
	v_cvt_f32_f16_e32 v49, v49
	;; [unrolled: 1-line block ×4, first 2 shown]
	ds_read_u16 v17, v17 offset:10112
	v_add_f32_e32 v31, v31, v54
	v_mfma_f32_16x16x16_f16 v[48:51], v[52:53], v[22:23], v[48:51]
	v_add_f32_e32 v31, v32, v31
	v_add_f32_e32 v31, v33, v31
	v_add_f32_e32 v31, v34, v31
	v_pk_mul_f16 v34, v81, v16
	s_nop 3
	v_cvt_f16_f32_e32 v18, v48
	v_cvt_f16_f32_e32 v19, v49
	;; [unrolled: 1-line block ×4, first 2 shown]
	v_cvt_f32_f16_e32 v48, v18
	v_cvt_f32_f16_e32 v49, v19
	s_waitcnt lgkmcnt(1)
	v_perm_b32 v19, v59, v47, s0
	v_perm_b32 v18, v65, v106, s0
	v_cvt_f32_f16_e32 v50, v50
	v_cvt_f32_f16_e32 v51, v51
	v_add_f32_e32 v31, v35, v31
	v_add_f32_e32 v31, v36, v31
	v_mfma_f32_16x16x16_f16 v[48:51], v[18:19], v[26:27], v[48:51]
	v_add_f32_e32 v31, v37, v31
	v_add_f32_e32 v31, v38, v31
	;; [unrolled: 1-line block ×4, first 2 shown]
	s_nop 3
	v_cvt_f16_f32_e32 v18, v48
	v_cvt_f16_f32_e32 v19, v49
	;; [unrolled: 1-line block ×4, first 2 shown]
	v_cvt_f32_f16_e32 v48, v18
	v_cvt_f32_f16_e32 v49, v19
	v_perm_b32 v19, v117, v110, s0
	s_waitcnt lgkmcnt(0)
	v_perm_b32 v18, v127, v17, s0
	v_cvt_f32_f16_e32 v50, v32
	v_cvt_f32_f16_e32 v51, v33
	v_pk_mul_f16 v32, v82, v16
	v_perm_b32 v33, v57, v56, s0
	v_mfma_f32_16x16x16_f16 v[16:19], v[18:19], v[28:29], v[48:51]
	v_add_f32_e32 v31, v43, v31
	v_add_f32_e32 v31, v44, v31
	s_nop 0
	v_cvt_f32_f16_e32 v48, v32
	v_cvt_f32_f16_sdwa v49, v32 dst_sel:DWORD dst_unused:UNUSED_PAD src0_sel:WORD_1
	v_perm_b32 v32, v63, v61, s0
	v_cvt_f32_f16_e32 v50, v34
	v_cvt_f32_f16_sdwa v51, v34 dst_sel:DWORD dst_unused:UNUSED_PAD src0_sel:WORD_1
	v_add_f32_e32 v31, v46, v31
	v_add_f32_e32 v31, v93, v31
	v_mfma_f32_16x16x16_f16 v[32:35], v[32:33], v[20:21], v[48:51]
	v_fmac_f32_e32 v31, v116, v45
	ds_bpermute_b32 v25, v25, v31
	s_waitcnt lgkmcnt(0)
	s_barrier
	s_nop 3
	v_cvt_f16_f32_e32 v20, v32
	v_cvt_f16_f32_e32 v21, v33
	;; [unrolled: 1-line block ×4, first 2 shown]
	v_cvt_f32_f16_e32 v32, v20
	v_cvt_f32_f16_e32 v33, v21
	v_perm_b32 v21, v101, v97, s0
	v_perm_b32 v20, v90, v92, s0
	v_cvt_f32_f16_e32 v34, v34
	v_cvt_f32_f16_e32 v35, v35
	v_add_f32_e32 v25, v31, v25
	s_nop 0
	v_mfma_f32_16x16x16_f16 v[20:23], v[20:21], v[22:23], v[32:35]
	s_barrier
	s_nop 1
	v_perm_b32 v33, v119, v112, s0
	v_perm_b32 v32, v123, v107, s0
	s_nop 2
	v_cvt_f16_f32_e32 v20, v20
	v_cvt_f16_f32_e32 v21, v21
	;; [unrolled: 1-line block ×4, first 2 shown]
	v_cvt_f32_f16_e32 v20, v20
	v_cvt_f32_f16_e32 v21, v21
	;; [unrolled: 1-line block ×4, first 2 shown]
	s_nop 1
	v_mfma_f32_16x16x16_f16 v[20:23], v[32:33], v[26:27], v[20:23]
	v_perm_b32 v27, v118, v111, s0
	v_perm_b32 v26, v128, v129, s0
	s_nop 5
	v_cvt_f16_f32_e32 v20, v20
	v_cvt_f16_f32_e32 v21, v21
	;; [unrolled: 1-line block ×4, first 2 shown]
	v_cvt_f32_f16_e32 v20, v20
	v_cvt_f32_f16_e32 v21, v21
	;; [unrolled: 1-line block ×4, first 2 shown]
	s_nop 1
	v_mfma_f32_16x16x16_f16 v[20:23], v[26:27], v[28:29], v[20:23]
	ds_bpermute_b32 v26, v30, v25
	s_and_saveexec_b64 s[4:5], vcc
	v_readlane_b32 s6, v230, 3
	s_cbranch_execz .LBB14_312
; %bb.311:
	v_readlane_b32 s0, v230, 4
	s_add_i32 s0, s0, s6
	s_lshl_b32 s0, s0, 6
	s_lshl_b64 s[2:3], s[0:1], 3
	s_add_u32 s2, s50, s2
	s_addc_u32 s3, s51, s3
	v_or_b32_e32 v28, v80, v78
	v_mov_b32_e32 v29, 0
	v_lshl_add_u64 v[28:29], v[28:29], 3, s[2:3]
	s_waitcnt lgkmcnt(0)
	v_add_f32_e32 v25, v25, v26
	global_store_dwordx2 v[28:29], v[24:25], off
.LBB14_312:
	s_or_b64 exec, exec, s[4:5]
	v_readlane_b32 s4, v230, 1
	v_readlane_b32 s5, v230, 2
	s_load_dword s0, s[4:5], 0x0
	s_load_dword s2, s[4:5], 0x10
	v_cvt_pk_f16_f32 v0, v0, v1
	v_cvt_pk_f16_f32 v1, v6, v7
	;; [unrolled: 1-line block ×3, first 2 shown]
	v_or_b32_e32 v12, v80, v71
	s_waitcnt lgkmcnt(0)
	s_lshr_b32 s2, s2, 16
	s_cmp_lg_u32 s2, 0
	s_cselect_b64 s[2:3], -1, 0
	s_cmp_lg_u64 s[2:3], 0
	s_addc_u32 s0, s0, 0
	v_mul_i32_i24_e32 v12, 0xd0, v12
	s_lshl_b32 s0, s0, 7
	v_cvt_pk_f16_f32 v2, v2, v3
	s_movk_i32 s4, 0xd0
	v_add3_u32 v12, 0, v12, v79
	s_lshl_b64 s[2:3], s[0:1], 3
	v_cvt_pk_f16_f32 v3, v4, v5
	v_cvt_pk_f16_f32 v4, v10, v11
	;; [unrolled: 1-line block ×8, first 2 shown]
	s_add_u32 s2, s50, s2
	s_mul_i32 s0, s6, 0xc00
	ds_write2_b32 v12, v0, v2 offset1:1
	ds_write2_b32 v12, v3, v1 offset0:8 offset1:9
	ds_write2_b32 v12, v5, v4 offset0:16 offset1:17
	;; [unrolled: 1-line block ×5, first 2 shown]
	v_mad_u32_u24 v2, v41, s4, v68
	s_addc_u32 s3, s51, s3
	s_lshl_b64 s[0:1], s[0:1], 3
	v_add_u32_e32 v6, 0x80, v2
	s_add_u32 s0, s2, s0
	s_waitcnt lgkmcnt(0)
	s_barrier
	ds_read2st64_b32 v[0:1], v6 offset0:6 offset1:19
	v_and_b32_e32 v3, 15, v41
	s_movk_i32 s2, 0x1ff0
	v_and_or_b32 v4, v69, s2, v3
	v_and_or_b32 v5, v70, s2, v3
	;; [unrolled: 1-line block ×3, first 2 shown]
	v_and_b32_e32 v8, 15, v72
	s_movk_i32 s2, 0x3ff0
	v_and_or_b32 v9, v75, s2, v8
	v_and_or_b32 v10, v76, s2, v8
	;; [unrolled: 1-line block ×3, first 2 shown]
	v_mad_u32_u24 v3, v3, s4, v68
	v_mad_u32_u24 v7, v72, s4, v74
	;; [unrolled: 1-line block ×7, first 2 shown]
	ds_read_b32 v11, v2
	ds_read_b32 v12, v4
	;; [unrolled: 1-line block ×4, first 2 shown]
	ds_read_b32 v7, v7 offset:128
	ds_read_b32 v9, v9 offset:128
	;; [unrolled: 1-line block ×4, first 2 shown]
	s_waitcnt lgkmcnt(7)
	v_cvt_f32_f16_e32 v2, v11
	v_cvt_f32_f16_sdwa v3, v11 dst_sel:DWORD dst_unused:UNUSED_PAD src0_sel:WORD_1
	v_cvt_f32_f16_e32 v4, v0
	v_cvt_f32_f16_sdwa v5, v0 dst_sel:DWORD dst_unused:UNUSED_PAD src0_sel:WORD_1
	v_mul_u32_u24_e32 v11, 48, v41
	s_addc_u32 s1, s3, s1
	v_pk_add_f32 v[2:3], v[2:3], 0 op_sel_hi:[1,0]
	v_add_lshl_u32 v11, v11, v40, 3
	global_store_dwordx2 v11, v[2:3], s[0:1]
	v_pk_add_f32 v[2:3], v[4:5], 0 op_sel_hi:[1,0]
	global_store_dwordx2 v11, v[2:3], s[0:1] offset:3072
	s_waitcnt lgkmcnt(6)
	v_cvt_f32_f16_e32 v2, v12
	v_cvt_f32_f16_sdwa v3, v12 dst_sel:DWORD dst_unused:UNUSED_PAD src0_sel:WORD_1
	v_add_u32_e32 v4, 0x1800, v11
	v_cvt_f32_f16_e32 v0, v1
	v_cvt_f32_f16_sdwa v1, v1 dst_sel:DWORD dst_unused:UNUSED_PAD src0_sel:WORD_1
	v_pk_add_f32 v[2:3], v[2:3], 0 op_sel_hi:[1,0]
	global_store_dwordx2 v4, v[2:3], s[0:1]
	ds_read2st64_b32 v[2:3], v6 offset0:32 offset1:45
	v_add_u32_e32 v4, 0x2400, v11
	v_pk_add_f32 v[0:1], v[0:1], 0 op_sel_hi:[1,0]
	global_store_dwordx2 v4, v[0:1], s[0:1]
	s_waitcnt lgkmcnt(6)
	v_cvt_f32_f16_e32 v0, v13
	v_cvt_f32_f16_sdwa v1, v13 dst_sel:DWORD dst_unused:UNUSED_PAD src0_sel:WORD_1
	s_waitcnt lgkmcnt(0)
	v_cvt_f32_f16_e32 v4, v2
	v_cvt_f32_f16_sdwa v5, v2 dst_sel:DWORD dst_unused:UNUSED_PAD src0_sel:WORD_1
	v_add_u32_e32 v6, 0x3000, v11
	v_pk_add_f32 v[0:1], v[0:1], 0 op_sel_hi:[1,0]
	global_store_dwordx2 v6, v[0:1], s[0:1]
	v_add_u32_e32 v2, 0x3c00, v11
	v_pk_add_f32 v[0:1], v[4:5], 0 op_sel_hi:[1,0]
	global_store_dwordx2 v2, v[0:1], s[0:1]
	v_cvt_f32_f16_e32 v0, v14
	v_cvt_f32_f16_sdwa v1, v14 dst_sel:DWORD dst_unused:UNUSED_PAD src0_sel:WORD_1
	v_cvt_f32_f16_e32 v2, v3
	v_cvt_f32_f16_sdwa v3, v3 dst_sel:DWORD dst_unused:UNUSED_PAD src0_sel:WORD_1
	v_add_u32_e32 v4, 0x4800, v11
	v_pk_add_f32 v[0:1], v[0:1], 0 op_sel_hi:[1,0]
	global_store_dwordx2 v4, v[0:1], s[0:1]
	v_add_u32_e32 v4, 0x5400, v11
	v_pk_add_f32 v[0:1], v[2:3], 0 op_sel_hi:[1,0]
	global_store_dwordx2 v4, v[0:1], s[0:1]
	v_cvt_f32_f16_e32 v0, v7
	v_cvt_f32_f16_sdwa v1, v7 dst_sel:DWORD dst_unused:UNUSED_PAD src0_sel:WORD_1
	v_mul_u32_u24_e32 v2, 48, v72
	v_or_b32_e32 v2, v2, v71
	v_mov_b32_e32 v3, 0
	v_lshl_add_u64 v[4:5], v[2:3], 3, s[0:1]
	v_pk_add_f32 v[0:1], v[0:1], 0 op_sel_hi:[1,0]
	global_store_dwordx2 v[4:5], v[0:1], off offset:256
	v_cvt_f32_f16_e32 v0, v9
	v_cvt_f32_f16_sdwa v1, v9 dst_sel:DWORD dst_unused:UNUSED_PAD src0_sel:WORD_1
	v_add_u32_e32 v4, 0x300, v2
	v_mov_b32_e32 v5, v3
	v_lshl_add_u64 v[4:5], v[4:5], 3, s[0:1]
	v_pk_add_f32 v[0:1], v[0:1], 0 op_sel_hi:[1,0]
	global_store_dwordx2 v[4:5], v[0:1], off offset:256
	v_cvt_f32_f16_e32 v0, v10
	v_cvt_f32_f16_sdwa v1, v10 dst_sel:DWORD dst_unused:UNUSED_PAD src0_sel:WORD_1
	v_cvt_f32_f16_e32 v6, v8
	v_cvt_f32_f16_sdwa v7, v8 dst_sel:DWORD dst_unused:UNUSED_PAD src0_sel:WORD_1
	v_add_u32_e32 v4, 0x600, v2
	v_mov_b32_e32 v5, v3
	v_lshl_add_u64 v[4:5], v[4:5], 3, s[0:1]
	v_pk_add_f32 v[0:1], v[0:1], 0 op_sel_hi:[1,0]
	v_add_u32_e32 v2, 0x900, v2
	global_store_dwordx2 v[4:5], v[0:1], off offset:256
	v_lshl_add_u64 v[0:1], v[2:3], 3, s[0:1]
	v_pk_add_f32 v[2:3], v[6:7], 0 op_sel_hi:[1,0]
	global_store_dwordx2 v[0:1], v[2:3], off offset:256
.LBB14_313:
	s_endpgm
	.section	.rodata,"a",@progbits
	.p2align	6, 0x0
	.amdhsa_kernel _ZL18flash_attn_ext_f16ILi96ELi96ELi8ELi8ELb0ELb0EEvPKcS1_S1_S1_S1_PKiPfP15HIP_vector_typeIfLj2EEffffjfiS5_IjLj3EEiiiiiiiiiiiliiliiiiil
		.amdhsa_group_segment_fixed_size 0
		.amdhsa_private_segment_fixed_size 0
		.amdhsa_kernarg_size 464
		.amdhsa_user_sgpr_count 2
		.amdhsa_user_sgpr_dispatch_ptr 0
		.amdhsa_user_sgpr_queue_ptr 0
		.amdhsa_user_sgpr_kernarg_segment_ptr 1
		.amdhsa_user_sgpr_dispatch_id 0
		.amdhsa_user_sgpr_kernarg_preload_length 0
		.amdhsa_user_sgpr_kernarg_preload_offset 0
		.amdhsa_user_sgpr_private_segment_size 0
		.amdhsa_uses_dynamic_stack 0
		.amdhsa_enable_private_segment 0
		.amdhsa_system_sgpr_workgroup_id_x 1
		.amdhsa_system_sgpr_workgroup_id_y 0
		.amdhsa_system_sgpr_workgroup_id_z 0
		.amdhsa_system_sgpr_workgroup_info 0
		.amdhsa_system_vgpr_workitem_id 1
		.amdhsa_next_free_vgpr 231
		.amdhsa_next_free_sgpr 100
		.amdhsa_accum_offset 232
		.amdhsa_reserve_vcc 1
		.amdhsa_float_round_mode_32 0
		.amdhsa_float_round_mode_16_64 0
		.amdhsa_float_denorm_mode_32 3
		.amdhsa_float_denorm_mode_16_64 3
		.amdhsa_dx10_clamp 1
		.amdhsa_ieee_mode 1
		.amdhsa_fp16_overflow 0
		.amdhsa_tg_split 0
		.amdhsa_exception_fp_ieee_invalid_op 0
		.amdhsa_exception_fp_denorm_src 0
		.amdhsa_exception_fp_ieee_div_zero 0
		.amdhsa_exception_fp_ieee_overflow 0
		.amdhsa_exception_fp_ieee_underflow 0
		.amdhsa_exception_fp_ieee_inexact 0
		.amdhsa_exception_int_div_zero 0
	.end_amdhsa_kernel
	.section	.text._ZL18flash_attn_ext_f16ILi96ELi96ELi8ELi8ELb0ELb0EEvPKcS1_S1_S1_S1_PKiPfP15HIP_vector_typeIfLj2EEffffjfiS5_IjLj3EEiiiiiiiiiiiliiliiiiil,"axG",@progbits,_ZL18flash_attn_ext_f16ILi96ELi96ELi8ELi8ELb0ELb0EEvPKcS1_S1_S1_S1_PKiPfP15HIP_vector_typeIfLj2EEffffjfiS5_IjLj3EEiiiiiiiiiiiliiliiiiil,comdat
.Lfunc_end14:
	.size	_ZL18flash_attn_ext_f16ILi96ELi96ELi8ELi8ELb0ELb0EEvPKcS1_S1_S1_S1_PKiPfP15HIP_vector_typeIfLj2EEffffjfiS5_IjLj3EEiiiiiiiiiiiliiliiiiil, .Lfunc_end14-_ZL18flash_attn_ext_f16ILi96ELi96ELi8ELi8ELb0ELb0EEvPKcS1_S1_S1_S1_PKiPfP15HIP_vector_typeIfLj2EEffffjfiS5_IjLj3EEiiiiiiiiiiiliiliiiiil
                                        ; -- End function
	.set _ZL18flash_attn_ext_f16ILi96ELi96ELi8ELi8ELb0ELb0EEvPKcS1_S1_S1_S1_PKiPfP15HIP_vector_typeIfLj2EEffffjfiS5_IjLj3EEiiiiiiiiiiiliiliiiiil.num_vgpr, 231
	.set _ZL18flash_attn_ext_f16ILi96ELi96ELi8ELi8ELb0ELb0EEvPKcS1_S1_S1_S1_PKiPfP15HIP_vector_typeIfLj2EEffffjfiS5_IjLj3EEiiiiiiiiiiiliiliiiiil.num_agpr, 0
	.set _ZL18flash_attn_ext_f16ILi96ELi96ELi8ELi8ELb0ELb0EEvPKcS1_S1_S1_S1_PKiPfP15HIP_vector_typeIfLj2EEffffjfiS5_IjLj3EEiiiiiiiiiiiliiliiiiil.numbered_sgpr, 100
	.set _ZL18flash_attn_ext_f16ILi96ELi96ELi8ELi8ELb0ELb0EEvPKcS1_S1_S1_S1_PKiPfP15HIP_vector_typeIfLj2EEffffjfiS5_IjLj3EEiiiiiiiiiiiliiliiiiil.num_named_barrier, 0
	.set _ZL18flash_attn_ext_f16ILi96ELi96ELi8ELi8ELb0ELb0EEvPKcS1_S1_S1_S1_PKiPfP15HIP_vector_typeIfLj2EEffffjfiS5_IjLj3EEiiiiiiiiiiiliiliiiiil.private_seg_size, 0
	.set _ZL18flash_attn_ext_f16ILi96ELi96ELi8ELi8ELb0ELb0EEvPKcS1_S1_S1_S1_PKiPfP15HIP_vector_typeIfLj2EEffffjfiS5_IjLj3EEiiiiiiiiiiiliiliiiiil.uses_vcc, 1
	.set _ZL18flash_attn_ext_f16ILi96ELi96ELi8ELi8ELb0ELb0EEvPKcS1_S1_S1_S1_PKiPfP15HIP_vector_typeIfLj2EEffffjfiS5_IjLj3EEiiiiiiiiiiiliiliiiiil.uses_flat_scratch, 0
	.set _ZL18flash_attn_ext_f16ILi96ELi96ELi8ELi8ELb0ELb0EEvPKcS1_S1_S1_S1_PKiPfP15HIP_vector_typeIfLj2EEffffjfiS5_IjLj3EEiiiiiiiiiiiliiliiiiil.has_dyn_sized_stack, 0
	.set _ZL18flash_attn_ext_f16ILi96ELi96ELi8ELi8ELb0ELb0EEvPKcS1_S1_S1_S1_PKiPfP15HIP_vector_typeIfLj2EEffffjfiS5_IjLj3EEiiiiiiiiiiiliiliiiiil.has_recursion, 0
	.set _ZL18flash_attn_ext_f16ILi96ELi96ELi8ELi8ELb0ELb0EEvPKcS1_S1_S1_S1_PKiPfP15HIP_vector_typeIfLj2EEffffjfiS5_IjLj3EEiiiiiiiiiiiliiliiiiil.has_indirect_call, 0
	.section	.AMDGPU.csdata,"",@progbits
; Kernel info:
; codeLenInByte = 49984
; TotalNumSgprs: 106
; NumVgprs: 231
; NumAgprs: 0
; TotalNumVgprs: 231
; ScratchSize: 0
; MemoryBound: 0
; FloatMode: 240
; IeeeMode: 1
; LDSByteSize: 0 bytes/workgroup (compile time only)
; SGPRBlocks: 13
; VGPRBlocks: 28
; NumSGPRsForWavesPerEU: 106
; NumVGPRsForWavesPerEU: 231
; AccumOffset: 232
; Occupancy: 2
; WaveLimiterHint : 0
; COMPUTE_PGM_RSRC2:SCRATCH_EN: 0
; COMPUTE_PGM_RSRC2:USER_SGPR: 2
; COMPUTE_PGM_RSRC2:TRAP_HANDLER: 0
; COMPUTE_PGM_RSRC2:TGID_X_EN: 1
; COMPUTE_PGM_RSRC2:TGID_Y_EN: 0
; COMPUTE_PGM_RSRC2:TGID_Z_EN: 0
; COMPUTE_PGM_RSRC2:TIDIG_COMP_CNT: 1
; COMPUTE_PGM_RSRC3_GFX90A:ACCUM_OFFSET: 57
; COMPUTE_PGM_RSRC3_GFX90A:TG_SPLIT: 0
	.section	.text._ZL18flash_attn_ext_f16ILi96ELi96ELi8ELi8ELb1ELb0EEvPKcS1_S1_S1_S1_PKiPfP15HIP_vector_typeIfLj2EEffffjfiS5_IjLj3EEiiiiiiiiiiiliiliiiiil,"axG",@progbits,_ZL18flash_attn_ext_f16ILi96ELi96ELi8ELi8ELb1ELb0EEvPKcS1_S1_S1_S1_PKiPfP15HIP_vector_typeIfLj2EEffffjfiS5_IjLj3EEiiiiiiiiiiiliiliiiiil,comdat
	.globl	_ZL18flash_attn_ext_f16ILi96ELi96ELi8ELi8ELb1ELb0EEvPKcS1_S1_S1_S1_PKiPfP15HIP_vector_typeIfLj2EEffffjfiS5_IjLj3EEiiiiiiiiiiiliiliiiiil ; -- Begin function _ZL18flash_attn_ext_f16ILi96ELi96ELi8ELi8ELb1ELb0EEvPKcS1_S1_S1_S1_PKiPfP15HIP_vector_typeIfLj2EEffffjfiS5_IjLj3EEiiiiiiiiiiiliiliiiiil
	.p2align	8
	.type	_ZL18flash_attn_ext_f16ILi96ELi96ELi8ELi8ELb1ELb0EEvPKcS1_S1_S1_S1_PKiPfP15HIP_vector_typeIfLj2EEffffjfiS5_IjLj3EEiiiiiiiiiiiliiliiiiil,@function
_ZL18flash_attn_ext_f16ILi96ELi96ELi8ELi8ELb1ELb0EEvPKcS1_S1_S1_S1_PKiPfP15HIP_vector_typeIfLj2EEffffjfiS5_IjLj3EEiiiiiiiiiiiliiliiiiil: ; @_ZL18flash_attn_ext_f16ILi96ELi96ELi8ELi8ELb1ELb0EEvPKcS1_S1_S1_S1_PKiPfP15HIP_vector_typeIfLj2EEffffjfiS5_IjLj3EEiiiiiiiiiiiliiliiiiil
; %bb.0:
	s_add_u32 s8, s0, 0xd0
	s_addc_u32 s9, s1, 0
	s_getpc_b64 s[0:1]
	s_add_u32 s0, s0, _ZL14no_device_codePKciS0_iS0_@rel32@lo+4
	s_addc_u32 s1, s1, _ZL14no_device_codePKciS0_iS0_@rel32@hi+12
	v_mov_b32_e32 v0, 0x6cc
	s_mov_b32 s32, 0
	s_swappc_b64 s[30:31], s[0:1]
	.section	.rodata,"a",@progbits
	.p2align	6, 0x0
	.amdhsa_kernel _ZL18flash_attn_ext_f16ILi96ELi96ELi8ELi8ELb1ELb0EEvPKcS1_S1_S1_S1_PKiPfP15HIP_vector_typeIfLj2EEffffjfiS5_IjLj3EEiiiiiiiiiiiliiliiiiil
		.amdhsa_group_segment_fixed_size 0
		.amdhsa_private_segment_fixed_size 16
		.amdhsa_kernarg_size 464
		.amdhsa_user_sgpr_count 2
		.amdhsa_user_sgpr_dispatch_ptr 0
		.amdhsa_user_sgpr_queue_ptr 0
		.amdhsa_user_sgpr_kernarg_segment_ptr 1
		.amdhsa_user_sgpr_dispatch_id 0
		.amdhsa_user_sgpr_kernarg_preload_length 0
		.amdhsa_user_sgpr_kernarg_preload_offset 0
		.amdhsa_user_sgpr_private_segment_size 0
		.amdhsa_uses_dynamic_stack 0
		.amdhsa_enable_private_segment 1
		.amdhsa_system_sgpr_workgroup_id_x 1
		.amdhsa_system_sgpr_workgroup_id_y 0
		.amdhsa_system_sgpr_workgroup_id_z 0
		.amdhsa_system_sgpr_workgroup_info 0
		.amdhsa_system_vgpr_workitem_id 0
		.amdhsa_next_free_vgpr 50
		.amdhsa_next_free_sgpr 34
		.amdhsa_accum_offset 52
		.amdhsa_reserve_vcc 1
		.amdhsa_float_round_mode_32 0
		.amdhsa_float_round_mode_16_64 0
		.amdhsa_float_denorm_mode_32 3
		.amdhsa_float_denorm_mode_16_64 3
		.amdhsa_dx10_clamp 1
		.amdhsa_ieee_mode 1
		.amdhsa_fp16_overflow 0
		.amdhsa_tg_split 0
		.amdhsa_exception_fp_ieee_invalid_op 0
		.amdhsa_exception_fp_denorm_src 0
		.amdhsa_exception_fp_ieee_div_zero 0
		.amdhsa_exception_fp_ieee_overflow 0
		.amdhsa_exception_fp_ieee_underflow 0
		.amdhsa_exception_fp_ieee_inexact 0
		.amdhsa_exception_int_div_zero 0
	.end_amdhsa_kernel
	.section	.text._ZL18flash_attn_ext_f16ILi96ELi96ELi8ELi8ELb1ELb0EEvPKcS1_S1_S1_S1_PKiPfP15HIP_vector_typeIfLj2EEffffjfiS5_IjLj3EEiiiiiiiiiiiliiliiiiil,"axG",@progbits,_ZL18flash_attn_ext_f16ILi96ELi96ELi8ELi8ELb1ELb0EEvPKcS1_S1_S1_S1_PKiPfP15HIP_vector_typeIfLj2EEffffjfiS5_IjLj3EEiiiiiiiiiiiliiliiiiil,comdat
.Lfunc_end15:
	.size	_ZL18flash_attn_ext_f16ILi96ELi96ELi8ELi8ELb1ELb0EEvPKcS1_S1_S1_S1_PKiPfP15HIP_vector_typeIfLj2EEffffjfiS5_IjLj3EEiiiiiiiiiiiliiliiiiil, .Lfunc_end15-_ZL18flash_attn_ext_f16ILi96ELi96ELi8ELi8ELb1ELb0EEvPKcS1_S1_S1_S1_PKiPfP15HIP_vector_typeIfLj2EEffffjfiS5_IjLj3EEiiiiiiiiiiiliiliiiiil
                                        ; -- End function
	.set _ZL18flash_attn_ext_f16ILi96ELi96ELi8ELi8ELb1ELb0EEvPKcS1_S1_S1_S1_PKiPfP15HIP_vector_typeIfLj2EEffffjfiS5_IjLj3EEiiiiiiiiiiiliiliiiiil.num_vgpr, max(1, .L_ZL14no_device_codePKciS0_iS0_.num_vgpr)
	.set _ZL18flash_attn_ext_f16ILi96ELi96ELi8ELi8ELb1ELb0EEvPKcS1_S1_S1_S1_PKiPfP15HIP_vector_typeIfLj2EEffffjfiS5_IjLj3EEiiiiiiiiiiiliiliiiiil.num_agpr, max(0, .L_ZL14no_device_codePKciS0_iS0_.num_agpr)
	.set _ZL18flash_attn_ext_f16ILi96ELi96ELi8ELi8ELb1ELb0EEvPKcS1_S1_S1_S1_PKiPfP15HIP_vector_typeIfLj2EEffffjfiS5_IjLj3EEiiiiiiiiiiiliiliiiiil.numbered_sgpr, max(33, .L_ZL14no_device_codePKciS0_iS0_.numbered_sgpr)
	.set _ZL18flash_attn_ext_f16ILi96ELi96ELi8ELi8ELb1ELb0EEvPKcS1_S1_S1_S1_PKiPfP15HIP_vector_typeIfLj2EEffffjfiS5_IjLj3EEiiiiiiiiiiiliiliiiiil.num_named_barrier, max(0, .L_ZL14no_device_codePKciS0_iS0_.num_named_barrier)
	.set _ZL18flash_attn_ext_f16ILi96ELi96ELi8ELi8ELb1ELb0EEvPKcS1_S1_S1_S1_PKiPfP15HIP_vector_typeIfLj2EEffffjfiS5_IjLj3EEiiiiiiiiiiiliiliiiiil.private_seg_size, 0+max(.L_ZL14no_device_codePKciS0_iS0_.private_seg_size)
	.set _ZL18flash_attn_ext_f16ILi96ELi96ELi8ELi8ELb1ELb0EEvPKcS1_S1_S1_S1_PKiPfP15HIP_vector_typeIfLj2EEffffjfiS5_IjLj3EEiiiiiiiiiiiliiliiiiil.uses_vcc, or(1, .L_ZL14no_device_codePKciS0_iS0_.uses_vcc)
	.set _ZL18flash_attn_ext_f16ILi96ELi96ELi8ELi8ELb1ELb0EEvPKcS1_S1_S1_S1_PKiPfP15HIP_vector_typeIfLj2EEffffjfiS5_IjLj3EEiiiiiiiiiiiliiliiiiil.uses_flat_scratch, or(0, .L_ZL14no_device_codePKciS0_iS0_.uses_flat_scratch)
	.set _ZL18flash_attn_ext_f16ILi96ELi96ELi8ELi8ELb1ELb0EEvPKcS1_S1_S1_S1_PKiPfP15HIP_vector_typeIfLj2EEffffjfiS5_IjLj3EEiiiiiiiiiiiliiliiiiil.has_dyn_sized_stack, or(0, .L_ZL14no_device_codePKciS0_iS0_.has_dyn_sized_stack)
	.set _ZL18flash_attn_ext_f16ILi96ELi96ELi8ELi8ELb1ELb0EEvPKcS1_S1_S1_S1_PKiPfP15HIP_vector_typeIfLj2EEffffjfiS5_IjLj3EEiiiiiiiiiiiliiliiiiil.has_recursion, or(0, .L_ZL14no_device_codePKciS0_iS0_.has_recursion)
	.set _ZL18flash_attn_ext_f16ILi96ELi96ELi8ELi8ELb1ELb0EEvPKcS1_S1_S1_S1_PKiPfP15HIP_vector_typeIfLj2EEffffjfiS5_IjLj3EEiiiiiiiiiiiliiliiiiil.has_indirect_call, or(0, .L_ZL14no_device_codePKciS0_iS0_.has_indirect_call)
	.section	.AMDGPU.csdata,"",@progbits
; Kernel info:
; codeLenInByte = 48
; TotalNumSgprs: 40
; NumVgprs: 50
; NumAgprs: 0
; TotalNumVgprs: 50
; ScratchSize: 16
; MemoryBound: 0
; FloatMode: 240
; IeeeMode: 1
; LDSByteSize: 0 bytes/workgroup (compile time only)
; SGPRBlocks: 4
; VGPRBlocks: 6
; NumSGPRsForWavesPerEU: 40
; NumVGPRsForWavesPerEU: 50
; AccumOffset: 52
; Occupancy: 8
; WaveLimiterHint : 1
; COMPUTE_PGM_RSRC2:SCRATCH_EN: 1
; COMPUTE_PGM_RSRC2:USER_SGPR: 2
; COMPUTE_PGM_RSRC2:TRAP_HANDLER: 0
; COMPUTE_PGM_RSRC2:TGID_X_EN: 1
; COMPUTE_PGM_RSRC2:TGID_Y_EN: 0
; COMPUTE_PGM_RSRC2:TGID_Z_EN: 0
; COMPUTE_PGM_RSRC2:TIDIG_COMP_CNT: 0
; COMPUTE_PGM_RSRC3_GFX90A:ACCUM_OFFSET: 12
; COMPUTE_PGM_RSRC3_GFX90A:TG_SPLIT: 0
	.section	.text._ZL33flash_attn_stream_k_fixup_uniformILi96ELi8ELi8EEvPfPK15HIP_vector_typeIfLj2EEiiiiiiS1_IjLj3EES5_S5_,"axG",@progbits,_ZL33flash_attn_stream_k_fixup_uniformILi96ELi8ELi8EEvPfPK15HIP_vector_typeIfLj2EEiiiiiiS1_IjLj3EES5_S5_,comdat
	.globl	_ZL33flash_attn_stream_k_fixup_uniformILi96ELi8ELi8EEvPfPK15HIP_vector_typeIfLj2EEiiiiiiS1_IjLj3EES5_S5_ ; -- Begin function _ZL33flash_attn_stream_k_fixup_uniformILi96ELi8ELi8EEvPfPK15HIP_vector_typeIfLj2EEiiiiiiS1_IjLj3EES5_S5_
	.p2align	8
	.type	_ZL33flash_attn_stream_k_fixup_uniformILi96ELi8ELi8EEvPfPK15HIP_vector_typeIfLj2EEiiiiiiS1_IjLj3EES5_S5_,@function
_ZL33flash_attn_stream_k_fixup_uniformILi96ELi8ELi8EEvPfPK15HIP_vector_typeIfLj2EEiiiiiiS1_IjLj3EES5_S5_: ; @_ZL33flash_attn_stream_k_fixup_uniformILi96ELi8ELi8EEvPfPK15HIP_vector_typeIfLj2EEiiiiiiS1_IjLj3EES5_S5_
; %bb.0:
	s_load_dwordx8 s[8:15], s[0:1], 0x1c
	s_load_dwordx2 s[6:7], s[0:1], 0x10
	s_load_dwordx4 s[16:19], s[0:1], 0x3c
	s_waitcnt lgkmcnt(0)
	s_mul_hi_u32 s5, s11, s2
	s_add_i32 s5, s2, s5
	s_lshr_b32 s5, s5, s12
	s_mul_i32 s11, s5, s13
	s_sub_i32 s12, s2, s11
	s_mul_hi_u32 s11, s12, s14
	s_add_i32 s11, s12, s11
	s_lshr_b32 s11, s11, s15
	s_mul_i32 s13, s11, s16
	s_sub_i32 s12, s12, s13
	;; [unrolled: 5-line block ×3, first 2 shown]
	s_lshl_b32 s12, s16, 3
	s_lshl_b32 s17, s13, 3
	s_add_i32 s12, s12, s3
	s_cmp_lt_i32 s12, s6
	s_cselect_b64 s[12:13], -1, 0
	s_add_i32 s17, s17, s4
	s_cmp_lt_i32 s17, s9
	s_cselect_b64 s[14:15], -1, 0
	s_and_b64 s[12:13], s[12:13], s[14:15]
	s_andn2_b64 vcc, exec, s[12:13]
	s_cbranch_vccnz .LBB16_6
; %bb.1:
	s_load_dwordx4 s[12:15], s[0:1], 0x0
	s_mul_i32 s0, s5, s6
	s_mul_i32 s11, s11, s9
	s_add_i32 s0, s0, s3
	s_mul_i32 s0, s0, s7
	s_add_i32 s5, s17, s11
	;; [unrolled: 2-line block ×3, first 2 shown]
	s_mulk_i32 s1, 0x300
	s_mulk_i32 s0, 0x60
	s_add_i32 s0, s0, s1
	v_add_u32_e32 v4, s0, v0
	s_waitcnt lgkmcnt(0)
	v_mov_b32_e32 v2, s12
	v_mov_b32_e32 v3, s13
	v_ashrrev_i32_e32 v5, 31, v4
	v_lshl_add_u64 v[2:3], v[4:5], 2, v[2:3]
	global_load_dword v5, v[2:3], off
	s_mul_i32 s5, s10, s2
	s_lshl_b32 s11, s3, 3
	s_add_i32 s9, s5, s10
	s_add_i32 s0, s11, s4
	s_lshl_b32 s1, s9, 6
	s_add_i32 s0, s0, s1
	s_sub_i32 s0, s0, 64
	s_ashr_i32 s1, s0, 31
	s_lshl_b64 s[0:1], s[0:1], 3
	s_add_u32 s0, s14, s0
	s_addc_u32 s1, s15, s1
	s_load_dword s12, s[0:1], 0x4
	s_add_i32 s6, s9, -2
	s_cmp_lt_i32 s6, s5
	s_cbranch_scc1 .LBB16_4
; %bb.2:
	s_lshl_b32 s6, s8, 8
	s_ashr_i32 s7, s6, 31
	s_lshl_b64 s[6:7], s[6:7], 2
	s_add_u32 s6, s14, s6
	s_addc_u32 s7, s15, s7
	s_add_i32 s2, s2, 1
	s_load_dword s0, s[0:1], 0x0
	s_mul_i32 s1, s10, s2
	s_lshl_b32 s2, s1, 6
	s_add_i32 s2, s4, s2
	s_mulk_i32 s3, 0x300
	s_mulk_i32 s4, 0x60
	s_lshl_b32 s8, s8, 6
	s_mulk_i32 s1, 0x1800
	s_add_i32 s3, s4, s3
	s_add_i32 s2, s2, s8
	;; [unrolled: 1-line block ×4, first 2 shown]
	v_add_u32_e32 v0, s3, v0
	s_add_i32 s9, s9, -1
	s_addk_i32 s2, 0xff80
	v_add_u32_e32 v0, 0xffffd000, v0
	s_waitcnt lgkmcnt(0)
	v_mov_b32_e32 v7, s0
	v_mov_b32_e32 v4, s12
	s_mov_b32 s4, 0x3fb8aa3b
	s_mov_b32 s8, 0xc2ce8ed0
	;; [unrolled: 1-line block ×3, first 2 shown]
	v_mov_b32_e32 v6, 0x7f800000
	s_mov_b32 s11, 0xc1a00000
.LBB16_3:                               ; =>This Inner Loop Header: Depth=1
	v_ashrrev_i32_e32 v1, 31, v0
	v_lshl_add_u64 v[8:9], v[0:1], 2, s[6:7]
	global_load_dword v9, v[8:9], off
	s_ashr_i32 s3, s2, 31
	s_lshl_b64 s[0:1], s[2:3], 3
	s_add_u32 s0, s14, s0
	s_addc_u32 s1, s15, s1
	s_load_dwordx2 s[0:1], s[0:1], 0x0
	v_max_f32_e32 v1, v7, v7
	s_add_i32 s9, s9, -1
	s_sub_i32 s2, s2, 64
	v_add_u32_e32 v0, 0xffffe800, v0
	s_waitcnt lgkmcnt(0)
	v_max_f32_e64 v10, s0, s0
	v_max_f32_e32 v1, v1, v10
	v_sub_f32_e32 v11, s0, v1
	v_sub_f32_e32 v10, v7, v1
	v_mul_f32_e32 v12, 0x3fb8aa3b, v11
	v_mov_b32_e32 v7, v1
	v_mul_f32_e32 v1, 0x3fb8aa3b, v10
	v_fma_f32 v15, v11, s4, -v12
	v_rndne_f32_e32 v16, v12
	v_fma_f32 v13, v10, s4, -v1
	v_rndne_f32_e32 v14, v1
	v_fmac_f32_e32 v15, 0x32a5705f, v11
	v_sub_f32_e32 v12, v12, v16
	v_fmac_f32_e32 v13, 0x32a5705f, v10
	v_sub_f32_e32 v1, v1, v14
	v_add_f32_e32 v12, v12, v15
	v_cvt_i32_f32_e32 v16, v16
	v_add_f32_e32 v1, v1, v13
	v_exp_f32_e32 v12, v12
	v_cvt_i32_f32_e32 v14, v14
	v_exp_f32_e32 v1, v1
	v_cmp_ngt_f32_e32 vcc, s8, v11
	v_ldexp_f32 v12, v12, v16
	v_mov_b32_e32 v8, s1
	v_ldexp_f32 v1, v1, v14
	v_cmp_ngt_f32_e64 s[0:1], s8, v10
	v_cndmask_b32_e32 v12, 0, v12, vcc
	v_cmp_nlt_f32_e32 vcc, s10, v11
	v_cndmask_b32_e64 v1, 0, v1, s[0:1]
	v_cmp_nlt_f32_e64 s[0:1], s10, v10
	v_cndmask_b32_e32 v12, v6, v12, vcc
	v_cmp_le_f32_e32 vcc, s11, v11
	v_cndmask_b32_e64 v1, v6, v1, s[0:1]
	v_cmp_le_f32_e64 s[0:1], s11, v10
	v_cndmask_b32_e32 v12, 0, v12, vcc
	s_cmp_le_i32 s9, s5
	v_cndmask_b32_e64 v10, 0, v1, s[0:1]
	s_waitcnt vmcnt(0)
	v_pk_mul_f32 v[8:9], v[8:9], v[12:13] op_sel_hi:[1,0]
	s_nop 0
	v_pk_fma_f32 v[4:5], v[4:5], v[10:11], v[8:9] op_sel_hi:[1,0,1]
	s_cbranch_scc0 .LBB16_3
	s_branch .LBB16_5
.LBB16_4:
	s_waitcnt lgkmcnt(0)
	v_mov_b32_e32 v4, s12
.LBB16_5:
	s_waitcnt vmcnt(0)
	v_div_scale_f32 v0, s[0:1], v4, v4, v5
	v_rcp_f32_e32 v1, v0
	v_div_scale_f32 v6, vcc, v5, v4, v5
	v_fma_f32 v7, -v0, v1, 1.0
	v_fmac_f32_e32 v1, v7, v1
	v_mul_f32_e32 v7, v6, v1
	v_fma_f32 v8, -v0, v7, v6
	v_fmac_f32_e32 v7, v8, v1
	v_fma_f32 v0, -v0, v7, v6
	v_div_fmas_f32 v0, v0, v1, v7
	v_div_fixup_f32 v0, v0, v4, v5
	global_store_dword v[2:3], v0, off
.LBB16_6:
	s_endpgm
	.section	.rodata,"a",@progbits
	.p2align	6, 0x0
	.amdhsa_kernel _ZL33flash_attn_stream_k_fixup_uniformILi96ELi8ELi8EEvPfPK15HIP_vector_typeIfLj2EEiiiiiiS1_IjLj3EES5_S5_
		.amdhsa_group_segment_fixed_size 0
		.amdhsa_private_segment_fixed_size 0
		.amdhsa_kernarg_size 76
		.amdhsa_user_sgpr_count 2
		.amdhsa_user_sgpr_dispatch_ptr 0
		.amdhsa_user_sgpr_queue_ptr 0
		.amdhsa_user_sgpr_kernarg_segment_ptr 1
		.amdhsa_user_sgpr_dispatch_id 0
		.amdhsa_user_sgpr_kernarg_preload_length 0
		.amdhsa_user_sgpr_kernarg_preload_offset 0
		.amdhsa_user_sgpr_private_segment_size 0
		.amdhsa_uses_dynamic_stack 0
		.amdhsa_enable_private_segment 0
		.amdhsa_system_sgpr_workgroup_id_x 1
		.amdhsa_system_sgpr_workgroup_id_y 1
		.amdhsa_system_sgpr_workgroup_id_z 1
		.amdhsa_system_sgpr_workgroup_info 0
		.amdhsa_system_vgpr_workitem_id 0
		.amdhsa_next_free_vgpr 17
		.amdhsa_next_free_sgpr 20
		.amdhsa_accum_offset 20
		.amdhsa_reserve_vcc 1
		.amdhsa_float_round_mode_32 0
		.amdhsa_float_round_mode_16_64 0
		.amdhsa_float_denorm_mode_32 3
		.amdhsa_float_denorm_mode_16_64 3
		.amdhsa_dx10_clamp 1
		.amdhsa_ieee_mode 1
		.amdhsa_fp16_overflow 0
		.amdhsa_tg_split 0
		.amdhsa_exception_fp_ieee_invalid_op 0
		.amdhsa_exception_fp_denorm_src 0
		.amdhsa_exception_fp_ieee_div_zero 0
		.amdhsa_exception_fp_ieee_overflow 0
		.amdhsa_exception_fp_ieee_underflow 0
		.amdhsa_exception_fp_ieee_inexact 0
		.amdhsa_exception_int_div_zero 0
	.end_amdhsa_kernel
	.section	.text._ZL33flash_attn_stream_k_fixup_uniformILi96ELi8ELi8EEvPfPK15HIP_vector_typeIfLj2EEiiiiiiS1_IjLj3EES5_S5_,"axG",@progbits,_ZL33flash_attn_stream_k_fixup_uniformILi96ELi8ELi8EEvPfPK15HIP_vector_typeIfLj2EEiiiiiiS1_IjLj3EES5_S5_,comdat
.Lfunc_end16:
	.size	_ZL33flash_attn_stream_k_fixup_uniformILi96ELi8ELi8EEvPfPK15HIP_vector_typeIfLj2EEiiiiiiS1_IjLj3EES5_S5_, .Lfunc_end16-_ZL33flash_attn_stream_k_fixup_uniformILi96ELi8ELi8EEvPfPK15HIP_vector_typeIfLj2EEiiiiiiS1_IjLj3EES5_S5_
                                        ; -- End function
	.set _ZL33flash_attn_stream_k_fixup_uniformILi96ELi8ELi8EEvPfPK15HIP_vector_typeIfLj2EEiiiiiiS1_IjLj3EES5_S5_.num_vgpr, 17
	.set _ZL33flash_attn_stream_k_fixup_uniformILi96ELi8ELi8EEvPfPK15HIP_vector_typeIfLj2EEiiiiiiS1_IjLj3EES5_S5_.num_agpr, 0
	.set _ZL33flash_attn_stream_k_fixup_uniformILi96ELi8ELi8EEvPfPK15HIP_vector_typeIfLj2EEiiiiiiS1_IjLj3EES5_S5_.numbered_sgpr, 20
	.set _ZL33flash_attn_stream_k_fixup_uniformILi96ELi8ELi8EEvPfPK15HIP_vector_typeIfLj2EEiiiiiiS1_IjLj3EES5_S5_.num_named_barrier, 0
	.set _ZL33flash_attn_stream_k_fixup_uniformILi96ELi8ELi8EEvPfPK15HIP_vector_typeIfLj2EEiiiiiiS1_IjLj3EES5_S5_.private_seg_size, 0
	.set _ZL33flash_attn_stream_k_fixup_uniformILi96ELi8ELi8EEvPfPK15HIP_vector_typeIfLj2EEiiiiiiS1_IjLj3EES5_S5_.uses_vcc, 1
	.set _ZL33flash_attn_stream_k_fixup_uniformILi96ELi8ELi8EEvPfPK15HIP_vector_typeIfLj2EEiiiiiiS1_IjLj3EES5_S5_.uses_flat_scratch, 0
	.set _ZL33flash_attn_stream_k_fixup_uniformILi96ELi8ELi8EEvPfPK15HIP_vector_typeIfLj2EEiiiiiiS1_IjLj3EES5_S5_.has_dyn_sized_stack, 0
	.set _ZL33flash_attn_stream_k_fixup_uniformILi96ELi8ELi8EEvPfPK15HIP_vector_typeIfLj2EEiiiiiiS1_IjLj3EES5_S5_.has_recursion, 0
	.set _ZL33flash_attn_stream_k_fixup_uniformILi96ELi8ELi8EEvPfPK15HIP_vector_typeIfLj2EEiiiiiiS1_IjLj3EES5_S5_.has_indirect_call, 0
	.section	.AMDGPU.csdata,"",@progbits
; Kernel info:
; codeLenInByte = 832
; TotalNumSgprs: 26
; NumVgprs: 17
; NumAgprs: 0
; TotalNumVgprs: 17
; ScratchSize: 0
; MemoryBound: 0
; FloatMode: 240
; IeeeMode: 1
; LDSByteSize: 0 bytes/workgroup (compile time only)
; SGPRBlocks: 3
; VGPRBlocks: 2
; NumSGPRsForWavesPerEU: 26
; NumVGPRsForWavesPerEU: 17
; AccumOffset: 20
; Occupancy: 8
; WaveLimiterHint : 0
; COMPUTE_PGM_RSRC2:SCRATCH_EN: 0
; COMPUTE_PGM_RSRC2:USER_SGPR: 2
; COMPUTE_PGM_RSRC2:TRAP_HANDLER: 0
; COMPUTE_PGM_RSRC2:TGID_X_EN: 1
; COMPUTE_PGM_RSRC2:TGID_Y_EN: 1
; COMPUTE_PGM_RSRC2:TGID_Z_EN: 1
; COMPUTE_PGM_RSRC2:TIDIG_COMP_CNT: 0
; COMPUTE_PGM_RSRC3_GFX90A:ACCUM_OFFSET: 4
; COMPUTE_PGM_RSRC3_GFX90A:TG_SPLIT: 0
	.section	.text._ZL33flash_attn_stream_k_fixup_generalILi96ELi8ELi8EEvPfPK15HIP_vector_typeIfLj2EEiiiiS1_IjLj3EES5_S5_S5_,"axG",@progbits,_ZL33flash_attn_stream_k_fixup_generalILi96ELi8ELi8EEvPfPK15HIP_vector_typeIfLj2EEiiiiS1_IjLj3EES5_S5_S5_,comdat
	.globl	_ZL33flash_attn_stream_k_fixup_generalILi96ELi8ELi8EEvPfPK15HIP_vector_typeIfLj2EEiiiiS1_IjLj3EES5_S5_S5_ ; -- Begin function _ZL33flash_attn_stream_k_fixup_generalILi96ELi8ELi8EEvPfPK15HIP_vector_typeIfLj2EEiiiiS1_IjLj3EES5_S5_S5_
	.p2align	8
	.type	_ZL33flash_attn_stream_k_fixup_generalILi96ELi8ELi8EEvPfPK15HIP_vector_typeIfLj2EEiiiiS1_IjLj3EES5_S5_S5_,@function
_ZL33flash_attn_stream_k_fixup_generalILi96ELi8ELi8EEvPfPK15HIP_vector_typeIfLj2EEiiiiS1_IjLj3EES5_S5_S5_: ; @_ZL33flash_attn_stream_k_fixup_generalILi96ELi8ELi8EEvPfPK15HIP_vector_typeIfLj2EEiiiiS1_IjLj3EES5_S5_S5_
; %bb.0:
	s_load_dwordx4 s[8:11], s[0:1], 0x10
	s_load_dword s22, s[0:1], 0x50
	s_mov_b32 s12, 0
	s_waitcnt lgkmcnt(0)
	s_mul_hi_i32 s13, s11, s2
	s_cmp_lg_u64 s[12:13], 0
	s_mul_i32 s5, s11, s2
	s_cbranch_scc0 .LBB17_20
; %bb.1:
	s_add_u32 s6, s22, 0
	s_addc_u32 s7, 0, 0
	s_xor_b64 s[6:7], s[6:7], 0
	v_cvt_f32_u32_e32 v1, s6
	v_cvt_f32_u32_e32 v2, s7
	s_sub_u32 s12, 0, s6
	s_subb_u32 s18, 0, s7
	v_fmamk_f32 v1, v2, 0x4f800000, v1
	v_rcp_f32_e32 v1, v1
	s_nop 0
	v_mul_f32_e32 v1, 0x5f7ffffc, v1
	v_mul_f32_e32 v2, 0x2f800000, v1
	v_trunc_f32_e32 v2, v2
	v_fmamk_f32 v1, v2, 0xcf800000, v1
	v_cvt_u32_f32_e32 v2, v2
	v_cvt_u32_f32_e32 v1, v1
	v_readfirstlane_b32 s19, v2
	v_readfirstlane_b32 s14, v1
	s_mul_i32 s15, s12, s19
	s_mul_hi_u32 s21, s12, s14
	s_mul_i32 s20, s18, s14
	s_add_i32 s15, s21, s15
	s_add_i32 s15, s15, s20
	s_mul_i32 s23, s12, s14
	s_mul_i32 s21, s14, s15
	s_mul_hi_u32 s24, s14, s23
	s_mul_hi_u32 s20, s14, s15
	s_add_u32 s21, s24, s21
	s_addc_u32 s20, 0, s20
	s_mul_hi_u32 s25, s19, s23
	s_mul_i32 s23, s19, s23
	s_add_u32 s21, s21, s23
	s_mul_hi_u32 s24, s19, s15
	s_addc_u32 s20, s20, s25
	s_addc_u32 s21, s24, 0
	s_mul_i32 s15, s19, s15
	s_add_u32 s15, s20, s15
	s_addc_u32 s20, 0, s21
	s_add_u32 s21, s14, s15
	s_cselect_b64 s[14:15], -1, 0
	s_cmp_lg_u64 s[14:15], 0
	s_addc_u32 s19, s19, s20
	s_mul_i32 s14, s12, s19
	s_mul_hi_u32 s15, s12, s21
	s_add_i32 s14, s15, s14
	s_mul_i32 s18, s18, s21
	s_add_i32 s14, s14, s18
	s_mul_i32 s12, s12, s21
	s_mul_hi_u32 s18, s19, s12
	s_mul_i32 s20, s19, s12
	s_mul_i32 s24, s21, s14
	s_mul_hi_u32 s12, s21, s12
	s_mul_hi_u32 s23, s21, s14
	s_add_u32 s12, s12, s24
	s_addc_u32 s23, 0, s23
	s_add_u32 s12, s12, s20
	s_mul_hi_u32 s15, s19, s14
	s_addc_u32 s12, s23, s18
	s_addc_u32 s15, s15, 0
	s_mul_i32 s14, s19, s14
	s_add_u32 s12, s12, s14
	s_addc_u32 s18, 0, s15
	s_add_u32 s20, s21, s12
	s_cselect_b64 s[14:15], -1, 0
	s_cmp_lg_u64 s[14:15], 0
	s_addc_u32 s18, s19, s18
	s_ashr_i32 s14, s13, 31
	s_add_u32 s12, s5, s14
	s_mov_b32 s15, s14
	s_addc_u32 s13, s13, s14
	s_xor_b64 s[12:13], s[12:13], s[14:15]
	s_mul_i32 s21, s12, s18
	s_mul_hi_u32 s23, s12, s20
	s_mul_hi_u32 s19, s12, s18
	s_add_u32 s21, s23, s21
	s_addc_u32 s19, 0, s19
	s_mul_hi_u32 s24, s13, s20
	s_mul_i32 s20, s13, s20
	s_add_u32 s20, s21, s20
	s_mul_hi_u32 s23, s13, s18
	s_addc_u32 s19, s19, s24
	s_addc_u32 s20, s23, 0
	s_mul_i32 s18, s13, s18
	s_add_u32 s23, s19, s18
	s_addc_u32 s24, 0, s20
	s_mul_i32 s18, s6, s24
	s_mul_hi_u32 s19, s6, s23
	s_add_i32 s18, s19, s18
	s_mul_i32 s19, s7, s23
	s_add_i32 s25, s18, s19
	s_sub_i32 s20, s13, s25
	s_mul_i32 s18, s6, s23
	s_sub_u32 s12, s12, s18
	s_cselect_b64 s[18:19], -1, 0
	s_cmp_lg_u64 s[18:19], 0
	s_subb_u32 s26, s20, s7
	s_sub_u32 s27, s12, s6
	s_cselect_b64 s[20:21], -1, 0
	s_cmp_lg_u64 s[20:21], 0
	s_subb_u32 s20, s26, 0
	s_cmp_ge_u32 s20, s7
	s_cselect_b32 s21, -1, 0
	s_cmp_ge_u32 s27, s6
	s_cselect_b32 s26, -1, 0
	s_cmp_eq_u32 s20, s7
	s_cselect_b32 s20, s26, s21
	s_add_u32 s21, s23, 1
	s_addc_u32 s26, s24, 0
	s_add_u32 s27, s23, 2
	s_addc_u32 s28, s24, 0
	s_cmp_lg_u32 s20, 0
	s_cselect_b32 s20, s27, s21
	s_cselect_b32 s21, s28, s26
	s_cmp_lg_u64 s[18:19], 0
	s_subb_u32 s13, s13, s25
	s_cmp_ge_u32 s13, s7
	s_cselect_b32 s18, -1, 0
	s_cmp_ge_u32 s12, s6
	s_cselect_b32 s6, -1, 0
	s_cmp_eq_u32 s13, s7
	s_cselect_b32 s6, s6, s18
	s_cmp_lg_u32 s6, 0
	s_cselect_b32 s7, s21, s24
	s_cselect_b32 s6, s20, s23
	s_xor_b64 s[12:13], s[14:15], 0
	s_xor_b64 s[6:7], s[6:7], s[12:13]
	s_sub_u32 s6, s6, s12
	s_load_dwordx4 s[12:15], s[0:1], 0x44
	s_cbranch_execnz .LBB17_3
.LBB17_2:
	v_cvt_f32_u32_e32 v1, s22
	s_sub_i32 s6, 0, s22
	v_rcp_iflag_f32_e32 v1, v1
	s_nop 0
	v_mul_f32_e32 v1, 0x4f7ffffe, v1
	v_cvt_u32_f32_e32 v1, v1
	s_nop 0
	v_readfirstlane_b32 s7, v1
	s_mul_i32 s6, s6, s7
	s_mul_hi_u32 s6, s7, s6
	s_add_i32 s7, s7, s6
	s_mul_hi_u32 s6, s5, s7
	s_waitcnt lgkmcnt(0)
	s_mul_i32 s15, s6, s22
	s_sub_i32 s5, s5, s15
	s_add_i32 s7, s6, 1
	s_sub_i32 s15, s5, s22
	s_cmp_ge_u32 s5, s22
	s_cselect_b32 s6, s7, s6
	s_cselect_b32 s5, s15, s5
	s_add_i32 s7, s6, 1
	s_cmp_ge_u32 s5, s22
	s_cselect_b32 s6, s7, s6
.LBB17_3:
	s_add_i32 s5, s2, 1
	s_mul_hi_i32 s21, s11, s5
	s_mov_b32 s20, 0
	s_cmp_lg_u64 s[20:21], 0
	s_mul_i32 s5, s11, s5
	s_cbranch_scc0 .LBB17_21
; %bb.4:
	s_add_u32 s16, s22, 0
	s_addc_u32 s17, 0, 0
	s_xor_b64 s[18:19], s[16:17], 0
	v_cvt_f32_u32_e32 v1, s18
	v_cvt_f32_u32_e32 v2, s19
	s_sub_u32 s7, 0, s18
	s_waitcnt lgkmcnt(0)
	s_subb_u32 s15, 0, s19
	v_fmamk_f32 v1, v2, 0x4f800000, v1
	v_rcp_f32_e32 v1, v1
	s_nop 0
	v_mul_f32_e32 v1, 0x5f7ffffc, v1
	v_mul_f32_e32 v2, 0x2f800000, v1
	v_trunc_f32_e32 v2, v2
	v_fmamk_f32 v1, v2, 0xcf800000, v1
	v_cvt_u32_f32_e32 v2, v2
	v_cvt_u32_f32_e32 v1, v1
	v_readfirstlane_b32 s20, v2
	v_readfirstlane_b32 s23, v1
	s_mul_i32 s24, s7, s20
	s_mul_hi_u32 s26, s7, s23
	s_mul_i32 s25, s15, s23
	s_add_i32 s24, s26, s24
	s_add_i32 s24, s24, s25
	s_mul_i32 s27, s7, s23
	s_mul_i32 s26, s23, s24
	s_mul_hi_u32 s28, s23, s27
	s_mul_hi_u32 s25, s23, s24
	s_add_u32 s26, s28, s26
	s_addc_u32 s25, 0, s25
	s_mul_hi_u32 s29, s20, s27
	s_mul_i32 s27, s20, s27
	s_add_u32 s26, s26, s27
	s_mul_hi_u32 s28, s20, s24
	s_addc_u32 s25, s25, s29
	s_addc_u32 s26, s28, 0
	s_mul_i32 s24, s20, s24
	s_add_u32 s24, s25, s24
	s_addc_u32 s26, 0, s26
	s_add_u32 s23, s23, s24
	s_cselect_b64 s[24:25], -1, 0
	s_cmp_lg_u64 s[24:25], 0
	s_addc_u32 s20, s20, s26
	s_mul_i32 s24, s7, s20
	s_mul_hi_u32 s25, s7, s23
	s_add_i32 s24, s25, s24
	s_mul_i32 s15, s15, s23
	s_add_i32 s24, s24, s15
	s_mul_i32 s7, s7, s23
	s_mul_hi_u32 s25, s20, s7
	s_mul_i32 s26, s20, s7
	s_mul_i32 s28, s23, s24
	s_mul_hi_u32 s7, s23, s7
	s_mul_hi_u32 s27, s23, s24
	s_add_u32 s7, s7, s28
	s_addc_u32 s27, 0, s27
	s_add_u32 s7, s7, s26
	s_mul_hi_u32 s15, s20, s24
	s_addc_u32 s7, s27, s25
	s_addc_u32 s15, s15, 0
	s_mul_i32 s24, s20, s24
	s_add_u32 s7, s7, s24
	s_addc_u32 s15, 0, s15
	s_add_u32 s7, s23, s7
	s_cselect_b64 s[24:25], -1, 0
	s_cmp_lg_u64 s[24:25], 0
	s_addc_u32 s15, s20, s15
	s_ashr_i32 s24, s21, 31
	s_add_u32 s20, s5, s24
	s_mov_b32 s25, s24
	s_addc_u32 s21, s21, s24
	s_xor_b64 s[20:21], s[20:21], s[24:25]
	s_mul_i32 s26, s20, s15
	s_mul_hi_u32 s27, s20, s7
	s_mul_hi_u32 s23, s20, s15
	s_add_u32 s26, s27, s26
	s_addc_u32 s23, 0, s23
	s_mul_hi_u32 s28, s21, s7
	s_mul_i32 s7, s21, s7
	s_add_u32 s7, s26, s7
	s_mul_hi_u32 s27, s21, s15
	s_addc_u32 s7, s23, s28
	s_addc_u32 s23, s27, 0
	s_mul_i32 s15, s21, s15
	s_add_u32 s7, s7, s15
	s_addc_u32 s15, 0, s23
	s_mul_i32 s23, s18, s15
	s_mul_hi_u32 s26, s18, s7
	s_add_i32 s23, s26, s23
	s_mul_i32 s26, s19, s7
	s_add_i32 s23, s23, s26
	s_sub_i32 s28, s21, s23
	s_mul_i32 s26, s18, s7
	s_sub_u32 s20, s20, s26
	s_cselect_b64 s[26:27], -1, 0
	s_cmp_lg_u64 s[26:27], 0
	s_subb_u32 s30, s28, s19
	s_sub_u32 s31, s20, s18
	s_cselect_b64 s[28:29], -1, 0
	s_cmp_lg_u64 s[28:29], 0
	s_subb_u32 s28, s30, 0
	s_cmp_ge_u32 s28, s19
	s_cselect_b32 s29, -1, 0
	s_cmp_ge_u32 s31, s18
	s_cselect_b32 s30, -1, 0
	s_cmp_eq_u32 s28, s19
	s_cselect_b32 s28, s30, s29
	s_add_u32 s29, s7, 1
	s_addc_u32 s30, s15, 0
	s_add_u32 s31, s7, 2
	s_addc_u32 s33, s15, 0
	s_cmp_lg_u32 s28, 0
	s_cselect_b32 s28, s31, s29
	s_cselect_b32 s29, s33, s30
	s_cmp_lg_u64 s[26:27], 0
	s_subb_u32 s21, s21, s23
	s_cmp_ge_u32 s21, s19
	s_cselect_b32 s23, -1, 0
	s_cmp_ge_u32 s20, s18
	s_cselect_b32 s18, -1, 0
	s_cmp_eq_u32 s21, s19
	s_cselect_b32 s18, s18, s23
	s_cmp_lg_u32 s18, 0
	s_cselect_b32 s19, s29, s15
	s_cselect_b32 s18, s28, s7
	s_xor_b64 s[20:21], s[24:25], 0
	s_xor_b64 s[18:19], s[18:19], s[20:21]
	s_sub_u32 s18, s18, s20
	s_cbranch_execnz .LBB17_6
.LBB17_5:
	v_cvt_f32_u32_e32 v1, s22
	s_sub_i32 s7, 0, s22
	v_rcp_iflag_f32_e32 v1, v1
	s_nop 0
	v_mul_f32_e32 v1, 0x4f7ffffe, v1
	v_cvt_u32_f32_e32 v1, v1
	s_waitcnt lgkmcnt(0)
	v_readfirstlane_b32 s15, v1
	s_mul_i32 s7, s7, s15
	s_mul_hi_u32 s7, s15, s7
	s_add_i32 s15, s15, s7
	s_mul_hi_u32 s7, s5, s15
	s_mul_i32 s16, s7, s22
	s_sub_i32 s5, s5, s16
	s_add_i32 s15, s7, 1
	s_sub_i32 s16, s5, s22
	s_cmp_ge_u32 s5, s22
	s_cselect_b32 s7, s15, s7
	s_cselect_b32 s5, s16, s5
	s_add_i32 s15, s7, 1
	s_cmp_ge_u32 s5, s22
	s_cselect_b32 s18, s15, s7
.LBB17_6:
	s_cmp_eq_u32 s6, s18
	s_waitcnt lgkmcnt(0)
	s_mul_hi_u32 s5, s6, s12
	s_cselect_b64 s[16:17], -1, 0
	s_add_i32 s5, s5, s6
	s_lshr_b32 s7, s5, s13
	s_mul_i32 s5, s7, s14
	s_cmp_eq_u32 s5, s6
	s_mul_hi_u32 s5, s18, s12
	s_cselect_b64 s[20:21], -1, 0
	s_add_i32 s5, s5, s18
	s_lshr_b32 s5, s5, s13
	s_cmp_eq_u32 s7, s5
	s_mul_i32 s5, s5, s14
	s_cselect_b64 s[24:25], -1, 0
	s_cmp_lg_u32 s5, s18
	s_cselect_b64 s[18:19], -1, 0
	s_and_b64 s[18:19], s[24:25], s[18:19]
	s_or_b64 s[16:17], s[16:17], s[20:21]
	s_or_b64 s[16:17], s[16:17], s[18:19]
	s_and_b64 vcc, exec, s[16:17]
	s_cbranch_vccnz .LBB17_23
; %bb.7:
	s_load_dwordx8 s[24:31], s[0:1], 0x20
	s_load_dword s5, s[0:1], 0x40
	s_waitcnt lgkmcnt(0)
	s_mul_hi_u32 s15, s6, s24
	s_add_i32 s15, s15, s6
	s_lshr_b32 s20, s15, s25
	s_mul_i32 s15, s20, s26
	s_sub_i32 s15, s6, s15
	s_mul_hi_u32 s16, s15, s27
	s_add_i32 s16, s15, s16
	s_lshr_b32 s21, s16, s28
	s_mul_i32 s16, s21, s29
	s_sub_i32 s15, s15, s16
	;; [unrolled: 5-line block ×3, first 2 shown]
	s_mul_hi_u32 s15, s5, s12
	s_add_i32 s5, s5, s15
	s_lshr_b32 s23, s5, s13
	s_lshl_b32 s5, s23, 3
	s_lshl_b32 s24, s16, 3
	s_add_i32 s5, s5, s3
	s_cmp_lt_i32 s5, s8
	s_cselect_b64 s[16:17], -1, 0
	s_add_i32 s24, s24, s4
	s_cmp_lt_i32 s24, s10
	s_cselect_b64 s[18:19], -1, 0
	s_and_b64 s[16:17], s[16:17], s[18:19]
	s_andn2_b64 vcc, exec, s[16:17]
	s_cbranch_vccnz .LBB17_23
; %bb.8:
	s_load_dwordx4 s[16:19], s[0:1], 0x0
	s_mov_b32 s0, 0
	s_lshl_b32 s15, s3, 3
	s_lshl_b32 s26, s22, 8
	s_mov_b32 s27, s0
	s_add_i32 s15, s15, s4
	s_lshl_b64 s[4:5], s[26:27], 2
	s_waitcnt lgkmcnt(0)
	s_add_u32 s4, s18, s4
	s_mul_i32 s1, s20, s8
	s_addc_u32 s5, s19, s5
	s_mul_i32 s21, s21, s10
	s_add_i32 s1, s1, s3
	s_mul_i32 s1, s1, s9
	s_add_i32 s3, s24, s21
	s_mul_i32 s8, s9, s23
	s_add_i32 s1, s3, s1
	s_mulk_i32 s8, 0x300
	s_mulk_i32 s1, 0x60
	s_add_i32 s8, s8, s1
	v_add_u32_e32 v4, s8, v0
	v_mov_b32_e32 v2, s16
	v_mov_b32_e32 v3, s17
	v_ashrrev_i32_e32 v5, 31, v4
	v_lshl_add_u64 v[2:3], v[4:5], 2, v[2:3]
	global_load_dword v1, v[2:3], off
	v_cvt_f32_u32_e32 v4, s22
	s_lshl_b32 s1, s2, 6
	s_add_i32 s8, s15, s1
	s_ashr_i32 s9, s8, 31
	s_lshl_b64 s[8:9], s[8:9], 3
	v_rcp_iflag_f32_e32 v4, v4
	s_add_u32 s8, s18, s8
	s_addc_u32 s9, s19, s9
	s_load_dwordx2 s[8:9], s[8:9], 0x0
	v_mul_f32_e32 v4, 0x4f7ffffe, v4
	v_cvt_u32_f32_e32 v7, v4
	s_mul_i32 s1, s15, 0x60
	s_add_i32 s21, s2, -1
	v_add_u32_e32 v6, s1, v0
	s_waitcnt lgkmcnt(0)
	v_mov_b32_e32 v0, s9
	v_mov_b32_e32 v9, s8
	s_mov_b32 s10, 0x3fb8aa3b
	s_mov_b32 s20, 0xc2ce8ed0
	s_mov_b32 s23, 0x42b17218
	s_mov_b32 s24, 0xc1a00000
	v_mov_b32_e32 v8, 0x7f800000
	s_mul_hi_i32 s1, s21, s11
	s_cmp_lg_u64 s[0:1], 0
	s_mul_i32 s16, s21, s11
	s_cbranch_scc0 .LBB17_19
.LBB17_9:
	s_add_u32 s2, s22, 0
	s_addc_u32 s3, 0, 0
	s_xor_b64 s[2:3], s[2:3], 0
	v_cvt_f32_u32_e32 v4, s2
	v_cvt_f32_u32_e32 v5, s3
	s_sub_u32 s17, 0, s2
	s_subb_u32 s25, 0, s3
	v_fmac_f32_e32 v4, 0x4f800000, v5
	v_rcp_f32_e32 v4, v4
	s_nop 0
	v_mul_f32_e32 v4, 0x5f7ffffc, v4
	v_mul_f32_e32 v5, 0x2f800000, v4
	v_trunc_f32_e32 v5, v5
	v_fmac_f32_e32 v4, 0xcf800000, v5
	v_cvt_u32_f32_e32 v5, v5
	v_cvt_u32_f32_e32 v4, v4
	v_readfirstlane_b32 s26, v5
	v_readfirstlane_b32 s8, v4
	s_mul_i32 s9, s17, s26
	s_mul_hi_u32 s28, s17, s8
	s_mul_i32 s27, s25, s8
	s_add_i32 s9, s28, s9
	s_mul_i32 s29, s17, s8
	s_add_i32 s9, s9, s27
	s_mul_i32 s28, s8, s9
	s_mul_hi_u32 s30, s8, s29
	s_mul_hi_u32 s27, s8, s9
	s_add_u32 s28, s30, s28
	s_addc_u32 s27, 0, s27
	s_mul_hi_u32 s31, s26, s29
	s_mul_i32 s29, s26, s29
	s_add_u32 s28, s28, s29
	s_mul_hi_u32 s30, s26, s9
	s_addc_u32 s27, s27, s31
	s_addc_u32 s28, s30, 0
	s_mul_i32 s9, s26, s9
	s_add_u32 s9, s27, s9
	s_addc_u32 s27, 0, s28
	s_add_u32 s28, s8, s9
	s_cselect_b64 s[8:9], -1, 0
	s_cmp_lg_u64 s[8:9], 0
	s_addc_u32 s26, s26, s27
	s_mul_i32 s8, s17, s26
	s_mul_hi_u32 s9, s17, s28
	s_add_i32 s8, s9, s8
	s_mul_i32 s25, s25, s28
	s_add_i32 s8, s8, s25
	s_mul_i32 s17, s17, s28
	s_mul_hi_u32 s25, s26, s17
	s_mul_i32 s27, s26, s17
	s_mul_i32 s30, s28, s8
	s_mul_hi_u32 s17, s28, s17
	s_mul_hi_u32 s29, s28, s8
	s_add_u32 s17, s17, s30
	s_addc_u32 s29, 0, s29
	s_add_u32 s17, s17, s27
	s_mul_hi_u32 s9, s26, s8
	s_addc_u32 s17, s29, s25
	s_addc_u32 s9, s9, 0
	s_mul_i32 s8, s26, s8
	s_add_u32 s8, s17, s8
	s_addc_u32 s17, 0, s9
	s_add_u32 s25, s28, s8
	s_cselect_b64 s[8:9], -1, 0
	s_cmp_lg_u64 s[8:9], 0
	s_addc_u32 s17, s26, s17
	s_ashr_i32 s8, s1, 31
	s_add_u32 s26, s16, s8
	s_mov_b32 s9, s8
	s_addc_u32 s27, s1, s8
	s_xor_b64 s[26:27], s[26:27], s[8:9]
	s_mul_i32 s28, s26, s17
	s_mul_hi_u32 s29, s26, s25
	s_mul_hi_u32 s1, s26, s17
	s_add_u32 s28, s29, s28
	s_addc_u32 s1, 0, s1
	s_mul_hi_u32 s30, s27, s25
	s_mul_i32 s25, s27, s25
	s_add_u32 s25, s28, s25
	s_mul_hi_u32 s29, s27, s17
	s_addc_u32 s1, s1, s30
	s_addc_u32 s25, s29, 0
	s_mul_i32 s17, s27, s17
	s_add_u32 s1, s1, s17
	s_addc_u32 s17, 0, s25
	s_mul_i32 s25, s2, s17
	s_mul_hi_u32 s28, s2, s1
	s_add_i32 s25, s28, s25
	s_mul_i32 s28, s3, s1
	s_add_i32 s25, s25, s28
	s_sub_i32 s30, s27, s25
	s_mul_i32 s28, s2, s1
	s_sub_u32 s26, s26, s28
	s_cselect_b64 s[28:29], -1, 0
	s_cmp_lg_u64 s[28:29], 0
	s_subb_u32 s33, s30, s3
	s_sub_u32 s34, s26, s2
	s_cselect_b64 s[30:31], -1, 0
	s_cmp_lg_u64 s[30:31], 0
	s_subb_u32 s30, s33, 0
	s_cmp_ge_u32 s30, s3
	s_cselect_b32 s31, -1, 0
	s_cmp_ge_u32 s34, s2
	s_cselect_b32 s33, -1, 0
	s_cmp_eq_u32 s30, s3
	s_cselect_b32 s30, s33, s31
	s_add_u32 s31, s1, 1
	s_addc_u32 s33, s17, 0
	s_add_u32 s34, s1, 2
	s_addc_u32 s35, s17, 0
	s_cmp_lg_u32 s30, 0
	s_cselect_b32 s30, s34, s31
	s_cselect_b32 s31, s35, s33
	s_cmp_lg_u64 s[28:29], 0
	s_subb_u32 s25, s27, s25
	s_cmp_ge_u32 s25, s3
	s_cselect_b32 s27, -1, 0
	s_cmp_ge_u32 s26, s2
	s_cselect_b32 s2, -1, 0
	s_cmp_eq_u32 s25, s3
	s_cselect_b32 s2, s2, s27
	s_cmp_lg_u32 s2, 0
	s_cselect_b32 s3, s31, s17
	s_cselect_b32 s2, s30, s1
	s_xor_b64 s[8:9], s[8:9], 0
	s_xor_b64 s[2:3], s[2:3], s[8:9]
	s_sub_u32 s8, s2, s8
	s_cbranch_execnz .LBB17_11
.LBB17_10:
	s_sub_i32 s1, 0, s22
	v_readfirstlane_b32 s2, v7
	s_mul_i32 s1, s1, s2
	s_mul_hi_u32 s1, s2, s1
	s_add_i32 s2, s2, s1
	s_mul_hi_u32 s1, s16, s2
	s_mul_i32 s3, s1, s22
	s_sub_i32 s3, s16, s3
	s_add_i32 s2, s1, 1
	s_sub_i32 s8, s3, s22
	s_cmp_ge_u32 s3, s22
	s_cselect_b32 s1, s2, s1
	s_cselect_b32 s3, s8, s3
	s_add_i32 s2, s1, 1
	s_cmp_ge_u32 s3, s22
	s_cselect_b32 s8, s2, s1
.LBB17_11:
	s_cmp_lg_u32 s6, s8
	s_cbranch_scc0 .LBB17_15
; %bb.12:
	s_add_i32 s1, s21, s22
	s_lshl_b32 s1, s1, 6
	s_add_i32 s2, s1, s15
	s_mov_b32 s3, s0
	s_lshl_b64 s[2:3], s[2:3], 3
	s_add_u32 s16, s18, s2
	s_mul_hi_u32 s1, s8, s12
	s_addc_u32 s17, s19, s3
	s_add_i32 s1, s1, s8
	s_lshr_b32 s1, s1, s13
	s_mul_i32 s2, s1, s14
	s_cmp_eq_u32 s2, s8
	s_cselect_b64 s[2:3], -1, 0
	s_cmp_lt_u32 s1, s7
	s_cselect_b64 s[26:27], -1, 0
	s_or_b64 s[26:27], s[26:27], s[2:3]
	s_mov_b64 s[2:3], -1
	s_and_b64 vcc, exec, s[26:27]
	s_mov_b32 s1, s21
	s_mov_b32 s25, s6
	s_cbranch_vccnz .LBB17_14
; %bb.13:
	s_add_i32 s1, s21, -1
	s_mov_b64 s[2:3], 0
	s_mov_b32 s25, s8
.LBB17_14:
	s_mul_i32 s8, s21, 0x1800
	v_add_u32_e32 v4, s8, v6
	v_ashrrev_i32_e32 v5, 31, v4
	v_lshl_add_u64 v[4:5], v[4:5], 2, s[4:5]
	global_load_dword v5, v[4:5], off
	s_load_dwordx2 s[8:9], s[16:17], 0x0
	v_max_f32_e32 v4, v9, v9
	s_waitcnt lgkmcnt(0)
	v_max_f32_e64 v10, s8, s8
	v_max_f32_e32 v10, v4, v10
	v_sub_f32_e32 v11, v9, v10
	v_sub_f32_e32 v13, s8, v10
	v_mul_f32_e32 v4, 0x3fb8aa3b, v11
	v_mul_f32_e32 v12, 0x3fb8aa3b, v13
	v_fma_f32 v14, v11, s10, -v4
	v_rndne_f32_e32 v15, v4
	v_fma_f32 v16, v13, s10, -v12
	v_rndne_f32_e32 v17, v12
	v_fmac_f32_e32 v14, 0x32a5705f, v11
	v_sub_f32_e32 v4, v4, v15
	v_fmac_f32_e32 v16, 0x32a5705f, v13
	v_sub_f32_e32 v12, v12, v17
	v_add_f32_e32 v4, v4, v14
	v_cvt_i32_f32_e32 v15, v15
	v_add_f32_e32 v12, v12, v16
	v_exp_f32_e32 v14, v4
	v_cvt_i32_f32_e32 v17, v17
	v_exp_f32_e32 v12, v12
	v_cmp_ngt_f32_e32 vcc, s20, v11
	v_ldexp_f32 v14, v14, v15
	v_mov_b32_e32 v4, s9
	v_ldexp_f32 v12, v12, v17
	v_cndmask_b32_e32 v14, 0, v14, vcc
	v_cmp_ngt_f32_e32 vcc, s20, v13
	s_nop 1
	v_cndmask_b32_e32 v12, 0, v12, vcc
	v_cmp_nlt_f32_e32 vcc, s23, v11
	s_nop 1
	v_cndmask_b32_e32 v14, v8, v14, vcc
	v_cmp_nlt_f32_e32 vcc, s23, v13
	s_nop 1
	v_cndmask_b32_e32 v15, v8, v12, vcc
	v_cmp_le_f32_e32 vcc, s24, v11
	s_nop 1
	v_cndmask_b32_e32 v12, 0, v14, vcc
	v_cmp_le_f32_e32 vcc, s24, v13
	s_nop 1
	v_cndmask_b32_e32 v14, 0, v15, vcc
	s_waitcnt vmcnt(0)
	v_pk_mul_f32 v[4:5], v[4:5], v[14:15] op_sel_hi:[1,0]
	s_nop 0
	v_pk_fma_f32 v[4:5], v[0:1], v[12:13], v[4:5] op_sel_hi:[1,0,1]
	s_cbranch_execz .LBB17_16
	s_branch .LBB17_17
.LBB17_15:
                                        ; implicit-def: $vgpr4_vgpr5
                                        ; implicit-def: $sgpr2_sgpr3
                                        ; implicit-def: $vgpr10
                                        ; implicit-def: $sgpr1
                                        ; implicit-def: $sgpr25
.LBB17_16:
	s_add_i32 s1, s21, -1
	s_mov_b64 s[2:3], 0
	s_mov_b32 s25, s6
	v_mov_b32_e32 v10, v9
	s_waitcnt vmcnt(0)
	v_mov_b64_e32 v[4:5], v[0:1]
.LBB17_17:
	s_andn2_b64 vcc, exec, s[2:3]
	s_cbranch_vccz .LBB17_22
; %bb.18:
	s_mov_b32 s6, s25
	s_mov_b32 s21, s1
	v_mov_b32_e32 v9, v10
	s_waitcnt vmcnt(0)
	v_mov_b64_e32 v[0:1], v[4:5]
	s_mul_hi_i32 s1, s21, s11
	s_cmp_lg_u64 s[0:1], 0
	s_mul_i32 s16, s21, s11
	s_cbranch_scc1 .LBB17_9
.LBB17_19:
                                        ; implicit-def: $sgpr8_sgpr9
	s_branch .LBB17_10
.LBB17_20:
                                        ; implicit-def: $sgpr6_sgpr7
	s_load_dwordx4 s[12:15], s[0:1], 0x44
	s_branch .LBB17_2
.LBB17_21:
                                        ; implicit-def: $sgpr18_sgpr19
	s_branch .LBB17_5
.LBB17_22:
	v_div_scale_f32 v0, s[0:1], v4, v4, v5
	s_waitcnt vmcnt(0)
	v_rcp_f32_e32 v1, v0
	v_div_scale_f32 v6, vcc, v5, v4, v5
	v_fma_f32 v7, -v0, v1, 1.0
	v_fmac_f32_e32 v1, v7, v1
	v_mul_f32_e32 v7, v6, v1
	v_fma_f32 v8, -v0, v7, v6
	v_fmac_f32_e32 v7, v8, v1
	v_fma_f32 v0, -v0, v7, v6
	v_div_fmas_f32 v0, v0, v1, v7
	v_div_fixup_f32 v0, v0, v4, v5
	global_store_dword v[2:3], v0, off
.LBB17_23:
	s_endpgm
	.section	.rodata,"a",@progbits
	.p2align	6, 0x0
	.amdhsa_kernel _ZL33flash_attn_stream_k_fixup_generalILi96ELi8ELi8EEvPfPK15HIP_vector_typeIfLj2EEiiiiS1_IjLj3EES5_S5_S5_
		.amdhsa_group_segment_fixed_size 0
		.amdhsa_private_segment_fixed_size 0
		.amdhsa_kernarg_size 336
		.amdhsa_user_sgpr_count 2
		.amdhsa_user_sgpr_dispatch_ptr 0
		.amdhsa_user_sgpr_queue_ptr 0
		.amdhsa_user_sgpr_kernarg_segment_ptr 1
		.amdhsa_user_sgpr_dispatch_id 0
		.amdhsa_user_sgpr_kernarg_preload_length 0
		.amdhsa_user_sgpr_kernarg_preload_offset 0
		.amdhsa_user_sgpr_private_segment_size 0
		.amdhsa_uses_dynamic_stack 0
		.amdhsa_enable_private_segment 0
		.amdhsa_system_sgpr_workgroup_id_x 1
		.amdhsa_system_sgpr_workgroup_id_y 1
		.amdhsa_system_sgpr_workgroup_id_z 1
		.amdhsa_system_sgpr_workgroup_info 0
		.amdhsa_system_vgpr_workitem_id 0
		.amdhsa_next_free_vgpr 18
		.amdhsa_next_free_sgpr 36
		.amdhsa_accum_offset 20
		.amdhsa_reserve_vcc 1
		.amdhsa_float_round_mode_32 0
		.amdhsa_float_round_mode_16_64 0
		.amdhsa_float_denorm_mode_32 3
		.amdhsa_float_denorm_mode_16_64 3
		.amdhsa_dx10_clamp 1
		.amdhsa_ieee_mode 1
		.amdhsa_fp16_overflow 0
		.amdhsa_tg_split 0
		.amdhsa_exception_fp_ieee_invalid_op 0
		.amdhsa_exception_fp_denorm_src 0
		.amdhsa_exception_fp_ieee_div_zero 0
		.amdhsa_exception_fp_ieee_overflow 0
		.amdhsa_exception_fp_ieee_underflow 0
		.amdhsa_exception_fp_ieee_inexact 0
		.amdhsa_exception_int_div_zero 0
	.end_amdhsa_kernel
	.section	.text._ZL33flash_attn_stream_k_fixup_generalILi96ELi8ELi8EEvPfPK15HIP_vector_typeIfLj2EEiiiiS1_IjLj3EES5_S5_S5_,"axG",@progbits,_ZL33flash_attn_stream_k_fixup_generalILi96ELi8ELi8EEvPfPK15HIP_vector_typeIfLj2EEiiiiS1_IjLj3EES5_S5_S5_,comdat
.Lfunc_end17:
	.size	_ZL33flash_attn_stream_k_fixup_generalILi96ELi8ELi8EEvPfPK15HIP_vector_typeIfLj2EEiiiiS1_IjLj3EES5_S5_S5_, .Lfunc_end17-_ZL33flash_attn_stream_k_fixup_generalILi96ELi8ELi8EEvPfPK15HIP_vector_typeIfLj2EEiiiiS1_IjLj3EES5_S5_S5_
                                        ; -- End function
	.set _ZL33flash_attn_stream_k_fixup_generalILi96ELi8ELi8EEvPfPK15HIP_vector_typeIfLj2EEiiiiS1_IjLj3EES5_S5_S5_.num_vgpr, 18
	.set _ZL33flash_attn_stream_k_fixup_generalILi96ELi8ELi8EEvPfPK15HIP_vector_typeIfLj2EEiiiiS1_IjLj3EES5_S5_S5_.num_agpr, 0
	.set _ZL33flash_attn_stream_k_fixup_generalILi96ELi8ELi8EEvPfPK15HIP_vector_typeIfLj2EEiiiiS1_IjLj3EES5_S5_S5_.numbered_sgpr, 36
	.set _ZL33flash_attn_stream_k_fixup_generalILi96ELi8ELi8EEvPfPK15HIP_vector_typeIfLj2EEiiiiS1_IjLj3EES5_S5_S5_.num_named_barrier, 0
	.set _ZL33flash_attn_stream_k_fixup_generalILi96ELi8ELi8EEvPfPK15HIP_vector_typeIfLj2EEiiiiS1_IjLj3EES5_S5_S5_.private_seg_size, 0
	.set _ZL33flash_attn_stream_k_fixup_generalILi96ELi8ELi8EEvPfPK15HIP_vector_typeIfLj2EEiiiiS1_IjLj3EES5_S5_S5_.uses_vcc, 1
	.set _ZL33flash_attn_stream_k_fixup_generalILi96ELi8ELi8EEvPfPK15HIP_vector_typeIfLj2EEiiiiS1_IjLj3EES5_S5_S5_.uses_flat_scratch, 0
	.set _ZL33flash_attn_stream_k_fixup_generalILi96ELi8ELi8EEvPfPK15HIP_vector_typeIfLj2EEiiiiS1_IjLj3EES5_S5_S5_.has_dyn_sized_stack, 0
	.set _ZL33flash_attn_stream_k_fixup_generalILi96ELi8ELi8EEvPfPK15HIP_vector_typeIfLj2EEiiiiS1_IjLj3EES5_S5_S5_.has_recursion, 0
	.set _ZL33flash_attn_stream_k_fixup_generalILi96ELi8ELi8EEvPfPK15HIP_vector_typeIfLj2EEiiiiS1_IjLj3EES5_S5_S5_.has_indirect_call, 0
	.section	.AMDGPU.csdata,"",@progbits
; Kernel info:
; codeLenInByte = 2944
; TotalNumSgprs: 42
; NumVgprs: 18
; NumAgprs: 0
; TotalNumVgprs: 18
; ScratchSize: 0
; MemoryBound: 0
; FloatMode: 240
; IeeeMode: 1
; LDSByteSize: 0 bytes/workgroup (compile time only)
; SGPRBlocks: 5
; VGPRBlocks: 2
; NumSGPRsForWavesPerEU: 42
; NumVGPRsForWavesPerEU: 18
; AccumOffset: 20
; Occupancy: 8
; WaveLimiterHint : 0
; COMPUTE_PGM_RSRC2:SCRATCH_EN: 0
; COMPUTE_PGM_RSRC2:USER_SGPR: 2
; COMPUTE_PGM_RSRC2:TRAP_HANDLER: 0
; COMPUTE_PGM_RSRC2:TGID_X_EN: 1
; COMPUTE_PGM_RSRC2:TGID_Y_EN: 1
; COMPUTE_PGM_RSRC2:TGID_Z_EN: 1
; COMPUTE_PGM_RSRC2:TIDIG_COMP_CNT: 0
; COMPUTE_PGM_RSRC3_GFX90A:ACCUM_OFFSET: 4
; COMPUTE_PGM_RSRC3_GFX90A:TG_SPLIT: 0
	.section	.text._ZL26flash_attn_combine_resultsILi96EEvPKfPK15HIP_vector_typeIfLj2EEPfi,"axG",@progbits,_ZL26flash_attn_combine_resultsILi96EEvPKfPK15HIP_vector_typeIfLj2EEPfi,comdat
	.globl	_ZL26flash_attn_combine_resultsILi96EEvPKfPK15HIP_vector_typeIfLj2EEPfi ; -- Begin function _ZL26flash_attn_combine_resultsILi96EEvPKfPK15HIP_vector_typeIfLj2EEPfi
	.p2align	8
	.type	_ZL26flash_attn_combine_resultsILi96EEvPKfPK15HIP_vector_typeIfLj2EEPfi,@function
_ZL26flash_attn_combine_resultsILi96EEvPKfPK15HIP_vector_typeIfLj2EEPfi: ; @_ZL26flash_attn_combine_resultsILi96EEvPKfPK15HIP_vector_typeIfLj2EEPfi
; %bb.0:
	s_load_dwordx2 s[6:7], s[0:1], 0x20
	s_load_dword s25, s[0:1], 0x18
	s_load_dwordx4 s[16:19], s[0:1], 0x0
	s_load_dwordx2 s[14:15], s[0:1], 0x10
	s_waitcnt lgkmcnt(0)
	s_mul_i32 s0, s6, s4
	s_add_i32 s0, s0, s2
	s_mul_i32 s24, s0, s7
	s_add_i32 s24, s24, s3
	s_lshl_b32 s12, s25, 1
	s_mul_i32 s2, s24, s25
	v_cmp_gt_i32_e32 vcc, s12, v0
	s_and_saveexec_b64 s[0:1], vcc
	s_cbranch_execz .LBB18_13
; %bb.1:
	v_xad_u32 v1, v0, -1, s12
	s_movk_i32 s4, 0x5f
	s_ashr_i32 s3, s2, 31
	v_cmp_lt_u32_e32 vcc, s4, v1
	s_mov_b64 s[6:7], -1
	v_mov_b32_e32 v2, v0
	s_and_saveexec_b64 s[4:5], vcc
	s_cbranch_execz .LBB18_10
; %bb.2:
	s_mov_b32 s6, 0xaaaaaaab
	v_mul_hi_u32 v1, v1, s6
	v_lshrrev_b32_e32 v6, 6, v1
	s_lshl_b64 s[6:7], s[2:3], 3
	v_add_u32_e32 v2, -1, v6
	s_add_u32 s6, s18, s6
	v_add_u32_e32 v1, 0x60, v0
	v_lshrrev_b32_e32 v3, 1, v2
	s_addc_u32 s7, s19, s7
	v_add_u32_e32 v7, 1, v3
	v_cmp_lt_u32_e32 vcc, 13, v2
	v_mov_b32_e32 v4, 0
	v_mov_b64_e32 v[2:3], v[0:1]
	s_and_saveexec_b64 s[8:9], vcc
	s_cbranch_execz .LBB18_6
; %bb.3:
	v_and_b32_e32 v8, -8, v7
	s_mov_b32 s13, 0
	v_lshl_add_u32 v9, v0, 2, 0
	s_mov_b64 s[10:11], 0
	v_mov_b32_e32 v5, 0
	v_mov_b64_e32 v[2:3], v[0:1]
.LBB18_4:                               ; =>This Inner Loop Header: Depth=1
	v_mov_b32_e32 v4, v2
	v_lshl_add_u64 v[24:25], v[4:5], 2, s[6:7]
	v_mov_b32_e32 v4, v3
	v_add_u32_e32 v10, 0xc0, v3
	v_mov_b32_e32 v11, v5
	v_lshl_add_u64 v[26:27], v[4:5], 2, s[6:7]
	v_add_u32_e32 v4, 0xc0, v2
	v_lshl_add_u64 v[10:11], v[10:11], 2, s[6:7]
	global_load_dword v1, v[24:25], off
	v_lshl_add_u64 v[24:25], v[4:5], 2, s[6:7]
	v_add_u32_e32 v4, 0x180, v2
	global_load_dword v28, v[26:27], off
	global_load_dword v29, v[24:25], off
	;; [unrolled: 1-line block ×3, first 2 shown]
	v_lshl_add_u64 v[10:11], v[4:5], 2, s[6:7]
	v_add_u32_e32 v4, 0x240, v2
	v_add_u32_e32 v12, 0x180, v3
	v_mov_b32_e32 v13, v5
	v_add_u32_e32 v14, 0x240, v3
	v_mov_b32_e32 v15, v5
	v_lshl_add_u64 v[24:25], v[4:5], 2, s[6:7]
	v_add_u32_e32 v4, 0x300, v2
	v_lshl_add_u64 v[12:13], v[12:13], 2, s[6:7]
	v_lshl_add_u64 v[14:15], v[14:15], 2, s[6:7]
	global_load_dword v26, v[10:11], off
	global_load_dword v27, v[12:13], off
	;; [unrolled: 1-line block ×4, first 2 shown]
	v_lshl_add_u64 v[10:11], v[4:5], 2, s[6:7]
	v_add_u32_e32 v4, 0x3c0, v2
	v_add_u32_e32 v16, 0x300, v3
	v_mov_b32_e32 v17, v5
	v_add_u32_e32 v18, 0x3c0, v3
	v_mov_b32_e32 v19, v5
	v_lshl_add_u64 v[12:13], v[4:5], 2, s[6:7]
	v_add_u32_e32 v4, 0x480, v2
	v_add_u32_e32 v20, 0x480, v3
	v_mov_b32_e32 v21, v5
	v_add_u32_e32 v22, 0x540, v3
	v_mov_b32_e32 v23, v5
	v_lshl_add_u64 v[16:17], v[16:17], 2, s[6:7]
	v_lshl_add_u64 v[18:19], v[18:19], 2, s[6:7]
	global_load_dword v14, v[10:11], off
	global_load_dword v15, v[16:17], off
	;; [unrolled: 1-line block ×4, first 2 shown]
	v_lshl_add_u64 v[10:11], v[4:5], 2, s[6:7]
	v_add_u32_e32 v4, 0x540, v2
	v_lshl_add_u64 v[20:21], v[20:21], 2, s[6:7]
	v_lshl_add_u64 v[22:23], v[22:23], 2, s[6:7]
	;; [unrolled: 1-line block ×3, first 2 shown]
	global_load_dword v16, v[10:11], off
	global_load_dword v17, v[20:21], off
	;; [unrolled: 1-line block ×4, first 2 shown]
	v_add_u32_e32 v8, -8, v8
	s_add_i32 s13, s13, 16
	v_cmp_eq_u32_e32 vcc, 0, v8
	v_add_u32_e32 v10, 0x200, v9
	v_add_u32_e32 v11, 0x400, v9
	;; [unrolled: 1-line block ×8, first 2 shown]
	v_mov_b32_e32 v4, s13
	s_or_b64 s[10:11], vcc, s[10:11]
	v_add_u32_e32 v2, 0x600, v2
	s_waitcnt vmcnt(14)
	ds_write2_b32 v9, v1, v28 offset1:96
	v_add_u32_e32 v9, 0x1800, v9
	s_waitcnt vmcnt(12)
	ds_write2_b32 v10, v29, v30 offset0:64 offset1:160
	s_waitcnt vmcnt(10)
	ds_write2_b32 v11, v26, v27 offset0:128 offset1:224
	;; [unrolled: 2-line block ×3, first 2 shown]
	s_waitcnt vmcnt(6)
	ds_write2_b32 v13, v14, v15 offset1:96
	s_waitcnt vmcnt(4)
	ds_write2_b32 v20, v24, v25 offset0:64 offset1:160
	s_waitcnt vmcnt(2)
	ds_write2_b32 v21, v16, v17 offset0:128 offset1:224
	;; [unrolled: 2-line block ×3, first 2 shown]
	s_andn2_b64 exec, exec, s[10:11]
	s_cbranch_execnz .LBB18_4
; %bb.5:
	s_or_b64 exec, exec, s[10:11]
.LBB18_6:
	s_or_b64 exec, exec, s[8:9]
	v_and_b32_e32 v1, 7, v7
	v_cmp_ne_u32_e32 vcc, 0, v1
	s_and_saveexec_b64 s[8:9], vcc
	s_cbranch_execz .LBB18_9
; %bb.7:
	s_movk_i32 s10, 0x180
	v_mul_lo_u32 v4, v4, s10
	v_lshlrev_b32_e32 v5, 2, v0
	v_add3_u32 v7, v4, v5, 0
	s_mov_b64 s[10:11], 0
	v_mov_b32_e32 v5, 0
.LBB18_8:                               ; =>This Inner Loop Header: Depth=1
	v_mov_b32_e32 v4, v2
	v_lshl_add_u64 v[8:9], v[4:5], 2, s[6:7]
	v_mov_b32_e32 v4, v3
	v_lshl_add_u64 v[10:11], v[4:5], 2, s[6:7]
	global_load_dword v4, v[8:9], off
	global_load_dword v12, v[10:11], off
	v_add_u32_e32 v1, -1, v1
	v_cmp_eq_u32_e32 vcc, 0, v1
	v_add_u32_e32 v2, 0xc0, v2
	v_add_u32_e32 v3, 0xc0, v3
	s_or_b64 s[10:11], vcc, s[10:11]
	s_waitcnt vmcnt(0)
	ds_write2_b32 v7, v4, v12 offset1:96
	v_add_u32_e32 v7, 0x300, v7
	s_andn2_b64 exec, exec, s[10:11]
	s_cbranch_execnz .LBB18_8
.LBB18_9:
	s_or_b64 exec, exec, s[8:9]
	v_add_u32_e32 v1, 1, v6
	v_and_b32_e32 v4, 0x7fffffe, v1
	s_movk_i32 s6, 0x60
	v_mad_u64_u32 v[2:3], s[6:7], v4, s6, v[0:1]
	v_cmp_ne_u32_e32 vcc, v1, v4
	s_orn2_b64 s[6:7], vcc, exec
.LBB18_10:
	s_or_b64 exec, exec, s[4:5]
	s_and_b64 exec, exec, s[6:7]
	s_cbranch_execz .LBB18_13
; %bb.11:
	s_lshl_b64 s[4:5], s[2:3], 3
	s_add_u32 s4, s18, s4
	v_mov_b32_e32 v3, 0
	s_addc_u32 s5, s19, s5
	v_lshl_add_u64 v[4:5], v[2:3], 2, s[4:5]
	v_lshl_add_u32 v1, v2, 2, 0
	s_mov_b64 s[4:5], 0
	s_mov_b64 s[6:7], 0x180
.LBB18_12:                              ; =>This Inner Loop Header: Depth=1
	global_load_dword v3, v[4:5], off
	v_add_u32_e32 v2, 0x60, v2
	v_cmp_le_i32_e32 vcc, s12, v2
	v_lshl_add_u64 v[4:5], v[4:5], 0, s[6:7]
	s_or_b64 s[4:5], vcc, s[4:5]
	s_waitcnt vmcnt(0)
	ds_write_b32 v1, v3
	v_add_u32_e32 v1, 0x180, v1
	s_andn2_b64 exec, exec, s[4:5]
	s_cbranch_execnz .LBB18_12
.LBB18_13:
	s_or_b64 exec, exec, s[0:1]
	v_mov_b32_e32 v1, 0
	s_waitcnt lgkmcnt(0)
	s_barrier
	ds_read_b32 v1, v1
	s_cmp_lt_i32 s25, 2
	s_cbranch_scc1 .LBB18_21
; %bb.14:
	s_cmp_eq_u32 s25, 2
	s_cbranch_scc1 .LBB18_18
; %bb.15:
	s_add_i32 s3, s25, -1
	s_and_b32 s4, s3, -2
	s_add_i32 s6, 0, 8
	s_mov_b32 s5, 2
	s_waitcnt lgkmcnt(0)
	v_mov_b32_e32 v4, v1
.LBB18_16:                              ; =>This Inner Loop Header: Depth=1
	v_mov_b32_e32 v2, v1
	v_mov_b32_e32 v1, s6
	;; [unrolled: 1-line block ×3, first 2 shown]
	ds_read2_b32 v[4:5], v1 offset1:2
	s_cmp_lg_u32 s4, s5
	s_cselect_b64 s[8:9], -1, 0
	v_max_f32_e32 v1, v3, v3
	v_max_f32_e32 v6, v2, v2
	s_waitcnt lgkmcnt(0)
	v_cmp_u_f32_e32 vcc, v5, v5
	v_max_f32_e32 v7, v5, v5
	v_max_f32_e32 v8, v4, v4
	v_cndmask_b32_e64 v5, 0, 1, vcc
	v_cmp_u_f32_e32 vcc, v4, v4
	v_readfirstlane_b32 s0, v5
	s_lshl_b32 s0, s0, 1
	v_cndmask_b32_e64 v9, 0, 1, vcc
	v_max_f32_e32 v4, v1, v7
	v_readfirstlane_b32 s1, v9
	s_or_b32 s0, s1, s0
	s_and_b32 s7, s0, 3
	s_cmp_lg_u32 s7, 0
	s_cselect_b64 s[0:1], -1, 0
	s_cmp_eq_u32 s7, 0
	s_cselect_b64 s[10:11], -1, 0
	s_and_b64 s[8:9], s[10:11], s[8:9]
	v_max_f32_e32 v1, v6, v8
	s_add_i32 s5, s5, 2
	s_add_i32 s6, s6, 16
	s_and_b64 vcc, exec, s[8:9]
	s_cbranch_vccnz .LBB18_16
; %bb.17:
	s_add_i32 s5, s5, -4
	s_and_b64 s[6:7], s[0:1], exec
	s_cselect_b32 s5, s5, s3
	s_or_b32 s5, s5, 1
	v_cndmask_b32_e64 v1, v1, v2, s[0:1]
	v_cndmask_b32_e64 v2, v4, v3, s[0:1]
	s_cmp_lg_u32 s3, s4
	v_max_f32_e32 v2, v2, v2
	v_max_f32_e32 v1, v1, v1
	s_cselect_b64 s[6:7], -1, 0
	v_max_f32_e32 v1, v1, v2
	s_or_b64 s[0:1], s[6:7], s[0:1]
	s_and_b64 vcc, exec, s[0:1]
	s_cbranch_vccnz .LBB18_19
	s_branch .LBB18_21
.LBB18_18:
	s_mov_b32 s5, 1
	s_cbranch_execz .LBB18_21
.LBB18_19:
	s_lshl_b32 s1, s5, 3
	s_sub_i32 s0, s25, s5
	s_add_i32 s1, s1, 0
.LBB18_20:                              ; =>This Inner Loop Header: Depth=1
	v_mov_b32_e32 v2, s1
	ds_read_b32 v2, v2
	s_waitcnt lgkmcnt(1)
	v_max_f32_e32 v1, v1, v1
	s_add_i32 s0, s0, -1
	s_add_i32 s1, s1, 8
	s_cmp_eq_u32 s0, 0
	s_waitcnt lgkmcnt(0)
	v_max_f32_e32 v2, v2, v2
	v_max_f32_e32 v1, v1, v2
	s_cbranch_scc0 .LBB18_20
.LBB18_21:
	s_cmp_lt_i32 s25, 1
	s_cbranch_scc1 .LBB18_26
; %bb.22:
	s_mul_i32 s18, s2, 0x60
	s_ashr_i32 s19, s18, 31
	s_cmp_lt_u32 s25, 8
	s_cbranch_scc1 .LBB18_27
; %bb.23:
	s_lshl_b64 s[0:1], s[18:19], 2
	s_add_u32 s20, s16, s0
	s_addc_u32 s21, s17, s1
	v_lshlrev_b32_e32 v4, 2, v0
	v_mov_b32_e32 v5, 0
	v_lshl_add_u64 v[2:3], s[20:21], 0, v[4:5]
	s_mov_b64 s[0:1], 0x180
	s_and_b32 s26, s25, 0x7ffffff8
	v_lshl_add_u64 v[6:7], v[2:3], 0, s[0:1]
	v_add_u32_e32 v8, 0x2a0, v0
	s_mov_b32 s27, 0
	s_mov_b32 s28, 0x3fb8aa3b
	s_mov_b32 s29, 0xc2ce8ed0
	s_mov_b32 s30, 0x42b17218
	v_mov_b32_e32 v12, 0x7f800000
	s_mov_b64 s[22:23], 0xc00
	s_mov_b32 s31, 0
	v_mov_b32_e32 v2, v5
	v_mov_b32_e32 v3, v5
.LBB18_24:                              ; =>This Inner Loop Header: Depth=1
	v_add_u32_e32 v4, 0xfffffd60, v8
	v_mov_b32_e32 v10, s27
	v_lshl_add_u64 v[30:31], v[4:5], 2, s[20:21]
	v_add_u32_e32 v4, 0xfffffe20, v8
	global_load_dword v11, v[6:7], off
	ds_read2_b64 v[14:17], v10 offset1:1
	ds_read2_b64 v[18:21], v10 offset0:2 offset1:3
	ds_read2_b64 v[22:25], v10 offset0:4 offset1:5
	;; [unrolled: 1-line block ×3, first 2 shown]
	v_lshl_add_u64 v[34:35], v[4:5], 2, s[20:21]
	v_add_u32_e32 v4, 0xfffffe80, v8
	global_load_dword v37, v[30:31], off
	global_load_dword v39, v[34:35], off
	v_lshl_add_u64 v[30:31], v[4:5], 2, s[20:21]
	v_add_u32_e32 v4, 0xfffffee0, v8
	v_lshl_add_u64 v[34:35], v[4:5], 2, s[20:21]
	v_add_u32_e32 v4, 0xffffff40, v8
	global_load_dword v41, v[30:31], off
	global_load_dword v43, v[34:35], off
	v_lshl_add_u64 v[30:31], v[4:5], 2, s[20:21]
	v_add_u32_e32 v4, 0xffffffa0, v8
	s_waitcnt lgkmcnt(3)
	v_mov_b32_e32 v36, v15
	global_load_dword v15, v[30:31], off
	v_mov_b32_e32 v9, v5
	v_sub_f32_e32 v13, v16, v1
	v_mov_b32_e32 v10, v17
	v_lshl_add_u64 v[16:17], v[4:5], 2, s[20:21]
	v_lshl_add_u64 v[32:33], v[8:9], 2, s[20:21]
	s_waitcnt lgkmcnt(2)
	v_mov_b32_e32 v38, v19
	v_mov_b32_e32 v40, v21
	global_load_dword v19, v[16:17], off
	global_load_dword v21, v[32:33], off
	v_sub_f32_e32 v9, v14, v1
	v_sub_f32_e32 v34, v18, v1
	;; [unrolled: 1-line block ×3, first 2 shown]
	s_waitcnt lgkmcnt(1)
	v_sub_f32_e32 v22, v22, v1
	v_mov_b32_e32 v42, v23
	v_sub_f32_e32 v23, v24, v1
	v_mov_b32_e32 v14, v25
	s_waitcnt lgkmcnt(0)
	v_sub_f32_e32 v24, v26, v1
	v_sub_f32_e32 v4, v28, v1
	v_mul_f32_e32 v25, 0x3fb8aa3b, v9
	v_mov_b32_e32 v18, v27
	v_mov_b32_e32 v20, v29
	v_mul_f32_e32 v26, 0x3fb8aa3b, v13
	v_mul_f32_e32 v27, 0x3fb8aa3b, v34
	;; [unrolled: 1-line block ×7, first 2 shown]
	v_fma_f32 v16, v9, s28, -v25
	v_rndne_f32_e32 v17, v25
	v_fma_f32 v32, v13, s28, -v26
	v_rndne_f32_e32 v33, v26
	;; [unrolled: 2-line block ×8, first 2 shown]
	v_fmac_f32_e32 v16, 0x32a5705f, v9
	v_sub_f32_e32 v25, v25, v17
	v_fmac_f32_e32 v32, 0x32a5705f, v13
	v_sub_f32_e32 v26, v26, v33
	;; [unrolled: 2-line block ×8, first 2 shown]
	v_add_f32_e32 v16, v25, v16
	v_cvt_i32_f32_e32 v17, v17
	v_add_f32_e32 v25, v26, v32
	v_add_f32_e32 v26, v27, v45
	;; [unrolled: 1-line block ×7, first 2 shown]
	v_exp_f32_e32 v16, v16
	v_cvt_i32_f32_e32 v33, v33
	v_cvt_i32_f32_e32 v46, v46
	;; [unrolled: 1-line block ×7, first 2 shown]
	v_exp_f32_e32 v25, v25
	v_exp_f32_e32 v26, v26
	;; [unrolled: 1-line block ×7, first 2 shown]
	v_ldexp_f32 v16, v16, v17
	v_cmp_ngt_f32_e64 s[12:13], s29, v9
	v_ldexp_f32 v17, v25, v33
	v_cmp_ngt_f32_e32 vcc, s29, v13
	v_ldexp_f32 v25, v26, v46
	v_cmp_ngt_f32_e64 s[0:1], s29, v34
	v_ldexp_f32 v26, v27, v48
	v_cmp_ngt_f32_e64 s[2:3], s29, v35
	;; [unrolled: 2-line block ×6, first 2 shown]
	v_cndmask_b32_e64 v16, 0, v16, s[12:13]
	v_cmp_nlt_f32_e64 s[12:13], s30, v9
	v_cndmask_b32_e32 v17, 0, v17, vcc
	v_cmp_nlt_f32_e32 vcc, s30, v13
	v_cndmask_b32_e64 v13, 0, v25, s[0:1]
	v_cndmask_b32_e64 v25, 0, v26, s[2:3]
	;; [unrolled: 1-line block ×4, first 2 shown]
	v_cmp_nlt_f32_e64 s[6:7], s30, v23
	v_cndmask_b32_e64 v23, 0, v29, s[8:9]
	v_cndmask_b32_e64 v29, 0, v30, s[10:11]
	v_cmp_nlt_f32_e64 s[10:11], s30, v4
	v_cndmask_b32_e64 v4, v12, v16, s[12:13]
	v_cmp_nlt_f32_e64 s[0:1], s30, v34
	v_cndmask_b32_e32 v16, v12, v17, vcc
	s_waitcnt vmcnt(6)
	v_pk_fma_f32 v[2:3], v[4:5], v[36:37], v[2:3] op_sel_hi:[0,1,1]
	v_cmp_nlt_f32_e64 s[2:3], s30, v35
	v_cmp_nlt_f32_e64 s[4:5], s30, v22
	v_cndmask_b32_e64 v22, v12, v13, s[0:1]
	v_pk_fma_f32 v[2:3], v[16:17], v[10:11], v[2:3] op_sel_hi:[0,1,1]
	v_cmp_nlt_f32_e64 s[8:9], s30, v24
	v_cndmask_b32_e64 v24, v12, v25, s[2:3]
	s_waitcnt vmcnt(5)
	v_pk_fma_f32 v[2:3], v[22:23], v[38:39], v[2:3] op_sel_hi:[0,1,1]
	v_cndmask_b32_e64 v26, v12, v26, s[4:5]
	s_waitcnt vmcnt(4)
	v_pk_fma_f32 v[2:3], v[24:25], v[40:41], v[2:3] op_sel_hi:[0,1,1]
	;; [unrolled: 3-line block ×4, first 2 shown]
	s_add_i32 s31, s31, 8
	s_add_i32 s27, s27, 64
	v_cndmask_b32_e64 v32, v12, v29, s[10:11]
	s_waitcnt vmcnt(1)
	v_pk_fma_f32 v[2:3], v[30:31], v[18:19], v[2:3] op_sel_hi:[0,1,1]
	v_lshl_add_u64 v[6:7], v[6:7], 0, s[22:23]
	s_cmp_eq_u32 s26, s31
	v_add_u32_e32 v8, 0x300, v8
	s_waitcnt vmcnt(0)
	v_pk_fma_f32 v[2:3], v[32:33], v[20:21], v[2:3] op_sel_hi:[0,1,1]
	s_cbranch_scc0 .LBB18_24
; %bb.25:
	s_and_b32 s2, s25, 7
	s_cmp_eq_u32 s2, 0
	s_cbranch_scc0 .LBB18_28
	s_branch .LBB18_30
.LBB18_26:
	s_waitcnt lgkmcnt(0)
	v_mov_b32_e32 v1, 0x7fc00000
	s_branch .LBB18_31
.LBB18_27:
	v_mov_b32_e32 v2, 0
	s_mov_b32 s26, 0
	v_mov_b32_e32 v3, v2
	s_and_b32 s2, s25, 7
	s_cmp_eq_u32 s2, 0
	s_cbranch_scc1 .LBB18_30
.LBB18_28:
	s_lshl_b64 s[0:1], s[18:19], 2
	s_mul_i32 s3, s26, 0x60
	s_add_u32 s0, s16, s0
	v_add_u32_e32 v4, s3, v0
	v_mov_b32_e32 v5, 0
	s_addc_u32 s1, s17, s1
	v_lshl_add_u64 v[4:5], v[4:5], 2, s[0:1]
	s_lshl_b32 s0, s26, 3
	s_add_i32 s3, s0, 0
	s_mov_b32 s4, 0x3fb8aa3b
	s_mov_b32 s5, 0xc2ce8ed0
	s_mov_b32 s6, 0x42b17218
	v_mov_b32_e32 v6, 0x7f800000
	s_mov_b64 s[0:1], 0x180
.LBB18_29:                              ; =>This Inner Loop Header: Depth=1
	global_load_dword v9, v[4:5], off
	v_mov_b32_e32 v7, s3
	ds_read_b64 v[10:11], v7
	s_add_i32 s3, s3, 8
	s_add_i32 s2, s2, -1
	v_lshl_add_u64 v[4:5], v[4:5], 0, s[0:1]
	s_cmp_lg_u32 s2, 0
	s_waitcnt lgkmcnt(0)
	v_sub_f32_e32 v7, v10, v1
	v_mul_f32_e32 v8, 0x3fb8aa3b, v7
	v_fma_f32 v10, v7, s4, -v8
	v_rndne_f32_e32 v12, v8
	v_fmac_f32_e32 v10, 0x32a5705f, v7
	v_sub_f32_e32 v8, v8, v12
	v_add_f32_e32 v8, v8, v10
	v_cvt_i32_f32_e32 v12, v12
	v_exp_f32_e32 v10, v8
	v_cmp_ngt_f32_e32 vcc, s5, v7
	v_mov_b32_e32 v8, v11
	v_ldexp_f32 v10, v10, v12
	v_cndmask_b32_e32 v10, 0, v10, vcc
	v_cmp_nlt_f32_e32 vcc, s6, v7
	s_nop 1
	v_cndmask_b32_e32 v10, v6, v10, vcc
	s_waitcnt vmcnt(0)
	v_pk_fma_f32 v[2:3], v[10:11], v[8:9], v[2:3] op_sel_hi:[0,1,1]
	s_cbranch_scc1 .LBB18_29
.LBB18_30:
	s_waitcnt lgkmcnt(0)
	v_div_scale_f32 v1, s[0:1], v2, v2, v3
	v_rcp_f32_e32 v4, v1
	v_div_scale_f32 v5, vcc, v3, v2, v3
	v_fma_f32 v6, -v1, v4, 1.0
	v_fmac_f32_e32 v4, v6, v4
	v_mul_f32_e32 v6, v5, v4
	v_fma_f32 v7, -v1, v6, v5
	v_fmac_f32_e32 v6, v7, v4
	v_fma_f32 v1, -v1, v6, v5
	v_div_fmas_f32 v1, v1, v4, v6
	v_div_fixup_f32 v1, v1, v2, v3
.LBB18_31:
	s_mul_i32 s0, s24, 0x60
	s_ashr_i32 s1, s0, 31
	s_lshl_b64 s[0:1], s[0:1], 2
	s_add_u32 s0, s14, s0
	s_addc_u32 s1, s15, s1
	v_lshlrev_b32_e32 v0, 2, v0
	global_store_dword v0, v1, s[0:1]
	s_endpgm
	.section	.rodata,"a",@progbits
	.p2align	6, 0x0
	.amdhsa_kernel _ZL26flash_attn_combine_resultsILi96EEvPKfPK15HIP_vector_typeIfLj2EEPfi
		.amdhsa_group_segment_fixed_size 0
		.amdhsa_private_segment_fixed_size 0
		.amdhsa_kernarg_size 288
		.amdhsa_user_sgpr_count 2
		.amdhsa_user_sgpr_dispatch_ptr 0
		.amdhsa_user_sgpr_queue_ptr 0
		.amdhsa_user_sgpr_kernarg_segment_ptr 1
		.amdhsa_user_sgpr_dispatch_id 0
		.amdhsa_user_sgpr_kernarg_preload_length 0
		.amdhsa_user_sgpr_kernarg_preload_offset 0
		.amdhsa_user_sgpr_private_segment_size 0
		.amdhsa_uses_dynamic_stack 0
		.amdhsa_enable_private_segment 0
		.amdhsa_system_sgpr_workgroup_id_x 1
		.amdhsa_system_sgpr_workgroup_id_y 1
		.amdhsa_system_sgpr_workgroup_id_z 1
		.amdhsa_system_sgpr_workgroup_info 0
		.amdhsa_system_vgpr_workitem_id 0
		.amdhsa_next_free_vgpr 57
		.amdhsa_next_free_sgpr 32
		.amdhsa_accum_offset 60
		.amdhsa_reserve_vcc 1
		.amdhsa_float_round_mode_32 0
		.amdhsa_float_round_mode_16_64 0
		.amdhsa_float_denorm_mode_32 3
		.amdhsa_float_denorm_mode_16_64 3
		.amdhsa_dx10_clamp 1
		.amdhsa_ieee_mode 1
		.amdhsa_fp16_overflow 0
		.amdhsa_tg_split 0
		.amdhsa_exception_fp_ieee_invalid_op 0
		.amdhsa_exception_fp_denorm_src 0
		.amdhsa_exception_fp_ieee_div_zero 0
		.amdhsa_exception_fp_ieee_overflow 0
		.amdhsa_exception_fp_ieee_underflow 0
		.amdhsa_exception_fp_ieee_inexact 0
		.amdhsa_exception_int_div_zero 0
	.end_amdhsa_kernel
	.section	.text._ZL26flash_attn_combine_resultsILi96EEvPKfPK15HIP_vector_typeIfLj2EEPfi,"axG",@progbits,_ZL26flash_attn_combine_resultsILi96EEvPKfPK15HIP_vector_typeIfLj2EEPfi,comdat
.Lfunc_end18:
	.size	_ZL26flash_attn_combine_resultsILi96EEvPKfPK15HIP_vector_typeIfLj2EEPfi, .Lfunc_end18-_ZL26flash_attn_combine_resultsILi96EEvPKfPK15HIP_vector_typeIfLj2EEPfi
                                        ; -- End function
	.set _ZL26flash_attn_combine_resultsILi96EEvPKfPK15HIP_vector_typeIfLj2EEPfi.num_vgpr, 57
	.set _ZL26flash_attn_combine_resultsILi96EEvPKfPK15HIP_vector_typeIfLj2EEPfi.num_agpr, 0
	.set _ZL26flash_attn_combine_resultsILi96EEvPKfPK15HIP_vector_typeIfLj2EEPfi.numbered_sgpr, 32
	.set _ZL26flash_attn_combine_resultsILi96EEvPKfPK15HIP_vector_typeIfLj2EEPfi.num_named_barrier, 0
	.set _ZL26flash_attn_combine_resultsILi96EEvPKfPK15HIP_vector_typeIfLj2EEPfi.private_seg_size, 0
	.set _ZL26flash_attn_combine_resultsILi96EEvPKfPK15HIP_vector_typeIfLj2EEPfi.uses_vcc, 1
	.set _ZL26flash_attn_combine_resultsILi96EEvPKfPK15HIP_vector_typeIfLj2EEPfi.uses_flat_scratch, 0
	.set _ZL26flash_attn_combine_resultsILi96EEvPKfPK15HIP_vector_typeIfLj2EEPfi.has_dyn_sized_stack, 0
	.set _ZL26flash_attn_combine_resultsILi96EEvPKfPK15HIP_vector_typeIfLj2EEPfi.has_recursion, 0
	.set _ZL26flash_attn_combine_resultsILi96EEvPKfPK15HIP_vector_typeIfLj2EEPfi.has_indirect_call, 0
	.section	.AMDGPU.csdata,"",@progbits
; Kernel info:
; codeLenInByte = 3064
; TotalNumSgprs: 38
; NumVgprs: 57
; NumAgprs: 0
; TotalNumVgprs: 57
; ScratchSize: 0
; MemoryBound: 0
; FloatMode: 240
; IeeeMode: 1
; LDSByteSize: 0 bytes/workgroup (compile time only)
; SGPRBlocks: 4
; VGPRBlocks: 7
; NumSGPRsForWavesPerEU: 38
; NumVGPRsForWavesPerEU: 57
; AccumOffset: 60
; Occupancy: 8
; WaveLimiterHint : 0
; COMPUTE_PGM_RSRC2:SCRATCH_EN: 0
; COMPUTE_PGM_RSRC2:USER_SGPR: 2
; COMPUTE_PGM_RSRC2:TRAP_HANDLER: 0
; COMPUTE_PGM_RSRC2:TGID_X_EN: 1
; COMPUTE_PGM_RSRC2:TGID_Y_EN: 1
; COMPUTE_PGM_RSRC2:TGID_Z_EN: 1
; COMPUTE_PGM_RSRC2:TIDIG_COMP_CNT: 0
; COMPUTE_PGM_RSRC3_GFX90A:ACCUM_OFFSET: 14
; COMPUTE_PGM_RSRC3_GFX90A:TG_SPLIT: 0
	.section	.text._ZL18flash_attn_ext_f16ILi112ELi112ELi8ELi8ELb0ELb0EEvPKcS1_S1_S1_S1_PKiPfP15HIP_vector_typeIfLj2EEffffjfiS5_IjLj3EEiiiiiiiiiiiliiliiiiil,"axG",@progbits,_ZL18flash_attn_ext_f16ILi112ELi112ELi8ELi8ELb0ELb0EEvPKcS1_S1_S1_S1_PKiPfP15HIP_vector_typeIfLj2EEffffjfiS5_IjLj3EEiiiiiiiiiiiliiliiiiil,comdat
	.globl	_ZL18flash_attn_ext_f16ILi112ELi112ELi8ELi8ELb0ELb0EEvPKcS1_S1_S1_S1_PKiPfP15HIP_vector_typeIfLj2EEffffjfiS5_IjLj3EEiiiiiiiiiiiliiliiiiil ; -- Begin function _ZL18flash_attn_ext_f16ILi112ELi112ELi8ELi8ELb0ELb0EEvPKcS1_S1_S1_S1_PKiPfP15HIP_vector_typeIfLj2EEffffjfiS5_IjLj3EEiiiiiiiiiiiliiliiiiil
	.p2align	8
	.type	_ZL18flash_attn_ext_f16ILi112ELi112ELi8ELi8ELb0ELb0EEvPKcS1_S1_S1_S1_PKiPfP15HIP_vector_typeIfLj2EEffffjfiS5_IjLj3EEiiiiiiiiiiiliiliiiiil,@function
_ZL18flash_attn_ext_f16ILi112ELi112ELi8ELi8ELb0ELb0EEvPKcS1_S1_S1_S1_PKiPfP15HIP_vector_typeIfLj2EEffffjfiS5_IjLj3EEiiiiiiiiiiiliiliiiiil: ; @_ZL18flash_attn_ext_f16ILi112ELi112ELi8ELi8ELb0ELb0EEvPKcS1_S1_S1_S1_PKiPfP15HIP_vector_typeIfLj2EEffffjfiS5_IjLj3EEiiiiiiiiiiiliiliiiiil
; %bb.0:
	s_mov_b32 s25, s2
	s_load_dwordx2 s[2:3], s[0:1], 0x80
	s_load_dwordx4 s[28:31], s[0:1], 0x64
                                        ; implicit-def: $vgpr250 : SGPR spill to VGPR lane
	s_mov_b32 s6, 0
	s_waitcnt lgkmcnt(0)
	s_abs_i32 s4, s3
	v_cvt_f32_u32_e32 v1, s4
	s_sub_i32 s8, 0, s4
	s_abs_i32 s7, s29
	s_xor_b32 s5, s29, s3
	v_rcp_iflag_f32_e32 v1, v1
	s_ashr_i32 s5, s5, 31
	v_mul_f32_e32 v1, 0x4f7ffffe, v1
	v_cvt_u32_f32_e32 v1, v1
	s_nop 0
	v_readfirstlane_b32 s9, v1
	s_mul_i32 s8, s8, s9
	s_mul_hi_u32 s8, s9, s8
	s_add_i32 s9, s9, s8
	s_mul_hi_u32 s8, s7, s9
	s_mul_i32 s9, s8, s4
	s_sub_i32 s7, s7, s9
	s_add_i32 s10, s8, 1
	s_sub_i32 s9, s7, s4
	s_cmp_ge_u32 s7, s4
	s_cselect_b32 s8, s10, s8
	s_cselect_b32 s7, s9, s7
	s_add_i32 s9, s8, 1
	s_cmp_ge_u32 s7, s4
	s_cselect_b32 s4, s9, s8
	s_add_i32 s2, s2, 63
	s_xor_b32 s4, s4, s5
	s_ashr_i32 s7, s2, 31
	s_sub_i32 s33, s4, s5
	s_lshr_b32 s4, s7, 26
	s_add_i32 s2, s2, s4
	s_ashr_i32 s64, s2, 6
	s_add_i32 s2, s28, 7
	s_lshr_b32 s5, s2, 3
	s_add_i32 s2, s33, 7
	s_ashr_i32 s4, s2, 31
	s_lshr_b32 s4, s4, 29
	s_add_i32 s2, s2, s4
	s_ashr_i32 s2, s2, 3
	s_mul_i32 s55, s5, s64
	s_mul_i32 s10, s55, s2
	s_mul_i32 s11, s10, s3
	s_mul_i32 s2, s11, s30
	s_ashr_i32 s3, s2, 31
	v_writelane_b32 v250, s5, 0
	s_mul_i32 s4, s3, s25
	s_mul_hi_u32 s5, s2, s25
	s_load_dword s30, s[0:1], 0xd0
	s_add_i32 s7, s5, s4
	s_add_u32 s26, s0, 0xd0
	s_addc_u32 s27, s1, 0
	s_cmp_lg_u64 s[6:7], 0
	s_mul_i32 s6, s2, s25
	s_cbranch_scc0 .LBB19_5
; %bb.1:
	s_waitcnt lgkmcnt(0)
	s_add_u32 s4, s30, 0
	s_addc_u32 s5, 0, 0
	s_xor_b64 s[8:9], s[4:5], 0
	v_cvt_f32_u32_e32 v1, s8
	v_cvt_f32_u32_e32 v2, s9
	s_sub_u32 s14, 0, s8
	s_subb_u32 s15, 0, s9
	v_fmamk_f32 v1, v2, 0x4f800000, v1
	v_rcp_f32_e32 v1, v1
	s_nop 0
	v_mul_f32_e32 v1, 0x5f7ffffc, v1
	v_mul_f32_e32 v2, 0x2f800000, v1
	v_trunc_f32_e32 v2, v2
	v_fmamk_f32 v1, v2, 0xcf800000, v1
	v_cvt_u32_f32_e32 v2, v2
	v_cvt_u32_f32_e32 v1, v1
	v_readfirstlane_b32 s16, v2
	v_readfirstlane_b32 s12, v1
	s_mul_i32 s13, s14, s16
	s_mul_hi_u32 s18, s14, s12
	s_mul_i32 s17, s15, s12
	s_add_i32 s13, s18, s13
	s_add_i32 s13, s13, s17
	s_mul_i32 s19, s14, s12
	s_mul_i32 s18, s12, s13
	s_mul_hi_u32 s20, s12, s19
	s_mul_hi_u32 s17, s12, s13
	s_add_u32 s18, s20, s18
	s_addc_u32 s17, 0, s17
	s_mul_hi_u32 s21, s16, s19
	s_mul_i32 s19, s16, s19
	s_add_u32 s18, s18, s19
	s_mul_hi_u32 s20, s16, s13
	s_addc_u32 s17, s17, s21
	s_addc_u32 s18, s20, 0
	s_mul_i32 s13, s16, s13
	s_add_u32 s13, s17, s13
	s_addc_u32 s17, 0, s18
	s_add_u32 s18, s12, s13
	s_cselect_b64 s[12:13], -1, 0
	s_cmp_lg_u64 s[12:13], 0
	s_addc_u32 s16, s16, s17
	s_mul_i32 s12, s14, s16
	s_mul_hi_u32 s13, s14, s18
	s_add_i32 s12, s13, s12
	s_mul_i32 s15, s15, s18
	s_add_i32 s12, s12, s15
	s_mul_i32 s14, s14, s18
	s_mul_hi_u32 s15, s16, s14
	s_mul_i32 s17, s16, s14
	s_mul_i32 s20, s18, s12
	s_mul_hi_u32 s14, s18, s14
	s_mul_hi_u32 s19, s18, s12
	s_add_u32 s14, s14, s20
	s_addc_u32 s19, 0, s19
	s_add_u32 s14, s14, s17
	s_mul_hi_u32 s13, s16, s12
	s_addc_u32 s14, s19, s15
	s_addc_u32 s13, s13, 0
	s_mul_i32 s12, s16, s12
	s_add_u32 s12, s14, s12
	s_addc_u32 s14, 0, s13
	s_add_u32 s17, s18, s12
	s_cselect_b64 s[12:13], -1, 0
	s_cmp_lg_u64 s[12:13], 0
	s_addc_u32 s16, s16, s14
	s_ashr_i32 s12, s7, 31
	s_add_u32 s14, s6, s12
	s_mov_b32 s13, s12
	s_addc_u32 s15, s7, s12
	s_xor_b64 s[14:15], s[14:15], s[12:13]
	s_mul_i32 s18, s14, s16
	s_mul_hi_u32 s19, s14, s17
	s_mul_hi_u32 s7, s14, s16
	s_add_u32 s18, s19, s18
	s_addc_u32 s7, 0, s7
	s_mul_hi_u32 s20, s15, s17
	s_mul_i32 s17, s15, s17
	s_add_u32 s17, s18, s17
	s_mul_hi_u32 s19, s15, s16
	s_addc_u32 s7, s7, s20
	s_addc_u32 s17, s19, 0
	s_mul_i32 s16, s15, s16
	s_add_u32 s7, s7, s16
	s_addc_u32 s20, 0, s17
	s_mul_i32 s16, s8, s20
	s_mul_hi_u32 s17, s8, s7
	s_add_i32 s16, s17, s16
	s_mul_i32 s17, s9, s7
	s_add_i32 s21, s16, s17
	s_sub_i32 s18, s15, s21
	s_mul_i32 s16, s8, s7
	s_sub_u32 s14, s14, s16
	s_cselect_b64 s[16:17], -1, 0
	s_cmp_lg_u64 s[16:17], 0
	s_subb_u32 s22, s18, s9
	s_sub_u32 s23, s14, s8
	s_cselect_b64 s[18:19], -1, 0
	s_cmp_lg_u64 s[18:19], 0
	s_subb_u32 s18, s22, 0
	s_cmp_ge_u32 s18, s9
	s_cselect_b32 s19, -1, 0
	s_cmp_ge_u32 s23, s8
	s_cselect_b32 s22, -1, 0
	s_cmp_eq_u32 s18, s9
	s_cselect_b32 s18, s22, s19
	s_add_u32 s19, s7, 1
	s_addc_u32 s22, s20, 0
	s_add_u32 s23, s7, 2
	s_addc_u32 s24, s20, 0
	s_cmp_lg_u32 s18, 0
	s_cselect_b32 s18, s23, s19
	s_cselect_b32 s19, s24, s22
	s_cmp_lg_u64 s[16:17], 0
	s_subb_u32 s15, s15, s21
	s_cmp_ge_u32 s15, s9
	s_cselect_b32 s16, -1, 0
	s_cmp_ge_u32 s14, s8
	s_cselect_b32 s8, -1, 0
	s_cmp_eq_u32 s15, s9
	s_cselect_b32 s8, s8, s16
	s_cmp_lg_u32 s8, 0
	s_cselect_b32 s9, s19, s20
	s_cselect_b32 s8, s18, s7
	s_xor_b64 s[12:13], s[12:13], 0
	s_xor_b64 s[8:9], s[8:9], s[12:13]
	s_sub_u32 s52, s8, s12
	s_load_dwordx2 s[50:51], s[0:1], 0x74
	v_cvt_f32_u32_e32 v1, s30
	s_cbranch_execnz .LBB19_3
.LBB19_2:
	v_rcp_iflag_f32_e32 v2, v1
	s_sub_i32 s4, 0, s30
	v_mul_f32_e32 v2, 0x4f7ffffe, v2
	v_cvt_u32_f32_e32 v2, v2
	s_nop 0
	v_readfirstlane_b32 s5, v2
	s_mul_i32 s4, s4, s5
	s_mul_hi_u32 s4, s5, s4
	s_add_i32 s5, s5, s4
	s_mul_hi_u32 s4, s6, s5
	s_mul_i32 s7, s4, s30
	s_sub_i32 s6, s6, s7
	s_add_i32 s5, s4, 1
	s_sub_i32 s7, s6, s30
	s_cmp_ge_u32 s6, s30
	s_cselect_b32 s4, s5, s4
	s_cselect_b32 s6, s7, s6
	s_add_i32 s5, s4, 1
	s_cmp_ge_u32 s6, s30
	s_cselect_b32 s52, s5, s4
.LBB19_3:
	s_add_i32 s4, s25, 1
	s_mul_i32 s3, s3, s4
	s_mul_hi_u32 s5, s2, s4
	s_add_i32 s9, s5, s3
	s_mov_b32 s8, 0
	s_cmp_lg_u64 s[8:9], 0
	s_mul_i32 s2, s2, s4
	s_cbranch_scc0 .LBB19_6
; %bb.4:
	s_add_u32 s4, s30, 0
	s_addc_u32 s5, 0, 0
	s_xor_b64 s[6:7], s[4:5], 0
	v_cvt_f32_u32_e32 v2, s6
	v_cvt_f32_u32_e32 v3, s7
	s_sub_u32 s3, 0, s6
	s_subb_u32 s8, 0, s7
	s_mov_b64 s[4:5], 0
	v_fmamk_f32 v2, v3, 0x4f800000, v2
	v_rcp_f32_e32 v2, v2
	s_nop 0
	v_mul_f32_e32 v2, 0x5f7ffffc, v2
	v_mul_f32_e32 v3, 0x2f800000, v2
	v_trunc_f32_e32 v3, v3
	v_fmamk_f32 v2, v3, 0xcf800000, v2
	v_cvt_u32_f32_e32 v3, v3
	v_cvt_u32_f32_e32 v2, v2
	v_readfirstlane_b32 s14, v3
	v_readfirstlane_b32 s12, v2
	s_mul_i32 s13, s3, s14
	s_mul_hi_u32 s16, s3, s12
	s_mul_i32 s15, s8, s12
	s_add_i32 s13, s16, s13
	s_add_i32 s13, s13, s15
	s_mul_i32 s17, s3, s12
	s_mul_i32 s16, s12, s13
	s_mul_hi_u32 s18, s12, s17
	s_mul_hi_u32 s15, s12, s13
	s_add_u32 s16, s18, s16
	s_addc_u32 s15, 0, s15
	s_mul_hi_u32 s19, s14, s17
	s_mul_i32 s17, s14, s17
	s_add_u32 s16, s16, s17
	s_mul_hi_u32 s18, s14, s13
	s_addc_u32 s15, s15, s19
	s_addc_u32 s16, s18, 0
	s_mul_i32 s13, s14, s13
	s_add_u32 s13, s15, s13
	s_addc_u32 s15, 0, s16
	s_add_u32 s16, s12, s13
	s_cselect_b64 s[12:13], -1, 0
	s_cmp_lg_u64 s[12:13], 0
	s_addc_u32 s14, s14, s15
	s_mul_i32 s12, s3, s14
	s_mul_hi_u32 s13, s3, s16
	s_add_i32 s12, s13, s12
	s_mul_i32 s8, s8, s16
	s_add_i32 s12, s12, s8
	s_mul_i32 s3, s3, s16
	s_mul_hi_u32 s13, s14, s3
	s_mul_i32 s15, s14, s3
	s_mul_i32 s18, s16, s12
	s_mul_hi_u32 s3, s16, s3
	s_mul_hi_u32 s17, s16, s12
	s_add_u32 s3, s3, s18
	s_addc_u32 s17, 0, s17
	s_add_u32 s3, s3, s15
	s_mul_hi_u32 s8, s14, s12
	s_addc_u32 s3, s17, s13
	s_addc_u32 s8, s8, 0
	s_mul_i32 s12, s14, s12
	s_add_u32 s3, s3, s12
	s_addc_u32 s8, 0, s8
	s_add_u32 s3, s16, s3
	s_cselect_b64 s[12:13], -1, 0
	s_cmp_lg_u64 s[12:13], 0
	s_addc_u32 s14, s14, s8
	s_ashr_i32 s12, s9, 31
	s_add_u32 s8, s2, s12
	s_mov_b32 s13, s12
	s_addc_u32 s9, s9, s12
	s_xor_b64 s[8:9], s[8:9], s[12:13]
	s_mul_i32 s16, s8, s14
	s_mul_hi_u32 s17, s8, s3
	s_mul_hi_u32 s15, s8, s14
	s_add_u32 s16, s17, s16
	s_addc_u32 s15, 0, s15
	s_mul_hi_u32 s18, s9, s3
	s_mul_i32 s3, s9, s3
	s_add_u32 s3, s16, s3
	s_mul_hi_u32 s17, s9, s14
	s_addc_u32 s3, s15, s18
	s_addc_u32 s15, s17, 0
	s_mul_i32 s14, s9, s14
	s_add_u32 s3, s3, s14
	s_addc_u32 s18, 0, s15
	s_mul_i32 s14, s6, s18
	s_mul_hi_u32 s15, s6, s3
	s_add_i32 s14, s15, s14
	s_mul_i32 s15, s7, s3
	s_add_i32 s19, s14, s15
	s_sub_i32 s16, s9, s19
	s_mul_i32 s14, s6, s3
	s_sub_u32 s8, s8, s14
	s_cselect_b64 s[14:15], -1, 0
	s_cmp_lg_u64 s[14:15], 0
	s_subb_u32 s20, s16, s7
	s_sub_u32 s21, s8, s6
	s_cselect_b64 s[16:17], -1, 0
	s_cmp_lg_u64 s[16:17], 0
	s_subb_u32 s16, s20, 0
	s_cmp_ge_u32 s16, s7
	s_cselect_b32 s17, -1, 0
	s_cmp_ge_u32 s21, s6
	s_cselect_b32 s20, -1, 0
	s_cmp_eq_u32 s16, s7
	s_cselect_b32 s16, s20, s17
	s_add_u32 s17, s3, 1
	s_addc_u32 s20, s18, 0
	s_add_u32 s21, s3, 2
	s_addc_u32 s22, s18, 0
	s_cmp_lg_u32 s16, 0
	s_cselect_b32 s16, s21, s17
	s_cselect_b32 s17, s22, s20
	s_cmp_lg_u64 s[14:15], 0
	s_subb_u32 s9, s9, s19
	s_cmp_ge_u32 s9, s7
	s_cselect_b32 s14, -1, 0
	s_cmp_ge_u32 s8, s6
	s_cselect_b32 s6, -1, 0
	s_cmp_eq_u32 s9, s7
	s_cselect_b32 s6, s6, s14
	s_cmp_lg_u32 s6, 0
	s_cselect_b32 s7, s17, s18
	s_cselect_b32 s6, s16, s3
	s_xor_b64 s[8:9], s[12:13], 0
	s_xor_b64 s[6:7], s[6:7], s[8:9]
	s_sub_u32 s56, s6, s8
	s_branch .LBB19_7
.LBB19_5:
                                        ; implicit-def: $sgpr52_sgpr53
	s_load_dwordx2 s[50:51], s[0:1], 0x74
	s_waitcnt lgkmcnt(0)
	v_cvt_f32_u32_e32 v1, s30
	s_branch .LBB19_2
.LBB19_6:
	s_mov_b64 s[4:5], -1
                                        ; implicit-def: $sgpr56_sgpr57
.LBB19_7:
	s_load_dwordx2 s[42:43], s[0:1], 0x5c
	v_writelane_b32 v250, s26, 1
	s_andn2_b64 vcc, exec, s[4:5]
	s_nop 0
	v_writelane_b32 v250, s27, 2
	v_writelane_b32 v250, s25, 3
	s_cbranch_vccnz .LBB19_9
; %bb.8:
	v_rcp_iflag_f32_e32 v1, v1
	s_sub_i32 s3, 0, s30
	v_mul_f32_e32 v1, 0x4f7ffffe, v1
	v_cvt_u32_f32_e32 v1, v1
	s_nop 0
	v_readfirstlane_b32 s4, v1
	s_mul_i32 s3, s3, s4
	s_mul_hi_u32 s3, s4, s3
	s_add_i32 s4, s4, s3
	s_mul_hi_u32 s3, s2, s4
	s_mul_i32 s5, s3, s30
	s_sub_i32 s2, s2, s5
	s_add_i32 s4, s3, 1
	s_sub_i32 s5, s2, s30
	s_cmp_ge_u32 s2, s30
	s_cselect_b32 s3, s4, s3
	s_cselect_b32 s2, s5, s2
	s_add_i32 s4, s3, 1
	s_cmp_ge_u32 s2, s30
	s_cselect_b32 s56, s4, s3
.LBB19_9:
	s_abs_i32 s65, s64
	v_cvt_f32_u32_e32 v1, s65
	s_load_dwordx16 s[12:27], s[0:1], 0x0
	s_load_dword s4, s[0:1], 0x40
	s_load_dwordx2 s[2:3], s[0:1], 0x8c
	s_load_dwordx4 s[36:39], s[0:1], 0x98
	s_load_dwordx2 s[44:45], s[0:1], 0xa8
	s_load_dwordx2 s[8:9], s[0:1], 0xb8
	;; [unrolled: 1-line block ×3, first 2 shown]
	v_writelane_b32 v250, s30, 4
	s_waitcnt lgkmcnt(0)
	s_mov_b32 s1, s3
	v_rcp_iflag_f32_e32 v1, v1
	s_ashr_i32 s34, s2, 2
	s_sub_i32 s2, 0, s65
	v_writelane_b32 v250, s0, 5
	v_mul_f32_e32 v1, 0x4f7ffffe, v1
	v_cvt_u32_f32_e32 v1, v1
	v_writelane_b32 v250, s1, 6
	s_ashr_i32 s1, s64, 31
	v_writelane_b32 v250, s1, 7
	v_readfirstlane_b32 s48, v1
	s_mul_i32 s2, s2, s48
	s_mul_hi_u32 s2, s48, s2
	s_abs_i32 s1, s52
	s_add_i32 s48, s48, s2
	s_mul_hi_u32 s2, s1, s48
	s_mul_i32 s2, s2, s65
	s_sub_i32 s1, s1, s2
	s_ashr_i32 s53, s31, 3
	s_ashr_i32 s49, s50, 3
	s_ashr_i32 s40, s9, 1
	s_ashr_i32 s30, s38, 2
	s_ashr_i32 s0, s52, 31
	s_sub_i32 s2, s1, s65
	s_cmp_ge_u32 s1, s65
	s_cselect_b32 s1, s2, s1
	s_sub_i32 s2, s1, s65
	s_cmp_ge_u32 s1, s65
	s_cselect_b32 s1, s2, s1
	s_xor_b32 s1, s1, s0
	s_sub_i32 s72, s1, s0
	s_sub_i32 s0, s56, s52
	s_add_i32 s2, s0, s72
	s_min_i32 s38, s64, s2
	s_cmp_gt_i32 s56, s52
	s_cselect_b64 s[6:7], -1, 0
	s_cmp_le_i32 s56, s52
	s_cselect_b64 s[0:1], -1, 0
	s_cmp_gt_i32 s64, s2
	v_cvt_f16_f32_e32 v1, s4
	s_cselect_b64 s[2:3], -1, 0
	s_or_b64 s[0:1], s[2:3], s[0:1]
	v_bfe_u32 v2, v0, 5, 5
	v_bfe_u32 v49, v0, 10, 10
	s_mov_b32 s5, 0
	s_and_b64 vcc, exec, s[0:1]
	v_lshl_add_u32 v39, v49, 1, v2
	v_and_b32_e32 v38, 31, v0
	v_mbcnt_lo_u32_b32 v71, -1, 0
	v_writelane_b32 v250, s49, 8
	s_cbranch_vccz .LBB19_12
; %bb.10:
	s_andn2_b64 vcc, exec, s[6:7]
	s_cbranch_vccz .LBB19_295
.LBB19_11:
	s_endpgm
.LBB19_12:
	s_cmp_eq_u64 s[20:21], 0
	s_cselect_b64 s[60:61], -1, 0
	s_cmp_lg_u64 s[22:23], 0
	s_cselect_b64 s[0:1], -1, 0
	v_bfe_u32 v2, v0, 4, 6
	v_writelane_b32 v250, s0, 9
	v_lshl_add_u32 v8, v49, 2, v2
	v_bfe_u32 v2, v0, 3, 7
	v_writelane_b32 v250, s1, 10
	v_and_b32_e32 v40, 15, v0
	s_movk_i32 s0, 0xf00
	v_lshlrev_b32_e32 v6, 2, v2
	v_and_b32_e32 v9, 0x3ff, v0
	v_mad_u32_u24 v4, v49, s0, 0
	v_mul_u32_u24_e32 v5, 0xf0, v40
	v_and_b32_e32 v7, 0x78, v6
	v_add3_u32 v43, v4, v5, v7
	v_lshlrev_b32_e32 v5, 1, v9
	v_and_b32_e32 v42, 62, v5
	v_lshlrev_b32_e32 v11, 4, v49
	v_bfe_u32 v12, v0, 2, 8
	v_lshlrev_b32_e32 v13, 2, v9
	v_lshl_add_u32 v3, v49, 3, v2
	s_movk_i32 s7, 0xf0
	v_mul_u32_u24_e32 v4, 0x90, v39
	v_add_u32_e32 v12, v11, v12
	v_and_b32_e32 v48, 12, v13
	v_lshlrev_b32_e32 v15, 1, v42
	v_bfe_u32 v5, v0, 1, 9
	v_and_b32_e32 v50, 28, v13
	v_add3_u32 v51, 0, v4, v15
	v_mad_u32_u24 v4, v12, s7, 0
	v_lshlrev_b32_e32 v15, 2, v48
	s_movk_i32 s3, 0x80
	v_mad_u32_u24 v91, v3, s7, 0
	v_lshl_add_u32 v10, v49, 5, v5
	v_add3_u32 v57, v4, v15, s3
	v_lshlrev_b32_e32 v4, 2, v50
	v_add_u32_e32 v95, 0x1e00, v91
	v_and_b32_e32 v56, 4, v13
	v_add_u32_e32 v93, v91, v4
	v_add_u32_e32 v97, v95, v4
	;; [unrolled: 1-line block ×3, first 2 shown]
	v_mad_u32_u24 v4, v10, s7, 0
	v_lshlrev_b32_e32 v7, 2, v56
	s_movk_i32 s3, 0xc0
	v_add3_u32 v144, v4, v7, s3
	v_and_or_b32 v4, v0, 8, v11
	s_movk_i32 s2, 0x90
	v_lshrrev_b32_e32 v4, 3, v4
	v_mad_u32_u24 v4, v4, s2, 0
	v_readlane_b32 s2, v250, 3
	s_mov_b32 s3, s5
	s_lshl_b32 s4, s2, 6
	v_writelane_b32 v250, s2, 11
	s_ashr_i32 s41, s40, 31
	s_ashr_i32 s35, s34, 31
	;; [unrolled: 1-line block ×3, first 2 shown]
	v_writelane_b32 v250, s3, 12
	s_lshl_b64 s[2:3], s[4:5], 3
	s_add_u32 s4, s26, s2
	s_addc_u32 s5, s27, s3
	s_abs_i32 s57, s11
	v_and_b32_e32 v5, 0x78, v5
	v_cvt_f32_u32_e32 v7, s57
	v_add_u32_e32 v145, v4, v5
	v_or_b32_e32 v5, 4, v6
	v_lshlrev_b32_e32 v2, 1, v2
	v_add_u32_e32 v146, v4, v5
	v_or_b32_e32 v4, 3, v2
	v_or_b32_e32 v5, 2, v2
	v_and_b32_e32 v2, 60, v2
	v_mul_u32_u24_e32 v2, 0xf0, v2
	v_lshlrev_b32_e32 v6, 1, v40
	v_mul_u32_u24_e32 v5, 0xf0, v5
	v_add3_u32 v147, 0, v2, v6
	v_rcp_iflag_f32_e32 v2, v7
	s_abs_i32 s2, s10
	v_add3_u32 v148, 0, v5, v6
	v_cvt_f32_u32_e32 v5, s2
	v_mul_f32_e32 v2, 0x4f7ffffe, v2
	v_cvt_u32_f32_e32 v2, v2
	v_mul_u32_u24_e32 v4, 0xf0, v4
	v_rcp_iflag_f32_e32 v5, v5
	s_sub_i32 s3, 0, s57
	v_add3_u32 v149, 0, v4, v6
	v_mul_lo_u32 v6, s3, v2
	v_mul_f32_e32 v5, 0x4f7ffffe, v5
	s_abs_i32 s3, s55
	v_cvt_u32_f32_e32 v5, v5
	v_cvt_f32_u32_e32 v7, s3
	v_writelane_b32 v250, s8, 13
	v_mul_hi_u32 v6, v2, v6
	v_add_u32_e32 v150, v2, v6
	v_writelane_b32 v250, s9, 14
	s_sub_i32 s8, 0, s2
	v_mul_lo_u32 v2, s8, v5
	v_rcp_iflag_f32_e32 v6, v7
	v_readlane_b32 s8, v250, 13
	s_abs_i32 s54, s8
	v_cvt_f32_u32_e32 v7, s54
	v_mul_f32_e32 v6, 0x4f7ffffe, v6
	v_cvt_u32_f32_e32 v6, v6
	v_mul_hi_u32 v2, v5, v2
	v_rcp_iflag_f32_e32 v7, v7
	s_sub_i32 s8, 0, s3
	v_add_u32_e32 v151, v5, v2
	v_mul_lo_u32 v2, s8, v6
	v_or_b32_e32 v4, v11, v9
	v_mul_f32_e32 v5, 0x4f7ffffe, v7
	v_mul_hi_u32 v2, v6, v2
	v_mov_b32_e32 v45, 0
	v_lshlrev_b32_e32 v44, 3, v4
	v_cvt_u32_f32_e32 v5, v5
	v_add_u32_e32 v152, v6, v2
	v_and_b32_e32 v2, 1, v0
	v_lshl_add_u64 v[66:67], s[4:5], 0, v[44:45]
	v_lshlrev_b32_e32 v44, 4, v2
	v_add_u32_e32 v2, 8, v39
	v_lshrrev_b32_e32 v153, 3, v2
	v_add_u32_e32 v2, 24, v39
	v_lshrrev_b32_e32 v154, 3, v2
	v_add_u32_e32 v2, 40, v39
	v_readfirstlane_b32 s4, v5
	v_lshrrev_b32_e32 v155, 3, v2
	s_movk_i32 s5, 0x7f0
	v_add_u32_e32 v2, 16, v39
	v_and_b32_e32 v5, 15, v39
	v_add_u32_e32 v6, 32, v39
	v_add_u32_e32 v7, 48, v39
	v_lshrrev_b32_e32 v156, 3, v2
	v_and_or_b32 v2, v2, s5, v5
	v_lshrrev_b32_e32 v157, 3, v6
	v_and_or_b32 v6, v6, s5, v5
	v_and_or_b32 v5, v7, s5, v5
	v_lshrrev_b32_e32 v158, 3, v7
	v_add_u32_e32 v7, 56, v39
	v_mul_lo_u32 v46, s34, v12
	v_cmp_gt_u32_e64 s[0:1], 64, v10
	v_mul_lo_u32 v58, s34, v10
	v_mul_lo_u32 v60, s30, v10
	;; [unrolled: 1-line block ×3, first 2 shown]
	v_lshrrev_b32_e32 v159, 3, v7
	s_movk_i32 s5, 0xff0
	v_add_u32_e32 v7, 16, v8
	v_and_b32_e32 v10, 15, v8
	v_add_u32_e32 v12, 32, v8
	v_add_u32_e32 v13, 48, v8
	v_and_b32_e32 v70, 7, v0
	v_mul_lo_u32 v52, s34, v3
	v_add_u32_e32 v14, 32, v3
	v_mul_lo_u32 v64, s30, v3
	v_lshrrev_b32_e32 v160, 3, v7
	v_and_or_b32 v7, v7, s5, v10
	v_lshrrev_b32_e32 v161, 3, v12
	v_and_or_b32 v12, v12, s5, v10
	v_and_or_b32 v10, v13, s5, v10
	v_mul_u32_u24_e32 v163, 0xf0, v3
	v_lshrrev_b32_e32 v164, 3, v3
	v_lshlrev_b32_e32 v3, 2, v70
	v_readlane_b32 s9, v250, 14
	v_lshrrev_b32_e32 v162, 3, v13
	v_add_u32_e32 v166, 0, v3
	v_add_u32_e32 v167, v91, v3
	;; [unrolled: 1-line block ×3, first 2 shown]
	v_or_b32_e32 v3, v11, v40
	v_mul_u32_u24_e32 v13, 0xf0, v2
	v_mad_u32_u24 v170, v2, s7, 0
	v_mad_u32_u24 v173, v7, s7, 0
	;; [unrolled: 1-line block ×4, first 2 shown]
	v_lshlrev_b32_e32 v2, 2, v40
	v_mad_u32_u24 v177, v8, s7, 0
	v_mad_u32_u24 v183, v39, s7, 0
	v_ashrrev_i32_e32 v61, 31, v60
	v_cmp_gt_u32_e64 s[8:9], 16, v9
	v_mul_u32_u24_e32 v169, 0xf0, v3
	v_mad_u32_u24 v171, v6, s7, 0
	v_mad_u32_u24 v172, v5, s7, 0
	v_add_u32_e32 v176, 0, v2
	v_add_u32_e32 v178, v177, v2
	;; [unrolled: 1-line block ×5, first 2 shown]
	v_lshlrev_b32_e32 v2, 2, v38
	v_mov_b32_e32 v3, v45
	v_add_u32_e32 v185, 0x780, v183
	v_add_u32_e32 v188, 0x1680, v183
	v_add_u32_e32 v191, 0x2580, v183
	v_add_u32_e32 v194, 0x3480, v183
	v_writelane_b32 v250, s8, 15
	v_add_u32_e32 v182, 0, v2
	v_add_u32_e32 v184, v183, v2
	;; [unrolled: 1-line block ×9, first 2 shown]
	v_lshl_add_u64 v[72:73], s[18:19], 0, v[2:3]
	v_lshl_add_u64 v[2:3], v[60:61], 2, v[44:45]
	v_writelane_b32 v250, s9, 16
	v_lshl_add_u64 v[2:3], s[16:17], 0, v[2:3]
	s_mov_b64 s[8:9], 0xc0
	v_lshl_add_u64 v[74:75], v[2:3], 0, s[8:9]
	v_and_b32_e32 v2, 3, v0
	v_ashrrev_i32_e32 v69, 31, v68
	v_lshlrev_b32_e32 v2, 4, v2
	v_mov_b32_e32 v3, v45
	v_ashrrev_i32_e32 v47, 31, v46
	v_mul_u32_u24_e32 v11, 0xf0, v4
	v_mul_u32_u24_e32 v15, 0xf0, v5
	v_lshl_add_u64 v[4:5], v[68:69], 2, v[2:3]
	s_ashr_i32 s5, s11, 31
	v_lshl_add_u64 v[4:5], s[16:17], 0, v[4:5]
	s_mov_b64 s[68:69], 0x80
	v_lshl_add_u64 v[2:3], v[46:47], 2, v[2:3]
	v_ashrrev_i32_e32 v53, 31, v52
	v_lshl_add_u32 v54, s34, 5, v52
	v_writelane_b32 v250, s5, 17
	s_ashr_i32 s5, s10, 31
	v_lshl_add_u64 v[76:77], v[4:5], 0, s[68:69]
	v_lshlrev_b32_e32 v4, 4, v70
	v_mov_b32_e32 v5, v45
	v_lshl_add_u64 v[2:3], s[14:15], 0, v[2:3]
	v_ashrrev_i32_e32 v55, 31, v54
	v_writelane_b32 v250, s5, 18
	s_ashr_i32 s5, s55, 31
	v_lshl_add_u64 v[82:83], v[2:3], 0, s[68:69]
	v_lshl_add_u64 v[2:3], v[52:53], 2, v[4:5]
	v_ashrrev_i32_e32 v59, 31, v58
	v_writelane_b32 v250, s5, 19
	s_sub_i32 s5, 0, s54
	v_lshl_add_u64 v[84:85], s[14:15], 0, v[2:3]
	v_lshl_add_u64 v[2:3], v[54:55], 2, v[4:5]
	s_mul_i32 s5, s5, s4
	v_lshl_add_u64 v[86:87], s[14:15], 0, v[2:3]
	v_lshl_add_u64 v[2:3], v[58:59], 2, v[44:45]
	v_mul_lo_u32 v62, s30, v14
	v_ashrrev_i32_e32 v65, 31, v64
	s_mul_hi_u32 s5, s4, s5
	v_lshl_add_u64 v[2:3], s[14:15], 0, v[2:3]
	v_bfe_u32 v90, v9, 3, 3
	v_ashrrev_i32_e32 v63, 31, v62
	v_lshrrev_b32_e32 v165, 3, v14
	v_mul_u32_u24_e32 v14, 0xf0, v6
	v_mul_u32_u24_e32 v16, 0xf0, v7
	s_add_i32 s4, s4, s5
	v_lshl_add_u64 v[6:7], v[64:65], 2, v[4:5]
	v_lshl_add_u64 v[88:89], v[2:3], 0, s[8:9]
	v_mul_lo_u32 v2, s49, v90
	v_and_b32_e32 v94, 7, v8
	s_mov_b32 s6, 0x10001
	v_mul_u32_u24_e32 v17, 0xf0, v12
	v_mul_u32_u24_e32 v12, 0xf0, v10
	v_writelane_b32 v250, s4, 20
	s_lshl_b64 s[4:5], s[40:41], 1
	v_lshl_add_u64 v[78:79], s[16:17], 0, v[6:7]
	v_lshl_add_u64 v[6:7], v[62:63], 2, v[4:5]
	v_add3_u32 v92, v2, v70, 48
	v_mul_lo_u32 v2, v94, s49
	v_and_b32_e32 v98, 7, v39
	v_mov_b32_e32 v41, v45
	v_writelane_b32 v250, s4, 21
	s_lshl_b64 s[66:67], s[30:31], 8
	v_lshl_add_u64 v[80:81], s[16:17], 0, v[6:7]
	s_lshl_b64 s[70:71], s[34:35], 8
	s_mov_b32 s41, 0x3fb8aa3b
	s_mov_b32 s58, 0xc2ce8ed0
	;; [unrolled: 1-line block ×5, first 2 shown]
	v_add_u32_e32 v196, v182, v13
	v_add_u32_e32 v197, v182, v14
	;; [unrolled: 1-line block ×7, first 2 shown]
	v_mul_lo_u32 v203, v1, s6
	v_mad_u32_u24 v204, v40, s7, v99
	v_add_u32_e32 v205, 32, v145
	v_add_u32_e32 v206, 64, v145
	;; [unrolled: 1-line block ×3, first 2 shown]
	v_lshrrev_b32_e32 v208, 3, v39
	v_mul_u32_u24_e32 v209, 0xf0, v39
	v_lshrrev_b32_e32 v210, 3, v8
	v_mul_u32_u24_e32 v211, 0xf0, v8
	v_add3_u32 v96, v2, v40, 32
	v_add_u32_e32 v212, 0xf00, v178
	v_add_u32_e32 v213, 0x1e00, v178
	;; [unrolled: 1-line block ×3, first 2 shown]
	v_mbcnt_hi_u32_b32 v215, -1, v71
	v_mov_b32_e32 v216, 0x7f800000
	v_mad_u64_u32 v[100:101], s[6:7], v98, s49, v[38:39]
	v_writelane_b32 v250, s5, 22
	s_branch .LBB19_14
.LBB19_13:                              ;   in Loop: Header=BB19_14 Depth=1
	s_or_b64 exec, exec, s[6:7]
	s_add_i32 s4, s52, s64
	s_abs_i32 s6, s4
	s_mul_hi_u32 s7, s6, s48
	s_mul_i32 s7, s7, s65
	s_sub_i32 s6, s6, s7
	s_ashr_i32 s5, s4, 31
	s_sub_i32 s7, s6, s65
	s_cmp_ge_u32 s6, s65
	s_cselect_b32 s6, s7, s6
	s_sub_i32 s7, s6, s65
	s_cmp_ge_u32 s6, s65
	s_cselect_b32 s6, s7, s6
	s_xor_b32 s6, s6, s5
	s_sub_i32 s5, s5, s6
	s_add_i32 s52, s4, s5
	s_sub_i32 s4, s56, s52
	s_min_i32 s38, s64, s4
	s_cmp_gt_i32 s56, s52
	s_cselect_b64 s[6:7], -1, 0
	s_cmp_le_i32 s64, s4
	s_cselect_b64 s[4:5], -1, 0
	s_and_b64 s[4:5], s[4:5], s[6:7]
	s_mov_b32 s72, 0
	s_and_b64 vcc, exec, s[4:5]
	s_cbranch_vccz .LBB19_294
.LBB19_14:                              ; =>This Loop Header: Depth=1
                                        ;     Child Loop BB19_75 Depth 2
                                        ;     Child Loop BB19_214 Depth 2
	s_ashr_i32 s4, s52, 31
	v_readlane_b32 s5, v250, 17
	s_xor_b32 s4, s4, s5
	s_abs_i32 s5, s52
	v_mul_hi_u32 v2, s5, v150
	v_mul_lo_u32 v3, v2, s57
	v_sub_u32_e32 v3, s5, v3
	v_add_u32_e32 v4, 1, v2
	v_subrev_u32_e32 v5, s57, v3
	v_cmp_le_u32_e32 vcc, s57, v3
	s_nop 1
	v_cndmask_b32_e32 v2, v2, v4, vcc
	v_cndmask_b32_e32 v3, v3, v5, vcc
	v_add_u32_e32 v4, 1, v2
	v_cmp_le_u32_e32 vcc, s57, v3
	s_nop 1
	v_cndmask_b32_e32 v2, v2, v4, vcc
	v_xor_b32_e32 v2, s4, v2
	v_subrev_u32_e32 v2, s4, v2
	v_mul_lo_u32 v3, v2, s11
	v_sub_u32_e32 v4, s52, v3
	v_sub_u32_e32 v5, 0, v4
	v_max_i32_e32 v5, v4, v5
	v_mul_hi_u32 v6, v5, v151
	v_mul_lo_u32 v7, v6, s2
	v_sub_u32_e32 v5, v5, v7
	v_add_u32_e32 v7, 1, v6
	v_subrev_u32_e32 v8, s2, v5
	v_cmp_le_u32_e32 vcc, s2, v5
	v_ashrrev_i32_e32 v3, 31, v4
	v_readlane_b32 s4, v250, 18
	v_cndmask_b32_e32 v6, v6, v7, vcc
	v_cndmask_b32_e32 v5, v5, v8, vcc
	v_add_u32_e32 v7, 1, v6
	v_cmp_le_u32_e32 vcc, s2, v5
	v_xor_b32_e32 v3, s4, v3
	v_readlane_b32 s4, v250, 19
	v_cndmask_b32_e32 v5, v6, v7, vcc
	v_xor_b32_e32 v5, v5, v3
	v_sub_u32_e32 v3, v5, v3
	v_mul_lo_u32 v5, v3, s10
	v_sub_u32_e32 v4, v4, v5
	v_sub_u32_e32 v6, 0, v4
	v_max_i32_e32 v6, v4, v6
	v_mul_hi_u32 v7, v6, v152
	v_mul_lo_u32 v8, v7, s3
	v_sub_u32_e32 v6, v6, v8
	v_add_u32_e32 v8, 1, v7
	v_subrev_u32_e32 v9, s3, v6
	v_cmp_le_u32_e32 vcc, s3, v6
	v_ashrrev_i32_e32 v5, 31, v4
	v_xor_b32_e32 v5, s4, v5
	v_cndmask_b32_e32 v7, v7, v8, vcc
	v_cndmask_b32_e32 v6, v6, v9, vcc
	v_add_u32_e32 v8, 1, v7
	v_cmp_le_u32_e32 vcc, s3, v6
	v_readlane_b32 s4, v250, 7
	s_nop 0
	v_cndmask_b32_e32 v6, v7, v8, vcc
	v_xor_b32_e32 v6, v6, v5
	v_sub_u32_e32 v5, v6, v5
	v_mul_lo_u32 v6, v5, s55
	v_sub_u32_e32 v4, v4, v6
	v_sub_u32_e32 v7, 0, v4
	v_ashrrev_i32_e32 v6, 31, v4
	v_max_i32_e32 v4, v4, v7
	v_mul_hi_u32 v7, v4, s48
	v_mul_lo_u32 v8, v7, s65
	v_sub_u32_e32 v4, v4, v8
	v_add_u32_e32 v8, 1, v7
	v_subrev_u32_e32 v9, s65, v4
	v_cmp_le_u32_e32 vcc, s65, v4
	v_xor_b32_e32 v6, s4, v6
	v_readlane_b32 s4, v250, 9
	v_cndmask_b32_e32 v7, v7, v8, vcc
	v_cndmask_b32_e32 v4, v4, v9, vcc
	v_add_u32_e32 v8, 1, v7
	v_cmp_le_u32_e32 vcc, s65, v4
	v_readlane_b32 s5, v250, 10
	s_nop 0
	v_cndmask_b32_e32 v4, v7, v8, vcc
	v_xor_b32_e32 v4, v4, v6
	s_andn2_b64 vcc, exec, s[4:5]
	v_sub_u32_e32 v4, v4, v6
	s_cbranch_vccnz .LBB19_16
; %bb.15:                               ;   in Loop: Header=BB19_14 Depth=1
	v_readlane_b32 s4, v250, 0
	s_nop 1
	v_mul_lo_u32 v6, v2, s4
	v_add_u32_e32 v6, v4, v6
	v_ashrrev_i32_e32 v7, 31, v6
	v_lshlrev_b64 v[6:7], 2, v[6:7]
	v_lshl_add_u64 v[6:7], s[22:23], 0, v[6:7]
	global_load_dword v6, v[6:7], off
	s_waitcnt vmcnt(0)
	v_readfirstlane_b32 s4, v6
	s_ashr_i32 s5, s4, 31
	s_lshr_b32 s5, s5, 26
	s_add_i32 s4, s4, s5
	s_ashr_i32 s4, s4, 6
	s_min_i32 s38, s38, s4
.LBB19_16:                              ;   in Loop: Header=BB19_14 Depth=1
	v_mul_lo_u32 v6, v3, s33
	v_lshlrev_b32_e32 v138, 3, v5
	v_add_u32_e32 v6, v138, v6
	v_mul_lo_u32 v8, v2, s51
	v_ashrrev_i32_e32 v9, 31, v8
	v_mul_lo_u32 v10, v6, s50
	v_lshl_add_u64 v[8:9], s[12:13], 0, v[8:9]
	v_ashrrev_i32_e32 v11, 31, v10
	v_ashrrev_i32_e32 v5, 31, v2
	v_lshl_add_u64 v[120:121], v[8:9], 0, v[10:11]
	v_mul_hi_u32 v7, s36, v2
	v_mul_lo_u32 v8, s36, v5
	v_readlane_b32 s4, v250, 5
	v_add_u32_e32 v7, v7, v8
	v_mul_lo_u32 v8, s37, v2
	v_readlane_b32 s5, v250, 6
	v_add_u32_e32 v117, v7, v8
	v_mul_lo_u32 v116, s36, v2
	v_mul_lo_u32 v112, v3, s5
	v_sub_u32_e32 v7, 0, v2
	v_lshl_add_u64 v[8:9], s[14:15], 0, v[116:117]
	v_ashrrev_i32_e32 v113, 31, v112
	v_max_i32_e32 v7, v2, v7
	v_readlane_b32 s4, v250, 20
	v_lshl_add_u64 v[108:109], v[8:9], 0, v[112:113]
	v_mul_lo_u32 v122, s44, v2
	v_mul_hi_u32 v8, v7, s4
	v_mul_lo_u32 v8, v8, s54
	v_sub_u32_e32 v7, v7, v8
	v_subrev_u32_e32 v8, s54, v7
	v_cmp_le_u32_e32 vcc, s54, v7
	s_mul_i32 s4, s28, s29
	v_mul_lo_u32 v114, v3, s39
	v_cndmask_b32_e32 v7, v7, v8, vcc
	v_subrev_u32_e32 v8, s54, v7
	v_cmp_le_u32_e32 vcc, s54, v7
	v_ashrrev_i32_e32 v115, 31, v114
	v_lshlrev_b32_e32 v139, 3, v4
	v_cndmask_b32_e32 v7, v7, v8, vcc
	v_xor_b32_e32 v7, v7, v5
	v_sub_u32_e32 v7, v7, v5
	v_ashrrev_i32_e32 v8, 31, v7
	v_mul_lo_u32 v8, s46, v8
	v_mul_hi_u32 v9, s46, v7
	v_add_u32_e32 v8, v9, v8
	v_mul_lo_u32 v9, s47, v7
	v_mul_lo_u32 v118, s46, v7
	;; [unrolled: 1-line block ×3, first 2 shown]
	v_add_u32_e32 v7, v6, v7
	v_mul_lo_u32 v44, v7, 56
	v_mul_hi_u32 v7, s44, v2
	v_mul_lo_u32 v5, s44, v5
	v_add_u32_e32 v5, v7, v5
	v_mul_lo_u32 v7, s45, v2
	v_add_u32_e32 v123, v5, v7
	v_ashrrev_i32_e32 v7, 31, v6
	v_add_u32_e32 v119, v8, v9
	v_lshlrev_b64 v[8:9], 3, v[44:45]
	v_lshlrev_b64 v[2:3], 2, v[6:7]
	v_lshl_add_u64 v[102:103], s[24:25], 0, v[8:9]
	v_lshl_add_u64 v[8:9], s[16:17], 0, v[122:123]
	;; [unrolled: 1-line block ×5, first 2 shown]
	v_cndmask_b32_e64 v105, v3, 0, s[60:61]
	v_cndmask_b32_e64 v104, v2, 0, s[60:61]
	s_cmp_lg_u32 s72, 0
	v_add_u32_e32 v217, v208, v139
	v_or_b32_e32 v140, v98, v138
	s_cbranch_scc0 .LBB19_81
; %bb.17:                               ;   in Loop: Header=BB19_14 Depth=1
	v_cmp_le_i32_e64 s[6:7], s28, v217
	v_cmp_le_i32_e64 s[8:9], s33, v140
	v_cmp_gt_i32_e32 vcc, s33, v140
	s_or_b64 s[4:5], s[6:7], s[8:9]
	s_and_saveexec_b64 s[6:7], s[4:5]
	s_xor_b64 s[6:7], exec, s[6:7]
; %bb.18:                               ;   in Loop: Header=BB19_14 Depth=1
	v_add_u32_e32 v2, v182, v209
	ds_write_b32 v2, v45
; %bb.19:                               ;   in Loop: Header=BB19_14 Depth=1
	s_andn2_saveexec_b64 s[6:7], s[6:7]
	s_cbranch_execz .LBB19_21
; %bb.20:                               ;   in Loop: Header=BB19_14 Depth=1
	v_mad_u64_u32 v[2:3], s[4:5], v217, s53, v[100:101]
	v_ashrrev_i32_e32 v3, 31, v2
	v_lshl_add_u64 v[2:3], v[2:3], 3, v[120:121]
	global_load_dwordx2 v[2:3], v[2:3], off
	s_waitcnt vmcnt(0)
	v_cvt_pk_f16_f32 v2, v2, v3
	v_pk_mul_f16 v2, v2, v203
	v_add_u32_e32 v3, v182, v209
	ds_write_b32 v3, v2
.LBB19_21:                              ;   in Loop: Header=BB19_14 Depth=1
	s_or_b64 exec, exec, s[6:7]
	v_add_u32_e32 v228, v153, v139
	v_cmp_le_i32_e64 s[6:7], s28, v228
	s_xor_b64 s[8:9], vcc, -1
	s_or_b64 s[4:5], s[6:7], s[8:9]
	s_and_saveexec_b64 s[6:7], s[4:5]
	s_xor_b64 s[6:7], exec, s[6:7]
; %bb.22:                               ;   in Loop: Header=BB19_14 Depth=1
	v_add_u32_e32 v2, v182, v209
	ds_write_b32 v2, v45 offset:1920
; %bb.23:                               ;   in Loop: Header=BB19_14 Depth=1
	s_andn2_saveexec_b64 s[6:7], s[6:7]
	s_cbranch_execz .LBB19_25
; %bb.24:                               ;   in Loop: Header=BB19_14 Depth=1
	v_mad_u64_u32 v[2:3], s[4:5], v228, s53, v[100:101]
	v_ashrrev_i32_e32 v3, 31, v2
	v_lshl_add_u64 v[2:3], v[2:3], 3, v[120:121]
	global_load_dwordx2 v[2:3], v[2:3], off
	s_waitcnt vmcnt(0)
	v_cvt_pk_f16_f32 v2, v2, v3
	v_pk_mul_f16 v2, v2, v203
	v_add_u32_e32 v3, v182, v209
	ds_write_b32 v3, v2 offset:1920
.LBB19_25:                              ;   in Loop: Header=BB19_14 Depth=1
	s_or_b64 exec, exec, s[6:7]
	v_add_u32_e32 v227, v156, v139
	v_cmp_le_i32_e32 vcc, s28, v227
	s_or_b64 s[4:5], vcc, s[8:9]
	s_and_saveexec_b64 s[6:7], s[4:5]
	s_xor_b64 s[6:7], exec, s[6:7]
; %bb.26:                               ;   in Loop: Header=BB19_14 Depth=1
	v_add_u32_e32 v2, v182, v209
	ds_write_b32 v2, v45 offset:3840
; %bb.27:                               ;   in Loop: Header=BB19_14 Depth=1
	s_andn2_saveexec_b64 s[6:7], s[6:7]
	s_cbranch_execz .LBB19_29
; %bb.28:                               ;   in Loop: Header=BB19_14 Depth=1
	v_mad_u64_u32 v[2:3], s[4:5], v227, s53, v[100:101]
	v_ashrrev_i32_e32 v3, 31, v2
	v_lshl_add_u64 v[2:3], v[2:3], 3, v[120:121]
	global_load_dwordx2 v[2:3], v[2:3], off
	s_waitcnt vmcnt(0)
	v_cvt_pk_f16_f32 v2, v2, v3
	v_pk_mul_f16 v2, v2, v203
	v_add_u32_e32 v3, v182, v209
	ds_write_b32 v3, v2 offset:3840
.LBB19_29:                              ;   in Loop: Header=BB19_14 Depth=1
	s_or_b64 exec, exec, s[6:7]
	v_add_u32_e32 v226, v154, v139
	v_cmp_le_i32_e32 vcc, s28, v226
	s_or_b64 s[4:5], vcc, s[8:9]
	;; [unrolled: 23-line block ×6, first 2 shown]
	s_and_saveexec_b64 s[6:7], s[4:5]
	s_xor_b64 s[6:7], exec, s[6:7]
; %bb.46:                               ;   in Loop: Header=BB19_14 Depth=1
	v_add_u32_e32 v2, v182, v209
	ds_write_b32 v2, v45 offset:13440
; %bb.47:                               ;   in Loop: Header=BB19_14 Depth=1
	s_andn2_saveexec_b64 s[6:7], s[6:7]
	s_cbranch_execz .LBB19_49
; %bb.48:                               ;   in Loop: Header=BB19_14 Depth=1
	v_mad_u64_u32 v[2:3], s[4:5], v221, s53, v[100:101]
	v_ashrrev_i32_e32 v3, 31, v2
	v_lshl_add_u64 v[2:3], v[2:3], 3, v[120:121]
	global_load_dwordx2 v[2:3], v[2:3], off
	s_waitcnt vmcnt(0)
	v_cvt_pk_f16_f32 v2, v2, v3
	v_pk_mul_f16 v2, v2, v203
	v_add_u32_e32 v3, v182, v209
	ds_write_b32 v3, v2 offset:13440
.LBB19_49:                              ;   in Loop: Header=BB19_14 Depth=1
	s_or_b64 exec, exec, s[6:7]
	v_add_u32_e32 v220, v210, v139
	v_or_b32_e32 v222, v94, v138
	v_cmp_le_i32_e64 s[6:7], s28, v220
	v_cmp_le_i32_e64 s[8:9], s33, v222
	v_cmp_gt_i32_e32 vcc, s33, v222
	s_or_b64 s[4:5], s[6:7], s[8:9]
	s_and_saveexec_b64 s[6:7], s[4:5]
	s_xor_b64 s[6:7], exec, s[6:7]
; %bb.50:                               ;   in Loop: Header=BB19_14 Depth=1
	ds_write_b32 v178, v45 offset:128
; %bb.51:                               ;   in Loop: Header=BB19_14 Depth=1
	s_andn2_saveexec_b64 s[6:7], s[6:7]
	s_cbranch_execz .LBB19_53
; %bb.52:                               ;   in Loop: Header=BB19_14 Depth=1
	v_mad_u64_u32 v[2:3], s[4:5], v220, s53, v[96:97]
	v_ashrrev_i32_e32 v3, 31, v2
	v_lshl_add_u64 v[2:3], v[2:3], 3, v[120:121]
	global_load_dwordx2 v[2:3], v[2:3], off
	s_waitcnt vmcnt(0)
	v_cvt_pk_f16_f32 v2, v2, v3
	v_pk_mul_f16 v2, v2, v203
	v_add_u32_e32 v3, v176, v211
	ds_write_b32 v3, v2 offset:128
.LBB19_53:                              ;   in Loop: Header=BB19_14 Depth=1
	s_or_b64 exec, exec, s[6:7]
	v_add_u32_e32 v219, v160, v139
	v_cmp_le_i32_e64 s[6:7], s28, v219
	s_xor_b64 s[8:9], vcc, -1
	s_or_b64 s[4:5], s[6:7], s[8:9]
	s_and_saveexec_b64 s[6:7], s[4:5]
	s_xor_b64 s[6:7], exec, s[6:7]
; %bb.54:                               ;   in Loop: Header=BB19_14 Depth=1
	ds_write_b32 v212, v45 offset:128
; %bb.55:                               ;   in Loop: Header=BB19_14 Depth=1
	s_andn2_saveexec_b64 s[6:7], s[6:7]
	s_cbranch_execz .LBB19_57
; %bb.56:                               ;   in Loop: Header=BB19_14 Depth=1
	v_mad_u64_u32 v[2:3], s[4:5], v219, s53, v[96:97]
	v_ashrrev_i32_e32 v3, 31, v2
	v_lshl_add_u64 v[2:3], v[2:3], 3, v[120:121]
	global_load_dwordx2 v[2:3], v[2:3], off
	s_waitcnt vmcnt(0)
	v_cvt_pk_f16_f32 v2, v2, v3
	v_pk_mul_f16 v2, v2, v203
	v_add_u32_e32 v3, v176, v211
	ds_write_b32 v3, v2 offset:3968
.LBB19_57:                              ;   in Loop: Header=BB19_14 Depth=1
	s_or_b64 exec, exec, s[6:7]
	v_add_u32_e32 v218, v161, v139
	v_cmp_le_i32_e32 vcc, s28, v218
	s_or_b64 s[4:5], vcc, s[8:9]
	s_and_saveexec_b64 s[6:7], s[4:5]
	s_xor_b64 s[6:7], exec, s[6:7]
; %bb.58:                               ;   in Loop: Header=BB19_14 Depth=1
	ds_write_b32 v213, v45 offset:128
; %bb.59:                               ;   in Loop: Header=BB19_14 Depth=1
	s_andn2_saveexec_b64 s[6:7], s[6:7]
	s_cbranch_execz .LBB19_61
; %bb.60:                               ;   in Loop: Header=BB19_14 Depth=1
	v_mad_u64_u32 v[2:3], s[4:5], v218, s53, v[96:97]
	v_ashrrev_i32_e32 v3, 31, v2
	v_lshl_add_u64 v[2:3], v[2:3], 3, v[120:121]
	global_load_dwordx2 v[2:3], v[2:3], off
	s_waitcnt vmcnt(0)
	v_cvt_pk_f16_f32 v2, v2, v3
	v_pk_mul_f16 v2, v2, v203
	v_add_u32_e32 v3, v176, v211
	ds_write_b32 v3, v2 offset:7808
.LBB19_61:                              ;   in Loop: Header=BB19_14 Depth=1
	s_or_b64 exec, exec, s[6:7]
	v_add_u32_e32 v142, v162, v139
	v_cmp_le_i32_e32 vcc, s28, v142
	s_or_b64 s[4:5], vcc, s[8:9]
	s_and_saveexec_b64 s[6:7], s[4:5]
	s_xor_b64 s[6:7], exec, s[6:7]
; %bb.62:                               ;   in Loop: Header=BB19_14 Depth=1
	ds_write_b32 v214, v45 offset:128
; %bb.63:                               ;   in Loop: Header=BB19_14 Depth=1
	s_andn2_saveexec_b64 s[6:7], s[6:7]
	s_cbranch_execz .LBB19_65
; %bb.64:                               ;   in Loop: Header=BB19_14 Depth=1
	v_mad_u64_u32 v[2:3], s[4:5], v142, s53, v[96:97]
	v_ashrrev_i32_e32 v3, 31, v2
	v_lshl_add_u64 v[2:3], v[2:3], 3, v[120:121]
	global_load_dwordx2 v[2:3], v[2:3], off
	s_waitcnt vmcnt(0)
	v_cvt_pk_f16_f32 v2, v2, v3
	v_pk_mul_f16 v2, v2, v203
	v_add_u32_e32 v3, v176, v211
	ds_write_b32 v3, v2 offset:11648
.LBB19_65:                              ;   in Loop: Header=BB19_14 Depth=1
	s_or_b64 exec, exec, s[6:7]
	v_or_b32_e32 v143, v138, v90
	v_add_u32_e32 v141, v164, v139
	v_cmp_le_i32_e64 s[6:7], s33, v143
	v_cmp_le_i32_e64 s[8:9], s28, v141
	v_cmp_gt_i32_e32 vcc, s33, v143
	s_or_b64 s[4:5], s[8:9], s[6:7]
	s_and_saveexec_b64 s[6:7], s[4:5]
	s_xor_b64 s[6:7], exec, s[6:7]
; %bb.66:                               ;   in Loop: Header=BB19_14 Depth=1
	ds_write_b32 v167, v45 offset:192
; %bb.67:                               ;   in Loop: Header=BB19_14 Depth=1
	s_andn2_saveexec_b64 s[6:7], s[6:7]
	s_cbranch_execz .LBB19_69
; %bb.68:                               ;   in Loop: Header=BB19_14 Depth=1
	v_mad_u64_u32 v[2:3], s[4:5], v141, s53, v[92:93]
	v_ashrrev_i32_e32 v3, 31, v2
	v_lshl_add_u64 v[2:3], v[2:3], 3, v[120:121]
	global_load_dwordx2 v[2:3], v[2:3], off
	s_waitcnt vmcnt(0)
	v_cvt_pk_f16_f32 v2, v2, v3
	v_pk_mul_f16 v2, v2, v203
	v_add_u32_e32 v3, v166, v163
	ds_write_b32 v3, v2 offset:192
.LBB19_69:                              ;   in Loop: Header=BB19_14 Depth=1
	s_or_b64 exec, exec, s[6:7]
	v_add_u32_e32 v101, v165, v139
	v_cmp_le_i32_e64 s[6:7], s28, v101
	s_xor_b64 s[4:5], vcc, -1
	s_or_b64 s[4:5], s[6:7], s[4:5]
	s_and_saveexec_b64 s[6:7], s[4:5]
	s_xor_b64 s[6:7], exec, s[6:7]
; %bb.70:                               ;   in Loop: Header=BB19_14 Depth=1
	ds_write_b32 v168, v45 offset:192
; %bb.71:                               ;   in Loop: Header=BB19_14 Depth=1
	s_andn2_saveexec_b64 s[6:7], s[6:7]
	s_cbranch_execz .LBB19_73
; %bb.72:                               ;   in Loop: Header=BB19_14 Depth=1
	v_mad_u64_u32 v[2:3], s[4:5], v101, s53, v[92:93]
	v_ashrrev_i32_e32 v3, 31, v2
	v_lshl_add_u64 v[2:3], v[2:3], 3, v[120:121]
	global_load_dwordx2 v[2:3], v[2:3], off
	s_waitcnt vmcnt(0)
	v_cvt_pk_f16_f32 v2, v2, v3
	v_pk_mul_f16 v2, v2, v203
	v_add_u32_e32 v3, v166, v163
	ds_write_b32 v3, v2 offset:7872
.LBB19_73:                              ;   in Loop: Header=BB19_14 Depth=1
	s_or_b64 exec, exec, s[6:7]
	s_waitcnt lgkmcnt(0)
	s_barrier
	ds_read2_b64 v[10:13], v43 offset1:4
	ds_read2_b64 v[6:9], v43 offset0:8 offset1:12
	ds_read2_b64 v[2:5], v43 offset0:16 offset1:20
	ds_read_b64 v[124:125], v43 offset:192
	v_add_u32_e32 v14, v139, v39
	v_mul_hi_u32 v15, s42, v14
	v_add_u32_e32 v15, v14, v15
	v_lshrrev_b32_e32 v15, s43, v15
	v_mul_lo_u32 v15, v15, s28
	s_add_i32 s73, s38, -1
	v_sub_u32_e32 v14, v14, v15
	s_cmp_ge_i32 s72, s73
	v_mad_i64_i32 v[126:127], s[4:5], v14, s40, 0
	s_waitcnt lgkmcnt(0)
	s_barrier
	s_cbranch_scc1 .LBB19_82
; %bb.74:                               ;   in Loop: Header=BB19_14 Depth=1
	v_lshl_add_u64 v[14:15], v[126:127], 1, v[110:111]
	v_lshlrev_b32_e32 v44, 1, v42
	v_lshl_add_u64 v[128:129], v[14:15], 0, v[44:45]
	v_and_b32_e32 v14, 64, v215
	v_add_u32_e32 v14, 64, v14
	v_xor_b32_e32 v15, 32, v215
	v_cmp_lt_i32_e32 vcc, v15, v14
	s_lshl_b32 s6, s72, 6
	v_mov_b32_e32 v131, 0
	v_cndmask_b32_e32 v15, v215, v15, vcc
	v_lshlrev_b32_e32 v231, 2, v15
	v_xor_b32_e32 v15, 16, v215
	v_cmp_lt_i32_e32 vcc, v15, v14
	v_mov_b32_e32 v29, 0xfeffffff
	v_mov_b32_e32 v28, 0
	v_cndmask_b32_e32 v14, v215, v15, vcc
	v_lshlrev_b32_e32 v232, 2, v14
	v_mov_b32_e32 v132, 0
	v_mov_b32_e32 v134, 0
	;; [unrolled: 1-line block ×13, first 2 shown]
.LBB19_75:                              ;   Parent Loop BB19_14 Depth=1
                                        ; =>  This Inner Loop Header: Depth=2
	s_ashr_i32 s7, s6, 31
	v_lshl_add_u64 v[14:15], s[6:7], 1, v[128:129]
	global_load_dword v14, v[14:15], off
	s_mul_hi_i32 s5, s6, s34
	s_mul_i32 s4, s6, s34
	s_lshl_b64 s[4:5], s[4:5], 2
	s_waitcnt vmcnt(0)
	ds_write_b32 v51, v14 offset:15360
	v_lshl_add_u64 v[14:15], v[108:109], 0, s[4:5]
	s_and_saveexec_b64 s[8:9], s[0:1]
	s_cbranch_execz .LBB19_77
; %bb.76:                               ;   in Loop: Header=BB19_75 Depth=2
	v_lshl_add_u64 v[16:17], v[58:59], 2, v[14:15]
	v_lshlrev_b32_e32 v44, 2, v56
	v_lshl_add_u64 v[16:17], v[16:17], 0, v[44:45]
	global_load_dwordx4 v[16:19], v[16:17], off offset:192
	s_waitcnt vmcnt(0)
	ds_write_b128 v144, v[16:19]
.LBB19_77:                              ;   in Loop: Header=BB19_75 Depth=2
	s_or_b64 exec, exec, s[8:9]
	v_lshl_add_u64 v[16:17], v[46:47], 2, v[14:15]
	v_lshlrev_b32_e32 v44, 2, v48
	v_lshl_add_u64 v[16:17], v[16:17], 0, v[44:45]
	v_lshl_add_u64 v[18:19], v[52:53], 2, v[14:15]
	v_lshlrev_b32_e32 v26, 2, v50
	v_mov_b32_e32 v27, v45
	v_lshl_add_u64 v[14:15], v[54:55], 2, v[14:15]
	v_lshl_add_u64 v[20:21], v[14:15], 0, v[26:27]
	global_load_dwordx4 v[14:17], v[16:17], off offset:128
	v_lshl_add_u64 v[18:19], v[18:19], 0, v[26:27]
	v_add_u32_e32 v22, 0x800, v204
	v_add_u32_e32 v34, 0x1800, v204
	s_mul_hi_i32 s5, s6, s30
	s_mul_i32 s4, s6, s30
	s_lshl_b64 s[4:5], s[4:5], 2
	s_waitcnt vmcnt(0)
	ds_write_b128 v57, v[14:17]
	global_load_dwordx4 v[14:17], v[18:19], off
	s_waitcnt vmcnt(0)
	ds_write_b128 v93, v[14:17]
	global_load_dwordx4 v[14:17], v[20:21], off
	s_waitcnt vmcnt(0)
	ds_write_b128 v97, v[14:17]
	s_waitcnt lgkmcnt(0)
	s_barrier
	ds_read2_b64 v[14:17], v204 offset1:4
	s_waitcnt lgkmcnt(0)
	v_mfma_f32_16x16x16_f16 v[18:21], v[14:15], v[10:11], 0
	v_mfma_f32_16x16x16_f16 v[14:17], v[16:17], v[12:13], v[18:21]
	s_nop 6
	ds_read2_b64 v[18:21], v204 offset0:8 offset1:12
	s_waitcnt lgkmcnt(0)
	v_mfma_f32_16x16x16_f16 v[14:17], v[18:19], v[6:7], v[14:17]
	v_mfma_f32_16x16x16_f16 v[14:17], v[20:21], v[8:9], v[14:17]
	ds_read2_b64 v[18:21], v204 offset0:16 offset1:20
	s_waitcnt lgkmcnt(0)
	v_mfma_f32_16x16x16_f16 v[14:17], v[18:19], v[2:3], v[14:17]
	ds_read_b64 v[18:19], v204 offset:192
	v_mfma_f32_16x16x16_f16 v[14:17], v[20:21], v[4:5], v[14:17]
	s_waitcnt lgkmcnt(0)
	v_mfma_f32_16x16x16_f16 v[234:237], v[18:19], v[124:125], v[14:17]
	s_nop 5
	ds_read2_b64 v[14:17], v22 offset0:224 offset1:228
	s_waitcnt lgkmcnt(0)
	v_mfma_f32_16x16x16_f16 v[18:21], v[14:15], v[10:11], 0
	v_mfma_f32_16x16x16_f16 v[14:17], v[16:17], v[12:13], v[18:21]
	s_nop 6
	ds_read2_b64 v[18:21], v22 offset0:232 offset1:236
	s_waitcnt lgkmcnt(0)
	v_mfma_f32_16x16x16_f16 v[14:17], v[18:19], v[6:7], v[14:17]
	v_mfma_f32_16x16x16_f16 v[14:17], v[20:21], v[8:9], v[14:17]
	ds_read2_b64 v[18:21], v22 offset0:240 offset1:244
	s_waitcnt lgkmcnt(0)
	v_mfma_f32_16x16x16_f16 v[14:17], v[18:19], v[2:3], v[14:17]
	ds_read_b64 v[18:19], v204 offset:4032
	v_mfma_f32_16x16x16_f16 v[14:17], v[20:21], v[4:5], v[14:17]
	s_waitcnt lgkmcnt(0)
	v_mfma_f32_16x16x16_f16 v[18:21], v[18:19], v[124:125], v[14:17]
	s_nop 5
	ds_read2_b64 v[14:17], v34 offset0:192 offset1:196
	s_waitcnt lgkmcnt(0)
	v_mfma_f32_16x16x16_f16 v[22:25], v[14:15], v[10:11], 0
	v_mfma_f32_16x16x16_f16 v[14:17], v[16:17], v[12:13], v[22:25]
	s_nop 6
	ds_read2_b64 v[22:25], v34 offset0:200 offset1:204
	s_waitcnt lgkmcnt(0)
	v_mfma_f32_16x16x16_f16 v[14:17], v[22:23], v[6:7], v[14:17]
	v_mfma_f32_16x16x16_f16 v[14:17], v[24:25], v[8:9], v[14:17]
	ds_read2_b64 v[22:25], v34 offset0:208 offset1:212
	v_add_u32_e32 v34, 0x2800, v204
	s_waitcnt lgkmcnt(0)
	v_mfma_f32_16x16x16_f16 v[14:17], v[22:23], v[2:3], v[14:17]
	ds_read_b64 v[22:23], v204 offset:7872
	v_mfma_f32_16x16x16_f16 v[14:17], v[24:25], v[4:5], v[14:17]
	s_waitcnt lgkmcnt(0)
	v_mfma_f32_16x16x16_f16 v[22:25], v[22:23], v[124:125], v[14:17]
	s_nop 5
	ds_read2_b64 v[14:17], v34 offset0:160 offset1:164
	s_waitcnt lgkmcnt(0)
	v_mfma_f32_16x16x16_f16 v[238:241], v[14:15], v[10:11], 0
	v_mfma_f32_16x16x16_f16 v[14:17], v[16:17], v[12:13], v[238:241]
	s_nop 6
	ds_read2_b64 v[238:241], v34 offset0:168 offset1:172
	s_waitcnt lgkmcnt(0)
	v_mfma_f32_16x16x16_f16 v[14:17], v[238:239], v[6:7], v[14:17]
	v_mfma_f32_16x16x16_f16 v[14:17], v[240:241], v[8:9], v[14:17]
	ds_read2_b64 v[238:241], v34 offset0:176 offset1:180
	ds_read_b64 v[34:35], v204 offset:11712
	s_waitcnt lgkmcnt(0)
	v_mfma_f32_16x16x16_f16 v[14:17], v[238:239], v[2:3], v[14:17]
	s_barrier
	v_mfma_f32_16x16x16_f16 v[14:17], v[240:241], v[4:5], v[14:17]
	v_mfma_f32_16x16x16_f16 v[14:17], v[34:35], v[124:125], v[14:17]
	ds_read_b32 v34, v145 offset:15360
	s_waitcnt lgkmcnt(0)
	v_cvt_f32_f16_e32 v35, v34
	v_cvt_f32_f16_sdwa v34, v34 dst_sel:DWORD dst_unused:UNUSED_PAD src0_sel:WORD_1
	v_add_f32_e32 v241, v234, v35
	v_add_f32_e32 v240, v235, v34
	ds_read_b32 v34, v146 offset:15360
	s_waitcnt lgkmcnt(0)
	v_cvt_f32_f16_e32 v35, v34
	v_cvt_f32_f16_sdwa v34, v34 dst_sel:DWORD dst_unused:UNUSED_PAD src0_sel:WORD_1
	v_add_f32_e32 v238, v236, v35
	v_add_f32_e32 v236, v237, v34
	v_add_u32_e32 v34, 0x3c00, v205
	ds_read2_b32 v[34:35], v34 offset1:1
	s_waitcnt lgkmcnt(0)
	v_cvt_f32_f16_e32 v36, v34
	v_cvt_f32_f16_sdwa v34, v34 dst_sel:DWORD dst_unused:UNUSED_PAD src0_sel:WORD_1
	v_add_f32_e32 v237, v18, v36
	v_cvt_f32_f16_e32 v18, v35
	v_add_f32_e32 v235, v19, v34
	v_cvt_f32_f16_sdwa v19, v35 dst_sel:DWORD dst_unused:UNUSED_PAD src0_sel:WORD_1
	v_add_f32_e32 v36, v20, v18
	v_add_u32_e32 v18, 0x3c00, v206
	v_add_f32_e32 v234, v21, v19
	ds_read2_b32 v[18:19], v18 offset1:1
	s_waitcnt lgkmcnt(0)
	v_cvt_f32_f16_e32 v20, v18
	v_cvt_f32_f16_sdwa v18, v18 dst_sel:DWORD dst_unused:UNUSED_PAD src0_sel:WORD_1
	v_add_f32_e32 v35, v22, v20
	v_add_f32_e32 v34, v23, v18
	v_cvt_f32_f16_e32 v18, v19
	v_cvt_f32_f16_sdwa v19, v19 dst_sel:DWORD dst_unused:UNUSED_PAD src0_sel:WORD_1
	v_add_f32_e32 v23, v24, v18
	v_add_u32_e32 v18, 0x3c00, v207
	v_add_f32_e32 v22, v25, v19
	ds_read2_b32 v[18:19], v18 offset1:1
	s_waitcnt lgkmcnt(0)
	v_cvt_f32_f16_e32 v20, v18
	v_cvt_f32_f16_sdwa v18, v18 dst_sel:DWORD dst_unused:UNUSED_PAD src0_sel:WORD_1
	v_add_f32_e32 v239, v14, v20
	v_add_f32_e32 v229, v15, v18
	v_cvt_f32_f16_e32 v14, v19
	v_cvt_f32_f16_sdwa v15, v19 dst_sel:DWORD dst_unused:UNUSED_PAD src0_sel:WORD_1
	v_add_f32_e32 v242, v16, v14
	v_add_f32_e32 v16, v17, v15
	;; [unrolled: 1-line block ×4, first 2 shown]
	v_max3_f32 v14, v29, v14, v15
	v_add_f32_e32 v15, 0x40051340, v238
	v_add_f32_e32 v17, 0x40051340, v236
	v_max3_f32 v14, v14, v15, v17
	v_add_f32_e32 v15, 0x40051340, v237
	v_add_f32_e32 v17, 0x40051340, v235
	;; [unrolled: 3-line block ×7, first 2 shown]
	v_max3_f32 v14, v14, v15, v17
	ds_bpermute_b32 v15, v231, v14
	s_waitcnt lgkmcnt(0)
	v_max_f32_e32 v15, v15, v15
	v_max_f32_e32 v17, v14, v15
	ds_bpermute_b32 v18, v232, v17
	v_lshl_add_u64 v[14:15], v[106:107], 0, s[4:5]
	s_and_saveexec_b64 s[8:9], s[0:1]
	s_cbranch_execz .LBB19_79
; %bb.78:                               ;   in Loop: Header=BB19_75 Depth=2
	v_lshl_add_u64 v[20:21], v[60:61], 2, v[14:15]
	v_lshlrev_b32_e32 v24, 2, v56
	v_mov_b32_e32 v25, v45
	v_lshl_add_u64 v[20:21], v[20:21], 0, v[24:25]
	global_load_dwordx4 v[244:247], v[20:21], off offset:192
	s_waitcnt vmcnt(0)
	ds_write_b128 v144, v[244:247]
.LBB19_79:                              ;   in Loop: Header=BB19_75 Depth=2
	s_or_b64 exec, exec, s[8:9]
	s_waitcnt lgkmcnt(0)
	v_max_f32_e32 v18, v18, v18
	v_max_f32_e32 v17, v17, v17
	v_max_f32_e32 v230, v17, v18
	v_sub_f32_e32 v17, v241, v230
	v_mul_f32_e32 v18, 0x3fb8aa3b, v17
	v_fma_f32 v19, v17, s41, -v18
	v_rndne_f32_e32 v20, v18
	v_fmac_f32_e32 v19, 0x32a5705f, v17
	v_sub_f32_e32 v18, v18, v20
	v_add_f32_e32 v18, v18, v19
	v_exp_f32_e32 v18, v18
	v_cvt_i32_f32_e32 v19, v20
	v_cmp_ngt_f32_e32 vcc, s58, v17
	v_sub_f32_e32 v36, v36, v230
	v_sub_f32_e32 v234, v234, v230
	v_ldexp_f32 v18, v18, v19
	v_cndmask_b32_e32 v18, 0, v18, vcc
	v_cmp_nlt_f32_e32 vcc, s59, v17
	v_sub_f32_e32 v17, v240, v230
	v_mul_f32_e32 v19, 0x3fb8aa3b, v17
	v_fma_f32 v20, v17, s41, -v19
	v_rndne_f32_e32 v21, v19
	v_fmac_f32_e32 v20, 0x32a5705f, v17
	v_sub_f32_e32 v19, v19, v21
	v_add_f32_e32 v19, v19, v20
	v_exp_f32_e32 v19, v19
	v_cvt_i32_f32_e32 v20, v21
	v_cndmask_b32_e32 v18, v216, v18, vcc
	v_cmp_ngt_f32_e32 vcc, s58, v17
	v_sub_f32_e32 v35, v35, v230
	v_ldexp_f32 v19, v19, v20
	v_sub_f32_e32 v20, v238, v230
	v_mul_f32_e32 v21, 0x3fb8aa3b, v20
	v_fma_f32 v24, v20, s41, -v21
	v_rndne_f32_e32 v25, v21
	v_fmac_f32_e32 v24, 0x32a5705f, v20
	v_sub_f32_e32 v21, v21, v25
	v_add_f32_e32 v21, v21, v24
	v_exp_f32_e32 v21, v21
	v_cvt_i32_f32_e32 v24, v25
	v_cndmask_b32_e32 v19, 0, v19, vcc
	v_cmp_nlt_f32_e32 vcc, s59, v17
	v_sub_f32_e32 v34, v34, v230
	v_ldexp_f32 v21, v21, v24
	v_cndmask_b32_e32 v19, v216, v19, vcc
	v_cmp_ngt_f32_e32 vcc, s58, v20
	v_sub_f32_e32 v23, v23, v230
	v_sub_f32_e32 v22, v22, v230
	v_cndmask_b32_e32 v21, 0, v21, vcc
	v_cmp_nlt_f32_e32 vcc, s59, v20
	v_add_f32_e32 v17, v18, v19
	v_sub_f32_e32 v16, v16, v230
	v_cndmask_b32_e32 v20, v216, v21, vcc
	v_sub_f32_e32 v21, v236, v230
	v_mul_f32_e32 v24, 0x3fb8aa3b, v21
	v_fma_f32 v25, v21, s41, -v24
	v_rndne_f32_e32 v236, v24
	v_fmac_f32_e32 v25, 0x32a5705f, v21
	v_sub_f32_e32 v24, v24, v236
	v_add_f32_e32 v24, v24, v25
	v_exp_f32_e32 v24, v24
	v_cvt_i32_f32_e32 v25, v236
	v_cmp_ngt_f32_e32 vcc, s58, v21
	v_add_f32_e32 v17, v20, v17
	s_add_i32 s72, s72, 1
	v_ldexp_f32 v24, v24, v25
	v_cndmask_b32_e32 v24, 0, v24, vcc
	v_cmp_nlt_f32_e32 vcc, s59, v21
	v_sub_f32_e32 v21, v237, v230
	v_mul_f32_e32 v25, 0x3fb8aa3b, v21
	v_fma_f32 v236, v21, s41, -v25
	v_rndne_f32_e32 v237, v25
	v_fmac_f32_e32 v236, 0x32a5705f, v21
	v_sub_f32_e32 v25, v25, v237
	v_add_f32_e32 v25, v25, v236
	v_exp_f32_e32 v25, v25
	v_cvt_i32_f32_e32 v236, v237
	v_cndmask_b32_e32 v24, v216, v24, vcc
	v_cmp_ngt_f32_e32 vcc, s58, v21
	v_add_f32_e32 v17, v24, v17
	v_ldexp_f32 v25, v25, v236
	v_cndmask_b32_e32 v25, 0, v25, vcc
	v_cmp_nlt_f32_e32 vcc, s59, v21
	s_add_i32 s6, s6, 64
	s_cmp_lt_i32 s72, s73
	v_cndmask_b32_e32 v21, v216, v25, vcc
	v_sub_f32_e32 v25, v235, v230
	v_mul_f32_e32 v235, 0x3fb8aa3b, v25
	v_fma_f32 v236, v25, s41, -v235
	v_rndne_f32_e32 v237, v235
	v_fmac_f32_e32 v236, 0x32a5705f, v25
	v_sub_f32_e32 v235, v235, v237
	v_add_f32_e32 v235, v235, v236
	v_exp_f32_e32 v235, v235
	v_cvt_i32_f32_e32 v236, v237
	v_cmp_ngt_f32_e32 vcc, s58, v25
	v_add_f32_e32 v17, v21, v17
	v_ldexp_f32 v235, v235, v236
	v_cndmask_b32_e32 v235, 0, v235, vcc
	v_cmp_nlt_f32_e32 vcc, s59, v25
	s_nop 1
	v_cndmask_b32_e32 v25, v216, v235, vcc
	v_mul_f32_e32 v235, 0x3fb8aa3b, v36
	v_fma_f32 v236, v36, s41, -v235
	v_rndne_f32_e32 v237, v235
	v_fmac_f32_e32 v236, 0x32a5705f, v36
	v_sub_f32_e32 v235, v235, v237
	v_add_f32_e32 v235, v235, v236
	v_exp_f32_e32 v235, v235
	v_cvt_i32_f32_e32 v236, v237
	v_cmp_ngt_f32_e32 vcc, s58, v36
	v_add_f32_e32 v17, v25, v17
	v_ldexp_f32 v235, v235, v236
	v_cndmask_b32_e32 v235, 0, v235, vcc
	v_cmp_nlt_f32_e32 vcc, s59, v36
	s_nop 1
	v_cndmask_b32_e32 v36, v216, v235, vcc
	v_mul_f32_e32 v235, 0x3fb8aa3b, v234
	v_fma_f32 v236, v234, s41, -v235
	v_rndne_f32_e32 v237, v235
	v_fmac_f32_e32 v236, 0x32a5705f, v234
	v_sub_f32_e32 v235, v235, v237
	v_add_f32_e32 v235, v235, v236
	v_exp_f32_e32 v235, v235
	v_cvt_i32_f32_e32 v236, v237
	v_cmp_ngt_f32_e32 vcc, s58, v234
	v_add_f32_e32 v17, v36, v17
	v_ldexp_f32 v235, v235, v236
	v_cndmask_b32_e32 v235, 0, v235, vcc
	v_cmp_nlt_f32_e32 vcc, s59, v234
	v_mul_f32_e32 v234, 0x3fb8aa3b, v35
	v_fma_f32 v236, v35, s41, -v234
	v_rndne_f32_e32 v237, v234
	v_fmac_f32_e32 v236, 0x32a5705f, v35
	v_sub_f32_e32 v234, v234, v237
	v_add_f32_e32 v234, v234, v236
	v_exp_f32_e32 v234, v234
	v_cvt_i32_f32_e32 v236, v237
	v_cndmask_b32_e32 v235, v216, v235, vcc
	v_cmp_ngt_f32_e32 vcc, s58, v35
	v_add_f32_e32 v17, v235, v17
	v_ldexp_f32 v234, v234, v236
	v_cndmask_b32_e32 v234, 0, v234, vcc
	v_cmp_nlt_f32_e32 vcc, s59, v35
	v_mul_f32_e32 v35, 0x3fb8aa3b, v34
	v_rndne_f32_e32 v237, v35
	v_cndmask_b32_e32 v236, v216, v234, vcc
	v_fma_f32 v234, v34, s41, -v35
	v_fmac_f32_e32 v234, 0x32a5705f, v34
	v_sub_f32_e32 v35, v35, v237
	v_add_f32_e32 v35, v35, v234
	v_exp_f32_e32 v35, v35
	v_cvt_i32_f32_e32 v234, v237
	v_cmp_ngt_f32_e32 vcc, s58, v34
	v_add_f32_e32 v17, v236, v17
	v_ldexp_f32 v35, v35, v234
	v_cndmask_b32_e32 v35, 0, v35, vcc
	v_cmp_nlt_f32_e32 vcc, s59, v34
	v_mul_f32_e32 v34, 0x3fb8aa3b, v23
	v_rndne_f32_e32 v234, v34
	v_cndmask_b32_e32 v237, v216, v35, vcc
	v_fma_f32 v35, v23, s41, -v34
	v_fmac_f32_e32 v35, 0x32a5705f, v23
	v_sub_f32_e32 v34, v34, v234
	v_add_f32_e32 v34, v34, v35
	v_exp_f32_e32 v34, v34
	v_cvt_i32_f32_e32 v35, v234
	;; [unrolled: 14-line block ×3, first 2 shown]
	v_cmp_ngt_f32_e32 vcc, s58, v22
	v_add_f32_e32 v17, v238, v17
	v_ldexp_f32 v23, v23, v34
	v_cndmask_b32_e32 v23, 0, v23, vcc
	v_cmp_nlt_f32_e32 vcc, s59, v22
	v_sub_f32_e32 v22, v239, v230
	s_nop 0
	v_cndmask_b32_e32 v240, v216, v23, vcc
	v_mul_f32_e32 v23, 0x3fb8aa3b, v22
	v_fma_f32 v34, v22, s41, -v23
	v_rndne_f32_e32 v35, v23
	v_fmac_f32_e32 v34, 0x32a5705f, v22
	v_sub_f32_e32 v23, v23, v35
	v_add_f32_e32 v23, v23, v34
	v_exp_f32_e32 v23, v23
	v_cvt_i32_f32_e32 v34, v35
	v_cmp_ngt_f32_e32 vcc, s58, v22
	v_add_f32_e32 v17, v240, v17
	v_ldexp_f32 v23, v23, v34
	v_cndmask_b32_e32 v23, 0, v23, vcc
	v_cmp_nlt_f32_e32 vcc, s59, v22
	v_sub_f32_e32 v22, v229, v230
	s_nop 0
	v_cndmask_b32_e32 v239, v216, v23, vcc
	v_mul_f32_e32 v23, 0x3fb8aa3b, v22
	v_fma_f32 v34, v22, s41, -v23
	v_rndne_f32_e32 v35, v23
	v_fmac_f32_e32 v34, 0x32a5705f, v22
	v_sub_f32_e32 v23, v23, v35
	v_add_f32_e32 v23, v23, v34
	v_exp_f32_e32 v23, v23
	v_cvt_i32_f32_e32 v34, v35
	;; [unrolled: 16-line block ×3, first 2 shown]
	v_cmp_ngt_f32_e32 vcc, s58, v22
	v_add_f32_e32 v17, v241, v17
	v_ldexp_f32 v23, v23, v34
	v_cndmask_b32_e32 v23, 0, v23, vcc
	v_cmp_nlt_f32_e32 vcc, s59, v22
	v_mul_f32_e32 v22, 0x3fb8aa3b, v16
	v_rndne_f32_e32 v34, v22
	v_cndmask_b32_e32 v242, v216, v23, vcc
	v_fma_f32 v23, v16, s41, -v22
	v_fmac_f32_e32 v23, 0x32a5705f, v16
	v_sub_f32_e32 v22, v22, v34
	v_add_f32_e32 v22, v22, v23
	v_exp_f32_e32 v22, v22
	v_cvt_i32_f32_e32 v23, v34
	v_cmp_ngt_f32_e32 vcc, s58, v16
	v_add_f32_e32 v17, v242, v17
	v_ldexp_f32 v22, v22, v23
	v_cndmask_b32_e32 v22, 0, v22, vcc
	v_cmp_nlt_f32_e32 vcc, s59, v16
	v_sub_f32_e32 v16, v29, v230
	s_nop 0
	v_cndmask_b32_e32 v243, v216, v22, vcc
	v_add_f32_e32 v229, v243, v17
	v_mul_f32_e32 v17, 0x3fb8aa3b, v16
	v_fma_f32 v22, v16, s41, -v17
	v_rndne_f32_e32 v23, v17
	v_fmac_f32_e32 v22, 0x32a5705f, v16
	v_sub_f32_e32 v17, v17, v23
	v_add_f32_e32 v17, v17, v22
	v_exp_f32_e32 v17, v17
	v_cvt_i32_f32_e32 v22, v23
	v_cmp_ngt_f32_e32 vcc, s58, v16
	v_ldexp_f32 v17, v17, v22
	s_nop 0
	v_cndmask_b32_e32 v17, 0, v17, vcc
	v_cmp_nlt_f32_e32 vcc, s59, v16
	s_nop 1
	v_cndmask_b32_e32 v17, v216, v17, vcc
	v_cmp_le_f32_e32 vcc, s62, v16
	s_nop 1
	v_cndmask_b32_e32 v16, 0, v17, vcc
	v_fmac_f32_e32 v229, v28, v16
	v_cvt_f16_f32_e32 v16, v16
	v_mul_u32_u24_e32 v16, 0x10001, v16
	v_pk_mul_f16 v245, v33, v16
	v_pk_mul_f16 v244, v32, v16
	;; [unrolled: 1-line block ×14, first 2 shown]
	v_lshl_add_u64 v[16:17], v[68:69], 2, v[14:15]
	v_lshl_add_u64 v[16:17], v[16:17], 0, v[44:45]
	global_load_dwordx4 v[130:133], v[16:17], off offset:128
	v_lshl_add_u64 v[16:17], v[64:65], 2, v[14:15]
	v_lshl_add_u64 v[14:15], v[62:63], 2, v[14:15]
	v_lshl_add_u64 v[16:17], v[16:17], 0, v[26:27]
	v_lshl_add_u64 v[14:15], v[14:15], 0, v[26:27]
	v_cvt_pk_f16_f32 v135, v36, v235
	v_cvt_pk_f16_f32 v134, v21, v25
	;; [unrolled: 1-line block ×4, first 2 shown]
	v_cvt_f32_f16_e32 v236, v29
	v_cvt_f32_f16_sdwa v237, v29 dst_sel:DWORD dst_unused:UNUSED_PAD src0_sel:WORD_1
	v_cvt_f32_f16_e32 v238, v28
	s_waitcnt vmcnt(0)
	ds_write_b128 v57, v[130:133]
	global_load_dwordx4 v[130:133], v[16:17], off
	s_waitcnt vmcnt(0)
	ds_write_b128 v93, v[130:133]
	global_load_dwordx4 v[14:17], v[14:15], off
	v_cvt_pk_f16_f32 v133, v20, v24
	v_cvt_pk_f16_f32 v132, v18, v19
	;; [unrolled: 1-line block ×4, first 2 shown]
	v_cvt_f32_f16_sdwa v239, v28 dst_sel:DWORD dst_unused:UNUSED_PAD src0_sel:WORD_1
	s_waitcnt vmcnt(0)
	ds_write_b128 v97, v[14:17]
	s_waitcnt lgkmcnt(0)
	s_barrier
	ds_read_u16 v26, v147 offset:240
	v_cvt_f32_f16_e32 v16, v244
	v_cvt_f32_f16_sdwa v17, v244 dst_sel:DWORD dst_unused:UNUSED_PAD src0_sel:WORD_1
	ds_read_u16 v27, v148
	ds_read_u16 v37, v148 offset:32
	ds_read_u16 v44, v149
	ds_read_u16 v244, v149 offset:32
	v_cvt_f32_f16_e32 v14, v245
	v_cvt_f32_f16_sdwa v15, v245 dst_sel:DWORD dst_unused:UNUSED_PAD src0_sel:WORD_1
	s_waitcnt lgkmcnt(1)
	v_perm_b32 v27, v44, v27, s63
	ds_read_u16 v44, v147
	ds_read_u16 v245, v147 offset:32
	ds_read_u16 v18, v147 offset:3840
	;; [unrolled: 1-line block ×5, first 2 shown]
	s_waitcnt lgkmcnt(6)
	v_perm_b32 v25, v244, v37, s63
	s_waitcnt lgkmcnt(5)
	v_perm_b32 v26, v26, v44, s63
	s_waitcnt lgkmcnt(2)
	v_perm_b32 v18, v20, v18, s63
	v_mfma_f32_16x16x16_f16 v[14:17], v[26:27], v[132:133], v[14:17]
	s_waitcnt lgkmcnt(0)
	v_perm_b32 v19, v24, v19, s63
	s_nop 5
	v_cvt_f16_f32_e32 v14, v14
	v_cvt_f16_f32_e32 v15, v15
	;; [unrolled: 1-line block ×4, first 2 shown]
	v_cvt_f32_f16_e32 v14, v14
	v_cvt_f32_f16_e32 v15, v15
	;; [unrolled: 1-line block ×4, first 2 shown]
	s_nop 1
	v_mfma_f32_16x16x16_f16 v[14:17], v[18:19], v[134:135], v[14:17]
	ds_read_u16 v18, v147 offset:7680
	ds_read_u16 v20, v147 offset:7920
	ds_read_u16 v19, v148 offset:7680
	ds_read_u16 v21, v149 offset:7680
	s_nop 3
	v_cvt_f16_f32_e32 v14, v14
	v_cvt_f16_f32_e32 v15, v15
	;; [unrolled: 1-line block ×4, first 2 shown]
	s_waitcnt lgkmcnt(0)
	v_perm_b32 v19, v21, v19, s63
	v_perm_b32 v18, v20, v18, s63
	v_cvt_f32_f16_e32 v14, v14
	v_cvt_f32_f16_e32 v15, v15
	;; [unrolled: 1-line block ×4, first 2 shown]
	s_nop 1
	v_mfma_f32_16x16x16_f16 v[14:17], v[18:19], v[136:137], v[14:17]
	ds_read_u16 v18, v147 offset:11520
	ds_read_u16 v20, v147 offset:11760
	;; [unrolled: 1-line block ×5, first 2 shown]
	s_nop 2
	v_cvt_f16_f32_e32 v14, v14
	v_cvt_f16_f32_e32 v15, v15
	;; [unrolled: 1-line block ×4, first 2 shown]
	s_waitcnt lgkmcnt(1)
	v_perm_b32 v19, v21, v19, s63
	v_perm_b32 v18, v20, v18, s63
	v_cvt_f32_f16_e32 v14, v14
	v_cvt_f32_f16_e32 v15, v15
	;; [unrolled: 1-line block ×4, first 2 shown]
	s_waitcnt lgkmcnt(0)
	v_perm_b32 v24, v24, v245, s63
	v_cvt_f32_f16_e32 v20, v32
	v_mfma_f32_16x16x16_f16 v[14:17], v[18:19], v[130:131], v[14:17]
	v_cvt_f32_f16_e32 v18, v33
	v_cvt_f32_f16_sdwa v19, v33 dst_sel:DWORD dst_unused:UNUSED_PAD src0_sel:WORD_1
	v_cvt_f32_f16_sdwa v21, v32 dst_sel:DWORD dst_unused:UNUSED_PAD src0_sel:WORD_1
	s_nop 1
	v_mfma_f32_16x16x16_f16 v[18:21], v[24:25], v[132:133], v[18:21]
	ds_read_u16 v24, v147 offset:3872
	ds_read_u16 v26, v147 offset:4112
	ds_read_u16 v25, v148 offset:3872
	ds_read_u16 v27, v149 offset:3872
	s_nop 3
	v_cvt_f16_f32_e32 v18, v18
	v_cvt_f16_f32_e32 v19, v19
	;; [unrolled: 1-line block ×4, first 2 shown]
	s_waitcnt lgkmcnt(0)
	v_perm_b32 v25, v27, v25, s63
	v_perm_b32 v24, v26, v24, s63
	v_cvt_f32_f16_e32 v18, v18
	v_cvt_f32_f16_e32 v19, v19
	;; [unrolled: 1-line block ×4, first 2 shown]
	s_nop 1
	v_mfma_f32_16x16x16_f16 v[18:21], v[24:25], v[134:135], v[18:21]
	ds_read_u16 v24, v147 offset:7712
	ds_read_u16 v26, v147 offset:7952
	;; [unrolled: 1-line block ×4, first 2 shown]
	s_nop 3
	v_cvt_f16_f32_e32 v18, v18
	v_cvt_f16_f32_e32 v19, v19
	;; [unrolled: 1-line block ×4, first 2 shown]
	s_waitcnt lgkmcnt(0)
	v_perm_b32 v25, v27, v25, s63
	v_perm_b32 v24, v26, v24, s63
	v_cvt_f32_f16_e32 v18, v18
	v_cvt_f32_f16_e32 v19, v19
	;; [unrolled: 1-line block ×4, first 2 shown]
	s_nop 1
	v_mfma_f32_16x16x16_f16 v[18:21], v[24:25], v[136:137], v[18:21]
	ds_read_u16 v24, v147 offset:11552
	ds_read_u16 v26, v147 offset:11792
	;; [unrolled: 1-line block ×8, first 2 shown]
	v_cvt_f16_f32_e32 v18, v18
	v_cvt_f16_f32_e32 v19, v19
	v_cvt_f16_f32_e32 v20, v20
	v_cvt_f16_f32_e32 v21, v21
	s_waitcnt lgkmcnt(4)
	v_perm_b32 v25, v27, v25, s63
	v_perm_b32 v24, v26, v24, s63
	v_cvt_f32_f16_e32 v18, v18
	v_cvt_f32_f16_e32 v19, v19
	v_cvt_f32_f16_e32 v20, v20
	v_cvt_f32_f16_e32 v21, v21
	v_cvt_f32_f16_e32 v26, v22
	v_cvt_f32_f16_sdwa v27, v22 dst_sel:DWORD dst_unused:UNUSED_PAD src0_sel:WORD_1
	v_mfma_f32_16x16x16_f16 v[18:21], v[24:25], v[130:131], v[18:21]
	v_cvt_f32_f16_e32 v24, v23
	v_cvt_f32_f16_sdwa v25, v23 dst_sel:DWORD dst_unused:UNUSED_PAD src0_sel:WORD_1
	s_waitcnt lgkmcnt(0)
	v_perm_b32 v23, v37, v36, s63
	v_perm_b32 v22, v33, v32, s63
	s_nop 1
	v_mfma_f32_16x16x16_f16 v[22:25], v[22:23], v[132:133], v[24:27]
	s_nop 2
	ds_read_u16 v26, v147 offset:3904
	ds_read_u16 v32, v147 offset:4144
	ds_read_u16 v27, v148 offset:3904
	ds_read_u16 v33, v149 offset:3904
	s_nop 0
	v_cvt_f16_f32_e32 v22, v22
	v_cvt_f16_f32_e32 v23, v23
	v_cvt_f16_f32_e32 v24, v24
	v_cvt_f16_f32_e32 v25, v25
	s_waitcnt lgkmcnt(0)
	v_perm_b32 v27, v33, v27, s63
	v_perm_b32 v26, v32, v26, s63
	v_cvt_f32_f16_e32 v22, v22
	v_cvt_f32_f16_e32 v23, v23
	v_cvt_f32_f16_e32 v24, v24
	v_cvt_f32_f16_e32 v25, v25
	s_nop 1
	v_mfma_f32_16x16x16_f16 v[22:25], v[26:27], v[134:135], v[22:25]
	ds_read_u16 v26, v147 offset:7744
	ds_read_u16 v32, v147 offset:7984
	ds_read_u16 v27, v148 offset:7744
	ds_read_u16 v33, v149 offset:7744
	s_nop 3
	v_cvt_f16_f32_e32 v22, v22
	v_cvt_f16_f32_e32 v23, v23
	v_cvt_f16_f32_e32 v24, v24
	v_cvt_f16_f32_e32 v25, v25
	s_waitcnt lgkmcnt(0)
	v_perm_b32 v27, v33, v27, s63
	v_perm_b32 v26, v32, v26, s63
	v_cvt_f32_f16_e32 v22, v22
	v_cvt_f32_f16_e32 v23, v23
	v_cvt_f32_f16_e32 v24, v24
	v_cvt_f32_f16_e32 v25, v25
	s_nop 1
	v_mfma_f32_16x16x16_f16 v[22:25], v[26:27], v[136:137], v[22:25]
	;; [unrolled: 18-line block ×3, first 2 shown]
	ds_read_u16 v26, v147 offset:96
	ds_read_u16 v32, v147 offset:336
	;; [unrolled: 1-line block ×4, first 2 shown]
	s_waitcnt lgkmcnt(2)
	v_perm_b32 v26, v32, v26, s63
	s_waitcnt lgkmcnt(0)
	v_perm_b32 v27, v33, v27, s63
	ds_read_u16 v32, v147 offset:3936
	ds_read_u16 v36, v147 offset:4176
	;; [unrolled: 1-line block ×4, first 2 shown]
	v_mfma_f32_16x16x16_f16 v[26:29], v[26:27], v[132:133], v[236:239]
	s_waitcnt lgkmcnt(0)
	v_perm_b32 v33, v37, v33, s63
	v_perm_b32 v32, v36, v32, s63
	v_cvt_f32_f16_e32 v236, v31
	s_nop 3
	v_cvt_f16_f32_e32 v26, v26
	v_cvt_f16_f32_e32 v27, v27
	;; [unrolled: 1-line block ×4, first 2 shown]
	v_cvt_f32_f16_e32 v26, v26
	v_cvt_f32_f16_e32 v27, v27
	;; [unrolled: 1-line block ×4, first 2 shown]
	v_cvt_f32_f16_sdwa v237, v31 dst_sel:DWORD dst_unused:UNUSED_PAD src0_sel:WORD_1
	v_cvt_f32_f16_e32 v238, v30
	v_mfma_f32_16x16x16_f16 v[26:29], v[32:33], v[134:135], v[26:29]
	ds_read_u16 v32, v147 offset:7776
	ds_read_u16 v36, v147 offset:8016
	ds_read_u16 v33, v148 offset:7776
	ds_read_u16 v37, v149 offset:7776
	v_cvt_f32_f16_sdwa v239, v30 dst_sel:DWORD dst_unused:UNUSED_PAD src0_sel:WORD_1
	s_nop 2
	v_cvt_f16_f32_e32 v26, v26
	v_cvt_f16_f32_e32 v27, v27
	;; [unrolled: 1-line block ×4, first 2 shown]
	s_waitcnt lgkmcnt(0)
	v_perm_b32 v33, v37, v33, s63
	v_perm_b32 v32, v36, v32, s63
	v_cvt_f32_f16_e32 v26, v26
	v_cvt_f32_f16_e32 v27, v27
	v_cvt_f32_f16_e32 v28, v28
	v_cvt_f32_f16_e32 v29, v29
	s_nop 1
	v_mfma_f32_16x16x16_f16 v[26:29], v[32:33], v[136:137], v[26:29]
	ds_read_u16 v32, v147 offset:11616
	ds_read_u16 v36, v147 offset:11856
	;; [unrolled: 1-line block ×4, first 2 shown]
	s_nop 3
	v_cvt_f16_f32_e32 v26, v26
	v_cvt_f16_f32_e32 v27, v27
	;; [unrolled: 1-line block ×4, first 2 shown]
	s_waitcnt lgkmcnt(0)
	v_perm_b32 v33, v37, v33, s63
	v_perm_b32 v32, v36, v32, s63
	v_cvt_f32_f16_e32 v26, v26
	v_cvt_f32_f16_e32 v27, v27
	;; [unrolled: 1-line block ×4, first 2 shown]
	s_nop 1
	v_mfma_f32_16x16x16_f16 v[26:29], v[32:33], v[130:131], v[26:29]
	ds_read_u16 v32, v147 offset:128
	ds_read_u16 v33, v147 offset:368
	;; [unrolled: 1-line block ×4, first 2 shown]
	s_waitcnt lgkmcnt(2)
	v_perm_b32 v30, v33, v32, s63
	s_waitcnt lgkmcnt(0)
	v_perm_b32 v31, v37, v36, s63
	ds_read_u16 v36, v147 offset:3968
	ds_read_u16 v44, v147 offset:4208
	;; [unrolled: 1-line block ×4, first 2 shown]
	v_mfma_f32_16x16x16_f16 v[30:33], v[30:31], v[132:133], v[236:239]
	s_waitcnt lgkmcnt(0)
	v_perm_b32 v37, v235, v37, s63
	v_perm_b32 v36, v44, v36, s63
	v_cvt_f32_f16_e32 v236, v35
	s_nop 3
	v_cvt_f16_f32_e32 v30, v30
	v_cvt_f16_f32_e32 v31, v31
	;; [unrolled: 1-line block ×4, first 2 shown]
	v_cvt_f32_f16_e32 v30, v30
	v_cvt_f32_f16_e32 v31, v31
	;; [unrolled: 1-line block ×4, first 2 shown]
	v_cvt_f32_f16_sdwa v237, v35 dst_sel:DWORD dst_unused:UNUSED_PAD src0_sel:WORD_1
	v_cvt_f32_f16_e32 v238, v34
	v_mfma_f32_16x16x16_f16 v[30:33], v[36:37], v[134:135], v[30:33]
	ds_read_u16 v36, v147 offset:7808
	ds_read_u16 v44, v147 offset:8048
	ds_read_u16 v37, v148 offset:7808
	ds_read_u16 v235, v149 offset:7808
	v_cvt_f32_f16_sdwa v239, v34 dst_sel:DWORD dst_unused:UNUSED_PAD src0_sel:WORD_1
	s_nop 2
	v_cvt_f16_f32_e32 v30, v30
	v_cvt_f16_f32_e32 v31, v31
	;; [unrolled: 1-line block ×4, first 2 shown]
	s_waitcnt lgkmcnt(0)
	v_perm_b32 v37, v235, v37, s63
	v_perm_b32 v36, v44, v36, s63
	v_cvt_f32_f16_e32 v30, v30
	v_cvt_f32_f16_e32 v31, v31
	;; [unrolled: 1-line block ×4, first 2 shown]
	s_nop 1
	v_mfma_f32_16x16x16_f16 v[30:33], v[36:37], v[136:137], v[30:33]
	ds_read_u16 v36, v147 offset:11648
	ds_read_u16 v44, v147 offset:11888
	;; [unrolled: 1-line block ×4, first 2 shown]
	s_nop 3
	v_cvt_f16_f32_e32 v30, v30
	v_cvt_f16_f32_e32 v31, v31
	;; [unrolled: 1-line block ×4, first 2 shown]
	s_waitcnt lgkmcnt(0)
	v_perm_b32 v37, v235, v37, s63
	v_perm_b32 v36, v44, v36, s63
	v_cvt_f32_f16_e32 v30, v30
	v_cvt_f32_f16_e32 v31, v31
	;; [unrolled: 1-line block ×4, first 2 shown]
	s_nop 1
	v_mfma_f32_16x16x16_f16 v[30:33], v[36:37], v[130:131], v[30:33]
	ds_read_u16 v36, v147 offset:160
	ds_read_u16 v37, v147 offset:400
	;; [unrolled: 1-line block ×4, first 2 shown]
	s_waitcnt lgkmcnt(2)
	v_perm_b32 v34, v37, v36, s63
	s_waitcnt lgkmcnt(0)
	v_perm_b32 v35, v235, v44, s63
	s_nop 1
	v_mfma_f32_16x16x16_f16 v[34:37], v[34:35], v[132:133], v[236:239]
	ds_read_u16 v44, v147 offset:4000
	ds_read_u16 v235, v147 offset:4240
	s_nop 0
	ds_read_u16 v236, v148 offset:4000
	ds_read_u16 v237, v149 offset:4000
	v_cvt_f32_f16_e32 v238, v233
	v_cvt_f32_f16_sdwa v239, v233 dst_sel:DWORD dst_unused:UNUSED_PAD src0_sel:WORD_1
	s_nop 0
	v_cvt_f16_f32_e32 v34, v34
	v_cvt_f16_f32_e32 v35, v35
	;; [unrolled: 1-line block ×4, first 2 shown]
	s_waitcnt lgkmcnt(0)
	v_perm_b32 v237, v237, v236, s63
	v_perm_b32 v236, v235, v44, s63
	v_cvt_f32_f16_e32 v34, v34
	v_cvt_f32_f16_e32 v35, v35
	;; [unrolled: 1-line block ×4, first 2 shown]
	s_nop 1
	v_mfma_f32_16x16x16_f16 v[34:37], v[236:237], v[134:135], v[34:37]
	ds_read_u16 v44, v147 offset:7840
	ds_read_u16 v235, v147 offset:8080
	;; [unrolled: 1-line block ×4, first 2 shown]
	s_nop 3
	v_cvt_f16_f32_e32 v34, v34
	v_cvt_f16_f32_e32 v35, v35
	;; [unrolled: 1-line block ×4, first 2 shown]
	s_waitcnt lgkmcnt(0)
	v_perm_b32 v237, v237, v236, s63
	v_perm_b32 v236, v235, v44, s63
	v_cvt_f32_f16_e32 v34, v34
	v_cvt_f32_f16_e32 v35, v35
	;; [unrolled: 1-line block ×4, first 2 shown]
	s_nop 1
	v_mfma_f32_16x16x16_f16 v[34:37], v[236:237], v[136:137], v[34:37]
	ds_read_u16 v44, v147 offset:11680
	ds_read_u16 v235, v147 offset:11920
	;; [unrolled: 1-line block ×4, first 2 shown]
	s_nop 3
	v_cvt_f16_f32_e32 v34, v34
	v_cvt_f16_f32_e32 v35, v35
	;; [unrolled: 1-line block ×4, first 2 shown]
	s_waitcnt lgkmcnt(0)
	v_perm_b32 v237, v237, v236, s63
	v_perm_b32 v236, v235, v44, s63
	ds_read_u16 v44, v147 offset:192
	ds_read_u16 v240, v147 offset:432
	ds_read_u16 v235, v148 offset:192
	ds_read_u16 v241, v149 offset:192
	v_cvt_f32_f16_e32 v34, v34
	v_cvt_f32_f16_e32 v35, v35
	;; [unrolled: 1-line block ×4, first 2 shown]
	s_waitcnt lgkmcnt(0)
	v_perm_b32 v235, v241, v235, s63
	v_mfma_f32_16x16x16_f16 v[34:37], v[236:237], v[130:131], v[34:37]
	v_cvt_f32_f16_e32 v236, v234
	v_cvt_f32_f16_sdwa v237, v234 dst_sel:DWORD dst_unused:UNUSED_PAD src0_sel:WORD_1
	v_perm_b32 v234, v240, v44, s63
	s_nop 1
	v_mfma_f32_16x16x16_f16 v[234:237], v[234:235], v[132:133], v[236:239]
	s_nop 2
	ds_read_u16 v238, v147 offset:4032
	ds_read_u16 v239, v147 offset:4272
	;; [unrolled: 1-line block ×4, first 2 shown]
	s_nop 0
	v_cvt_f16_f32_e32 v132, v235
	v_cvt_f16_f32_e32 v133, v236
	;; [unrolled: 1-line block ×4, first 2 shown]
	v_cvt_f32_f16_e32 v235, v132
	v_cvt_f32_f16_e32 v236, v133
	s_waitcnt lgkmcnt(0)
	v_perm_b32 v133, v241, v240, s63
	v_perm_b32 v132, v239, v238, s63
	v_cvt_f32_f16_e32 v234, v44
	v_cvt_f32_f16_e32 v237, v233
	s_nop 1
	v_mfma_f32_16x16x16_f16 v[132:135], v[132:133], v[134:135], v[234:237]
	ds_read_u16 v233, v147 offset:7872
	s_nop 1
	ds_read_u16 v234, v147 offset:8112
	ds_read_u16 v235, v148 offset:7872
	;; [unrolled: 1-line block ×3, first 2 shown]
	s_nop 1
	v_cvt_f16_f32_e32 v44, v132
	v_cvt_f16_f32_e32 v133, v133
	v_cvt_f16_f32_e32 v134, v134
	v_cvt_f16_f32_e32 v135, v135
	s_waitcnt lgkmcnt(0)
	v_perm_b32 v235, v236, v235, s63
	v_perm_b32 v234, v234, v233, s63
	v_cvt_f32_f16_e32 v132, v44
	v_cvt_f32_f16_e32 v133, v133
	;; [unrolled: 1-line block ×4, first 2 shown]
	s_nop 1
	v_mfma_f32_16x16x16_f16 v[134:137], v[234:235], v[136:137], v[132:135]
	s_nop 7
	v_cvt_f16_f32_e32 v133, v134
	v_cvt_f16_f32_e32 v134, v135
	;; [unrolled: 1-line block ×4, first 2 shown]
	ds_read_u16 v44, v147 offset:11712
	ds_read_u16 v132, v147 offset:11952
	;; [unrolled: 1-line block ×4, first 2 shown]
	v_cvt_f32_f16_e32 v234, v133
	v_cvt_f32_f16_e32 v235, v134
	s_waitcnt lgkmcnt(2)
	v_perm_b32 v132, v132, v44, s63
	v_cvt_f32_f16_e32 v236, v135
	s_waitcnt lgkmcnt(0)
	v_perm_b32 v133, v233, v137, s63
	v_cvt_f32_f16_e32 v237, v136
	v_cvt_pk_f16_f32 v134, v30, v31
	v_cvt_pk_f16_f32 v136, v26, v27
	v_mfma_f32_16x16x16_f16 v[234:237], v[132:133], v[130:131], v[234:237]
	v_cvt_pk_f16_f32 v131, v34, v35
	v_cvt_pk_f16_f32 v132, v36, v37
	;; [unrolled: 1-line block ×12, first 2 shown]
	s_barrier
	s_cbranch_scc0 .LBB19_83
; %bb.80:                               ;   in Loop: Header=BB19_75 Depth=2
	v_mov_b32_e32 v28, v229
	v_mov_b32_e32 v29, v230
	s_branch .LBB19_75
.LBB19_81:                              ;   in Loop: Header=BB19_14 Depth=1
	s_mov_b64 s[8:9], 0
                                        ; implicit-def: $vgpr2_vgpr3
                                        ; implicit-def: $vgpr101
	s_cbranch_execnz .LBB19_155
	s_branch .LBB19_292
.LBB19_82:                              ;   in Loop: Header=BB19_14 Depth=1
	v_mov_b32_e32 v230, 0xfeffffff
	v_mov_b32_e32 v229, 0
	;; [unrolled: 1-line block ×16, first 2 shown]
.LBB19_83:                              ;   in Loop: Header=BB19_14 Depth=1
	s_lshl_b32 s6, s72, 6
	s_ashr_i32 s7, s6, 31
	s_lshl_b64 s[4:5], s[6:7], 1
	v_lshl_add_u64 v[14:15], v[110:111], 0, s[4:5]
	v_lshl_add_u64 v[14:15], v[126:127], 1, v[14:15]
	v_lshlrev_b32_e32 v44, 1, v42
	v_lshl_add_u64 v[14:15], v[14:15], 0, v[44:45]
	global_load_dword v14, v[14:15], off
	s_mul_hi_i32 s5, s34, s6
	s_mul_i32 s4, s34, s6
	s_lshl_b64 s[4:5], s[4:5], 2
	v_lshl_add_u64 v[16:17], v[108:109], 0, s[4:5]
	s_waitcnt vmcnt(0)
	ds_write_b32 v51, v14 offset:15360
	s_and_saveexec_b64 s[8:9], s[0:1]
	s_cbranch_execz .LBB19_85
; %bb.84:                               ;   in Loop: Header=BB19_14 Depth=1
	v_lshl_add_u64 v[14:15], v[58:59], 2, v[16:17]
	v_lshlrev_b32_e32 v44, 2, v56
	v_lshl_add_u64 v[14:15], v[14:15], 0, v[44:45]
	global_load_dwordx4 v[18:21], v[14:15], off offset:192
	s_waitcnt vmcnt(0)
	ds_write_b128 v144, v[18:21]
.LBB19_85:                              ;   in Loop: Header=BB19_14 Depth=1
	s_or_b64 exec, exec, s[8:9]
	v_lshl_add_u64 v[14:15], v[46:47], 2, v[16:17]
	v_lshlrev_b32_e32 v44, 2, v48
	v_lshl_add_u64 v[18:19], v[14:15], 0, v[44:45]
	v_lshl_add_u64 v[20:21], v[52:53], 2, v[16:17]
	v_lshlrev_b32_e32 v14, 2, v50
	v_mov_b32_e32 v15, v45
	v_lshl_add_u64 v[16:17], v[54:55], 2, v[16:17]
	v_lshl_add_u64 v[20:21], v[20:21], 0, v[14:15]
	;; [unrolled: 1-line block ×3, first 2 shown]
	global_load_dwordx4 v[16:19], v[18:19], off offset:128
	s_nop 0
	global_load_dwordx4 v[20:23], v[20:21], off
	s_nop 0
	global_load_dwordx4 v[24:27], v[24:25], off
	v_add_u32_e32 v28, 0x800, v204
	v_add_u32_e32 v29, 0x1800, v204
	v_add_u32_e32 v34, 0x2800, v204
	v_add_u32_e32 v36, 0x3c00, v205
	v_add_u32_e32 v231, 0x3c00, v206
	v_add_u32_e32 v232, 0x3c00, v207
	s_mul_hi_i32 s5, s6, s30
	s_mul_i32 s4, s6, s30
	s_lshl_b64 s[4:5], s[4:5], 2
	s_waitcnt vmcnt(2)
	ds_write_b128 v57, v[16:19]
	s_waitcnt vmcnt(1)
	ds_write_b128 v93, v[20:23]
	;; [unrolled: 2-line block ×3, first 2 shown]
	s_waitcnt lgkmcnt(0)
	s_barrier
	ds_read2_b64 v[16:19], v204 offset1:4
	ds_read2_b64 v[24:27], v28 offset0:224 offset1:228
	ds_read2_b64 v[234:237], v29 offset0:192 offset1:196
	;; [unrolled: 1-line block ×3, first 2 shown]
	s_waitcnt lgkmcnt(3)
	v_mfma_f32_16x16x16_f16 v[20:23], v[16:17], v[10:11], 0
	s_waitcnt lgkmcnt(2)
	v_mfma_f32_16x16x16_f16 v[126:129], v[24:25], v[10:11], 0
	;; [unrolled: 2-line block ×4, first 2 shown]
	v_mfma_f32_16x16x16_f16 v[16:19], v[18:19], v[12:13], v[20:23]
	v_mfma_f32_16x16x16_f16 v[20:23], v[26:27], v[12:13], v[126:129]
	s_nop 2
	ds_read2_b64 v[126:129], v204 offset0:8 offset1:12
	v_mfma_f32_16x16x16_f16 v[24:27], v[236:237], v[12:13], v[238:241]
	ds_read2_b64 v[234:237], v28 offset0:232 offset1:236
	v_mfma_f32_16x16x16_f16 v[10:13], v[244:245], v[12:13], v[246:249]
	s_nop 0
	ds_read2_b64 v[238:241], v29 offset0:200 offset1:204
	ds_read2_b64 v[242:245], v34 offset0:168 offset1:172
	s_waitcnt lgkmcnt(3)
	v_mfma_f32_16x16x16_f16 v[16:19], v[126:127], v[6:7], v[16:19]
	s_waitcnt lgkmcnt(2)
	v_mfma_f32_16x16x16_f16 v[20:23], v[234:235], v[6:7], v[20:23]
	;; [unrolled: 2-line block ×4, first 2 shown]
	v_mfma_f32_16x16x16_f16 v[16:19], v[128:129], v[8:9], v[16:19]
	ds_read2_b64 v[126:129], v204 offset0:16 offset1:20
	v_mfma_f32_16x16x16_f16 v[20:23], v[236:237], v[8:9], v[20:23]
	ds_read2_b64 v[234:237], v29 offset0:208 offset1:212
	;; [unrolled: 2-line block ×3, first 2 shown]
	v_mfma_f32_16x16x16_f16 v[6:9], v[244:245], v[8:9], v[10:13]
	s_nop 2
	ds_read2_b64 v[10:13], v28 offset0:240 offset1:244
	s_waitcnt lgkmcnt(3)
	v_mfma_f32_16x16x16_f16 v[16:19], v[126:127], v[2:3], v[16:19]
	s_waitcnt lgkmcnt(0)
	v_mfma_f32_16x16x16_f16 v[20:23], v[10:11], v[2:3], v[20:23]
	v_mfma_f32_16x16x16_f16 v[24:27], v[234:235], v[2:3], v[24:27]
	ds_read_b64 v[28:29], v204 offset:192
	ds_read_b64 v[34:35], v204 offset:4032
	;; [unrolled: 1-line block ×4, first 2 shown]
	s_waitcnt lgkmcnt(0)
	s_barrier
	v_mfma_f32_16x16x16_f16 v[6:9], v[238:239], v[2:3], v[6:9]
	v_mfma_f32_16x16x16_f16 v[16:19], v[128:129], v[4:5], v[16:19]
	ds_read_b32 v2, v145 offset:15360
	ds_read_b32 v3, v146 offset:15360
	ds_read2_b32 v[128:129], v36 offset1:1
	ds_read2_b32 v[238:239], v231 offset1:1
	;; [unrolled: 1-line block ×3, first 2 shown]
	s_waitcnt lgkmcnt(4)
	v_cvt_f32_f16_e32 v36, v2
	v_cvt_f32_f16_sdwa v231, v2 dst_sel:DWORD dst_unused:UNUSED_PAD src0_sel:WORD_1
	v_mfma_f32_16x16x16_f16 v[10:13], v[12:13], v[4:5], v[20:23]
	s_waitcnt lgkmcnt(3)
	v_cvt_f32_f16_e32 v232, v3
	v_cvt_f32_f16_sdwa v244, v3 dst_sel:DWORD dst_unused:UNUSED_PAD src0_sel:WORD_1
	s_waitcnt lgkmcnt(2)
	v_cvt_f32_f16_e32 v245, v129
	v_mfma_f32_16x16x16_f16 v[20:23], v[236:237], v[4:5], v[24:27]
	v_mfma_f32_16x16x16_f16 v[2:5], v[240:241], v[4:5], v[6:9]
	v_cvt_f32_f16_e32 v240, v128
	v_cvt_f32_f16_sdwa v241, v128 dst_sel:DWORD dst_unused:UNUSED_PAD src0_sel:WORD_1
	v_mfma_f32_16x16x16_f16 v[6:9], v[28:29], v[124:125], v[16:19]
	v_cvt_f32_f16_sdwa v28, v129 dst_sel:DWORD dst_unused:UNUSED_PAD src0_sel:WORD_1
	s_waitcnt lgkmcnt(1)
	v_cvt_f32_f16_e32 v29, v238
	v_cvt_f32_f16_sdwa v238, v238 dst_sel:DWORD dst_unused:UNUSED_PAD src0_sel:WORD_1
	v_mfma_f32_16x16x16_f16 v[24:27], v[34:35], v[124:125], v[10:13]
	v_cvt_f32_f16_e32 v34, v239
	s_nop 1
	v_add_f32_e32 v18, v7, v231
	v_cvt_f32_f16_sdwa v35, v239 dst_sel:DWORD dst_unused:UNUSED_PAD src0_sel:WORD_1
	v_mfma_f32_16x16x16_f16 v[126:129], v[126:127], v[124:125], v[20:23]
	v_add_f32_e32 v19, v8, v232
	s_waitcnt lgkmcnt(0)
	v_cvt_f32_f16_e32 v239, v242
	v_add_f32_e32 v17, v24, v240
	v_cvt_f32_f16_sdwa v22, v242 dst_sel:DWORD dst_unused:UNUSED_PAD src0_sel:WORD_1
	v_cvt_f32_f16_e32 v23, v243
	v_mfma_f32_16x16x16_f16 v[234:237], v[234:235], v[124:125], v[2:5]
	v_add_f32_e32 v21, v6, v36
	v_add_f32_e32 v20, v9, v244
	;; [unrolled: 1-line block ×5, first 2 shown]
	s_nop 2
	v_add_f32_e32 v6, v235, v22
	v_add_f32_e32 v5, v236, v23
	;; [unrolled: 1-line block ×4, first 2 shown]
	v_max3_f32 v2, v230, v2, v3
	v_cvt_f32_f16_sdwa v242, v243 dst_sel:DWORD dst_unused:UNUSED_PAD src0_sel:WORD_1
	v_add_f32_e32 v13, v26, v245
	v_add_f32_e32 v12, v27, v28
	v_add_f32_e32 v24, 0x40051340, v17
	v_add_f32_e32 v25, 0x40051340, v16
	v_max3_f32 v2, v2, v22, v23
	v_add_f32_e32 v11, v126, v29
	v_add_f32_e32 v10, v127, v238
	v_add_f32_e32 v26, 0x40051340, v13
	v_add_f32_e32 v27, 0x40051340, v12
	v_max3_f32 v2, v2, v24, v25
	;; [unrolled: 5-line block ×3, first 2 shown]
	v_add_f32_e32 v7, v234, v239
	v_add_f32_e32 v34, 0x40051340, v9
	;; [unrolled: 1-line block ×3, first 2 shown]
	v_max3_f32 v2, v2, v28, v29
	v_add_f32_e32 v4, v237, v242
	v_add_f32_e32 v36, 0x40051340, v7
	v_max3_f32 v2, v2, v34, v35
	v_add_f32_e32 v3, 0x40051340, v6
	v_max3_f32 v2, v2, v36, v3
	v_add_f32_e32 v3, 0x40051340, v5
	v_add_f32_e32 v22, 0x40051340, v4
	v_max3_f32 v2, v2, v3, v22
	v_and_b32_e32 v3, 64, v215
	v_add_u32_e32 v3, 64, v3
	v_xor_b32_e32 v22, 32, v215
	v_cmp_lt_i32_e32 vcc, v22, v3
	s_nop 1
	v_cndmask_b32_e32 v22, v215, v22, vcc
	v_lshlrev_b32_e32 v36, 2, v22
	ds_bpermute_b32 v22, v36, v2
	s_waitcnt lgkmcnt(0)
	v_max_f32_e32 v22, v22, v22
	v_max_f32_e32 v22, v2, v22
	v_xor_b32_e32 v2, 16, v215
	v_cmp_lt_i32_e32 vcc, v2, v3
	s_nop 1
	v_cndmask_b32_e32 v2, v215, v2, vcc
	v_lshlrev_b32_e32 v29, 2, v2
	ds_bpermute_b32 v23, v29, v22
	v_lshl_add_u64 v[2:3], v[106:107], 0, s[4:5]
	s_and_saveexec_b64 s[6:7], s[0:1]
	s_cbranch_execz .LBB19_87
; %bb.86:                               ;   in Loop: Header=BB19_14 Depth=1
	v_lshl_add_u64 v[24:25], v[60:61], 2, v[2:3]
	v_lshlrev_b32_e32 v26, 2, v56
	v_mov_b32_e32 v27, v45
	v_lshl_add_u64 v[24:25], v[24:25], 0, v[26:27]
	global_load_dwordx4 v[24:27], v[24:25], off offset:192
	s_waitcnt vmcnt(0)
	ds_write_b128 v144, v[24:27]
.LBB19_87:                              ;   in Loop: Header=BB19_14 Depth=1
	s_or_b64 exec, exec, s[6:7]
	s_waitcnt lgkmcnt(0)
	v_max_f32_e32 v23, v23, v23
	v_max_f32_e32 v22, v22, v22
	;; [unrolled: 1-line block ×3, first 2 shown]
	v_sub_f32_e32 v21, v21, v28
	v_mul_f32_e32 v22, 0x3fb8aa3b, v21
	v_fma_f32 v23, v21, s41, -v22
	v_rndne_f32_e32 v24, v22
	v_fmac_f32_e32 v23, 0x32a5705f, v21
	v_sub_f32_e32 v22, v22, v24
	v_add_f32_e32 v22, v22, v23
	v_exp_f32_e32 v22, v22
	v_cvt_i32_f32_e32 v23, v24
	v_cmp_ngt_f32_e32 vcc, s58, v21
	v_sub_f32_e32 v17, v17, v28
	v_sub_f32_e32 v16, v16, v28
	v_ldexp_f32 v22, v22, v23
	v_sub_f32_e32 v23, v18, v28
	v_mul_f32_e32 v18, 0x3fb8aa3b, v23
	v_fma_f32 v24, v23, s41, -v18
	v_rndne_f32_e32 v25, v18
	v_fmac_f32_e32 v24, 0x32a5705f, v23
	v_sub_f32_e32 v18, v18, v25
	v_add_f32_e32 v18, v18, v24
	v_exp_f32_e32 v24, v18
	v_cvt_i32_f32_e32 v25, v25
	v_cndmask_b32_e32 v18, 0, v22, vcc
	v_sub_f32_e32 v22, v19, v28
	v_mul_f32_e32 v19, 0x3fb8aa3b, v22
	v_cmp_nlt_f32_e32 vcc, s59, v21
	v_ldexp_f32 v21, v24, v25
	v_fma_f32 v24, v22, s41, -v19
	v_rndne_f32_e32 v25, v19
	v_fmac_f32_e32 v24, 0x32a5705f, v22
	v_sub_f32_e32 v19, v19, v25
	v_add_f32_e32 v19, v19, v24
	v_exp_f32_e32 v24, v19
	v_cvt_i32_f32_e32 v25, v25
	v_cndmask_b32_e32 v18, v216, v18, vcc
	v_cmp_ngt_f32_e32 vcc, s58, v23
	v_sub_f32_e32 v13, v13, v28
	v_sub_f32_e32 v12, v12, v28
	v_cndmask_b32_e32 v19, 0, v21, vcc
	v_cmp_nlt_f32_e32 vcc, s59, v23
	v_sub_f32_e32 v23, v20, v28
	v_mul_f32_e32 v20, 0x3fb8aa3b, v23
	v_ldexp_f32 v21, v24, v25
	v_fma_f32 v24, v23, s41, -v20
	v_rndne_f32_e32 v25, v20
	v_fmac_f32_e32 v24, 0x32a5705f, v23
	v_sub_f32_e32 v20, v20, v25
	v_add_f32_e32 v20, v20, v24
	v_exp_f32_e32 v24, v20
	v_cvt_i32_f32_e32 v25, v25
	v_cndmask_b32_e32 v19, v216, v19, vcc
	v_cmp_ngt_f32_e32 vcc, s58, v22
	v_sub_f32_e32 v11, v11, v28
	v_sub_f32_e32 v10, v10, v28
	v_cndmask_b32_e32 v20, 0, v21, vcc
	v_cmp_nlt_f32_e32 vcc, s59, v22
	v_mul_f32_e32 v22, 0x3fb8aa3b, v17
	v_ldexp_f32 v21, v24, v25
	v_fma_f32 v24, v17, s41, -v22
	v_rndne_f32_e32 v25, v22
	v_fmac_f32_e32 v24, 0x32a5705f, v17
	v_sub_f32_e32 v22, v22, v25
	v_add_f32_e32 v22, v22, v24
	v_exp_f32_e32 v22, v22
	v_cvt_i32_f32_e32 v24, v25
	v_cndmask_b32_e32 v20, v216, v20, vcc
	v_cmp_ngt_f32_e32 vcc, s58, v23
	v_sub_f32_e32 v9, v9, v28
	v_ldexp_f32 v22, v22, v24
	v_cndmask_b32_e32 v21, 0, v21, vcc
	v_cmp_nlt_f32_e32 vcc, s59, v23
	v_mul_f32_e32 v23, 0x3fb8aa3b, v16
	v_fma_f32 v24, v16, s41, -v23
	v_rndne_f32_e32 v25, v23
	v_fmac_f32_e32 v24, 0x32a5705f, v16
	v_sub_f32_e32 v23, v23, v25
	v_add_f32_e32 v23, v23, v24
	v_exp_f32_e32 v23, v23
	v_cvt_i32_f32_e32 v24, v25
	v_cndmask_b32_e32 v21, v216, v21, vcc
	v_cmp_ngt_f32_e32 vcc, s58, v17
	v_sub_f32_e32 v7, v7, v28
	v_mul_f32_e32 v26, 0x3fb8aa3b, v7
	v_cndmask_b32_e32 v22, 0, v22, vcc
	v_cmp_nlt_f32_e32 vcc, s59, v17
	v_ldexp_f32 v17, v23, v24
	v_mul_f32_e32 v23, 0x3fb8aa3b, v13
	v_fma_f32 v24, v13, s41, -v23
	v_rndne_f32_e32 v25, v23
	v_fmac_f32_e32 v24, 0x32a5705f, v13
	v_sub_f32_e32 v23, v23, v25
	v_add_f32_e32 v23, v23, v24
	v_exp_f32_e32 v24, v23
	v_cvt_i32_f32_e32 v25, v25
	v_cndmask_b32_e32 v22, v216, v22, vcc
	v_cmp_ngt_f32_e32 vcc, s58, v16
	v_fma_f32 v27, v7, s41, -v26
	v_fmac_f32_e32 v27, 0x32a5705f, v7
	v_cndmask_b32_e32 v17, 0, v17, vcc
	v_cmp_nlt_f32_e32 vcc, s59, v16
	v_ldexp_f32 v16, v24, v25
	v_sub_f32_e32 v5, v5, v28
	v_cndmask_b32_e32 v23, v216, v17, vcc
	v_mul_f32_e32 v17, 0x3fb8aa3b, v12
	v_fma_f32 v24, v12, s41, -v17
	v_rndne_f32_e32 v25, v17
	v_fmac_f32_e32 v24, 0x32a5705f, v12
	v_sub_f32_e32 v17, v17, v25
	v_add_f32_e32 v17, v17, v24
	v_exp_f32_e32 v17, v17
	v_cvt_i32_f32_e32 v25, v25
	v_cmp_ngt_f32_e32 vcc, s58, v13
	v_cvt_pk_f16_f32 v34, v22, v23
	s_nop 0
	v_cndmask_b32_e32 v16, 0, v16, vcc
	v_cmp_nlt_f32_e32 vcc, s59, v13
	v_ldexp_f32 v13, v17, v25
	s_nop 0
	v_cndmask_b32_e32 v24, v216, v16, vcc
	v_mul_f32_e32 v16, 0x3fb8aa3b, v11
	v_fma_f32 v17, v11, s41, -v16
	v_rndne_f32_e32 v25, v16
	v_fmac_f32_e32 v17, 0x32a5705f, v11
	v_sub_f32_e32 v16, v16, v25
	v_add_f32_e32 v16, v16, v17
	v_exp_f32_e32 v16, v16
	v_cvt_i32_f32_e32 v17, v25
	v_cmp_ngt_f32_e32 vcc, s58, v12
	s_nop 1
	v_cndmask_b32_e32 v13, 0, v13, vcc
	v_cmp_nlt_f32_e32 vcc, s59, v12
	v_ldexp_f32 v12, v16, v17
	s_nop 0
	v_cndmask_b32_e32 v25, v216, v13, vcc
	v_mul_f32_e32 v13, 0x3fb8aa3b, v10
	v_fma_f32 v16, v10, s41, -v13
	v_rndne_f32_e32 v17, v13
	v_fmac_f32_e32 v16, 0x32a5705f, v10
	v_sub_f32_e32 v13, v13, v17
	v_add_f32_e32 v13, v13, v16
	v_exp_f32_e32 v13, v13
	v_cvt_i32_f32_e32 v16, v17
	v_cmp_ngt_f32_e32 vcc, s58, v11
	v_cvt_pk_f16_f32 v35, v24, v25
	s_nop 0
	v_cndmask_b32_e32 v12, 0, v12, vcc
	v_cmp_nlt_f32_e32 vcc, s59, v11
	v_ldexp_f32 v11, v13, v16
	s_nop 0
	v_cndmask_b32_e32 v124, v216, v12, vcc
	v_mul_f32_e32 v12, 0x3fb8aa3b, v9
	v_fma_f32 v13, v9, s41, -v12
	v_rndne_f32_e32 v16, v12
	v_fmac_f32_e32 v13, 0x32a5705f, v9
	v_sub_f32_e32 v12, v12, v16
	v_add_f32_e32 v12, v12, v13
	v_exp_f32_e32 v12, v12
	v_cvt_i32_f32_e32 v13, v16
	v_cmp_ngt_f32_e32 vcc, s58, v10
	v_sub_f32_e32 v16, v8, v28
	v_mul_f32_e32 v8, 0x3fb8aa3b, v16
	v_cndmask_b32_e32 v11, 0, v11, vcc
	v_cmp_nlt_f32_e32 vcc, s59, v10
	v_ldexp_f32 v10, v12, v13
	v_rndne_f32_e32 v12, v8
	v_cndmask_b32_e32 v125, v216, v11, vcc
	v_fma_f32 v11, v16, s41, -v8
	v_fmac_f32_e32 v11, 0x32a5705f, v16
	v_sub_f32_e32 v8, v8, v12
	v_add_f32_e32 v8, v8, v11
	v_exp_f32_e32 v8, v8
	v_cvt_i32_f32_e32 v11, v12
	v_cmp_ngt_f32_e32 vcc, s58, v9
	v_lshl_add_u64 v[12:13], v[64:65], 2, v[2:3]
	v_lshl_add_u64 v[12:13], v[12:13], 0, v[14:15]
	v_cndmask_b32_e32 v10, 0, v10, vcc
	v_cmp_nlt_f32_e32 vcc, s59, v9
	v_ldexp_f32 v17, v8, v11
	v_lshl_add_u64 v[8:9], v[68:69], 2, v[2:3]
	v_lshl_add_u64 v[8:9], v[8:9], 0, v[44:45]
	v_cndmask_b32_e32 v126, v216, v10, vcc
	global_load_dwordx4 v[8:11], v[8:9], off offset:128
	v_lshl_add_u64 v[2:3], v[62:63], 2, v[2:3]
	global_load_dwordx4 v[234:237], v[12:13], off
	v_lshl_add_u64 v[2:3], v[2:3], 0, v[14:15]
	global_load_dwordx4 v[12:15], v[2:3], off
	v_rndne_f32_e32 v2, v26
	v_sub_f32_e32 v3, v26, v2
	v_add_f32_e32 v3, v3, v27
	v_exp_f32_e32 v3, v3
	v_cvt_i32_f32_e32 v2, v2
	v_cmp_ngt_f32_e32 vcc, s58, v16
	s_waitcnt vmcnt(2)
	ds_write_b128 v57, v[8:11]
	s_waitcnt vmcnt(1)
	ds_write_b128 v93, v[234:237]
	;; [unrolled: 2-line block ×3, first 2 shown]
	v_ldexp_f32 v2, v3, v2
	v_sub_f32_e32 v3, v6, v28
	v_cndmask_b32_e32 v17, 0, v17, vcc
	v_cmp_nlt_f32_e32 vcc, s59, v16
	v_mul_f32_e32 v6, 0x3fb8aa3b, v3
	v_fma_f32 v16, v3, s41, -v6
	v_cndmask_b32_e32 v44, v216, v17, vcc
	v_rndne_f32_e32 v17, v6
	v_fmac_f32_e32 v16, 0x32a5705f, v3
	v_sub_f32_e32 v6, v6, v17
	v_add_f32_e32 v6, v6, v16
	v_exp_f32_e32 v6, v6
	v_cvt_i32_f32_e32 v16, v17
	v_cmp_ngt_f32_e32 vcc, s58, v7
	s_waitcnt lgkmcnt(0)
	s_barrier
	v_cndmask_b32_e32 v2, 0, v2, vcc
	v_cmp_nlt_f32_e32 vcc, s59, v7
	s_nop 1
	v_cndmask_b32_e32 v127, v216, v2, vcc
	v_ldexp_f32 v2, v6, v16
	v_mul_f32_e32 v6, 0x3fb8aa3b, v5
	v_fma_f32 v7, v5, s41, -v6
	v_rndne_f32_e32 v16, v6
	v_fmac_f32_e32 v7, 0x32a5705f, v5
	v_sub_f32_e32 v6, v6, v16
	v_add_f32_e32 v6, v6, v7
	v_exp_f32_e32 v6, v6
	v_cvt_i32_f32_e32 v7, v16
	v_cmp_ngt_f32_e32 vcc, s58, v3
	s_nop 1
	v_cndmask_b32_e32 v2, 0, v2, vcc
	v_cmp_nlt_f32_e32 vcc, s59, v3
	v_sub_f32_e32 v3, v4, v28
	v_mul_f32_e32 v4, 0x3fb8aa3b, v3
	v_cndmask_b32_e32 v128, v216, v2, vcc
	v_ldexp_f32 v2, v6, v7
	v_cmp_ngt_f32_e32 vcc, s58, v5
	v_rndne_f32_e32 v6, v4
	v_cvt_pk_f16_f32 v26, v127, v128
	v_cndmask_b32_e32 v2, 0, v2, vcc
	v_cmp_nlt_f32_e32 vcc, s59, v5
	v_fma_f32 v5, v3, s41, -v4
	v_fmac_f32_e32 v5, 0x32a5705f, v3
	v_sub_f32_e32 v4, v4, v6
	v_add_f32_e32 v4, v4, v5
	v_cvt_i32_f32_e32 v5, v6
	v_sub_f32_e32 v6, v230, v28
	v_mul_f32_e32 v7, 0x3fb8aa3b, v6
	v_fma_f32 v16, v6, s41, -v7
	v_rndne_f32_e32 v17, v7
	v_fmac_f32_e32 v16, 0x32a5705f, v6
	v_sub_f32_e32 v7, v7, v17
	v_add_f32_e32 v7, v7, v16
	v_exp_f32_e32 v4, v4
	v_exp_f32_e32 v7, v7
	v_cvt_i32_f32_e32 v16, v17
	v_cndmask_b32_e32 v129, v216, v2, vcc
	v_ldexp_f32 v2, v4, v5
	v_cmp_ngt_f32_e64 s[6:7], s58, v6
	v_ldexp_f32 v4, v7, v16
	v_cmp_ngt_f32_e32 vcc, s58, v3
	v_cndmask_b32_e64 v4, 0, v4, s[6:7]
	v_cmp_nlt_f32_e64 s[6:7], s59, v6
	v_cndmask_b32_e32 v2, 0, v2, vcc
	v_cmp_nlt_f32_e32 vcc, s59, v3
	v_cndmask_b32_e64 v4, v216, v4, s[6:7]
	v_cmp_le_f32_e64 s[6:7], s62, v6
	ds_read_u16 v6, v147 offset:240
	ds_read_u16 v7, v148
	ds_read_u16 v8, v149
	;; [unrolled: 1-line block ×3, first 2 shown]
	v_cndmask_b32_e64 v230, 0, v4, s[6:7]
	v_cvt_f16_f32_e32 v4, v230
	v_cndmask_b32_e32 v232, v216, v2, vcc
	s_waitcnt lgkmcnt(1)
	v_perm_b32 v7, v8, v7, s63
	s_waitcnt lgkmcnt(0)
	v_perm_b32 v6, v6, v9, s63
	v_mul_u32_u24_e32 v231, 0x10001, v4
	v_pk_mul_f16 v3, v33, v231
	v_pk_mul_f16 v5, v32, v231
	v_cvt_f32_f16_e32 v2, v3
	v_cvt_f32_f16_sdwa v3, v3 dst_sel:DWORD dst_unused:UNUSED_PAD src0_sel:WORD_1
	v_cvt_f32_f16_e32 v4, v5
	v_cvt_f32_f16_sdwa v5, v5 dst_sel:DWORD dst_unused:UNUSED_PAD src0_sel:WORD_1
	v_pk_mul_f16 v16, v31, v231
	v_pk_mul_f16 v9, v30, v231
	v_cvt_pk_f16_f32 v31, v20, v21
	v_cvt_pk_f16_f32 v30, v18, v19
	;; [unrolled: 1-line block ×4, first 2 shown]
	v_mfma_f32_16x16x16_f16 v[2:5], v[6:7], v[30:31], v[2:5]
	ds_read_u16 v6, v147 offset:3840
	ds_read_u16 v7, v148 offset:3840
	ds_read_u16 v8, v149 offset:3840
	ds_read_u16 v10, v147 offset:4080
	v_cvt_pk_f16_f32 v27, v129, v232
	v_pk_mul_f16 v133, v133, v231
	s_nop 1
	v_cvt_f16_f32_e32 v2, v2
	v_cvt_f16_f32_e32 v3, v3
	v_cvt_f16_f32_e32 v4, v4
	v_cvt_f16_f32_e32 v5, v5
	s_waitcnt lgkmcnt(1)
	v_perm_b32 v7, v8, v7, s63
	s_waitcnt lgkmcnt(0)
	v_perm_b32 v6, v10, v6, s63
	v_cvt_f32_f16_e32 v2, v2
	v_cvt_f32_f16_e32 v3, v3
	;; [unrolled: 1-line block ×4, first 2 shown]
	ds_read_u16 v10, v148 offset:32
	v_add_f32_e32 v18, v18, v19
	v_mfma_f32_16x16x16_f16 v[2:5], v[6:7], v[34:35], v[2:5]
	ds_read_u16 v6, v147 offset:7680
	ds_read_u16 v7, v148 offset:7680
	;; [unrolled: 1-line block ×4, first 2 shown]
	v_add_f32_e32 v18, v20, v18
	v_pk_mul_f16 v37, v37, v231
	s_nop 1
	v_cvt_f16_f32_e32 v2, v2
	v_cvt_f16_f32_e32 v3, v3
	v_cvt_f16_f32_e32 v4, v4
	v_cvt_f16_f32_e32 v5, v5
	s_waitcnt lgkmcnt(1)
	v_perm_b32 v7, v8, v7, s63
	s_waitcnt lgkmcnt(0)
	v_perm_b32 v6, v11, v6, s63
	v_cvt_f32_f16_e32 v2, v2
	v_cvt_f32_f16_e32 v3, v3
	;; [unrolled: 1-line block ×4, first 2 shown]
	ds_read_u16 v11, v149 offset:32
	v_cmp_eq_u64_e32 vcc, 0, v[104:105]
	v_mfma_f32_16x16x16_f16 v[2:5], v[6:7], v[32:33], v[2:5]
	ds_read_u16 v6, v147 offset:11520
	ds_read_u16 v7, v148 offset:11520
	;; [unrolled: 1-line block ×5, first 2 shown]
	s_waitcnt lgkmcnt(5)
	v_perm_b32 v11, v11, v10, s63
	s_nop 0
	v_cvt_f16_f32_e32 v2, v2
	v_cvt_f16_f32_e32 v3, v3
	;; [unrolled: 1-line block ×4, first 2 shown]
	s_waitcnt lgkmcnt(1)
	v_perm_b32 v6, v12, v6, s63
	ds_read_u16 v12, v147 offset:32
	v_perm_b32 v7, v8, v7, s63
	v_cvt_f32_f16_e32 v2, v2
	v_cvt_f32_f16_e32 v3, v3
	;; [unrolled: 1-line block ×4, first 2 shown]
	s_waitcnt lgkmcnt(0)
	v_perm_b32 v10, v13, v12, s63
	v_cvt_f32_f16_e32 v8, v9
	v_mfma_f32_16x16x16_f16 v[2:5], v[6:7], v[26:27], v[2:5]
	v_cvt_f32_f16_e32 v6, v16
	v_cvt_f32_f16_sdwa v7, v16 dst_sel:DWORD dst_unused:UNUSED_PAD src0_sel:WORD_1
	v_cvt_f32_f16_sdwa v9, v9 dst_sel:DWORD dst_unused:UNUSED_PAD src0_sel:WORD_1
	s_and_b64 vcc, exec, vcc
	s_nop 3
	v_cvt_f16_f32_e32 v4, v4
	v_mfma_f32_16x16x16_f16 v[6:9], v[10:11], v[30:31], v[6:9]
	ds_read_u16 v10, v147 offset:3872
	ds_read_u16 v11, v148 offset:3872
	;; [unrolled: 1-line block ×4, first 2 shown]
	v_cvt_f16_f32_e32 v5, v5
	s_nop 2
	v_cvt_f16_f32_e32 v6, v6
	v_cvt_f16_f32_e32 v7, v7
	;; [unrolled: 1-line block ×4, first 2 shown]
	s_waitcnt lgkmcnt(1)
	v_perm_b32 v11, v12, v11, s63
	s_waitcnt lgkmcnt(0)
	v_perm_b32 v10, v13, v10, s63
	v_cvt_f32_f16_e32 v6, v6
	v_cvt_f32_f16_e32 v7, v7
	;; [unrolled: 1-line block ×4, first 2 shown]
	v_perm_b32 v5, v5, v4, s63
	s_nop 0
	v_mfma_f32_16x16x16_f16 v[6:9], v[10:11], v[34:35], v[6:9]
	ds_read_u16 v10, v147 offset:7712
	ds_read_u16 v11, v148 offset:7712
	;; [unrolled: 1-line block ×4, first 2 shown]
	s_nop 3
	v_cvt_f16_f32_e32 v6, v6
	v_cvt_f16_f32_e32 v7, v7
	;; [unrolled: 1-line block ×4, first 2 shown]
	s_waitcnt lgkmcnt(1)
	v_perm_b32 v11, v12, v11, s63
	s_waitcnt lgkmcnt(0)
	v_perm_b32 v10, v13, v10, s63
	v_cvt_f32_f16_e32 v6, v6
	v_cvt_f32_f16_e32 v7, v7
	;; [unrolled: 1-line block ×4, first 2 shown]
	s_nop 1
	v_mfma_f32_16x16x16_f16 v[6:9], v[10:11], v[32:33], v[6:9]
	ds_read_u16 v10, v147 offset:11552
	ds_read_u16 v11, v148 offset:11552
	;; [unrolled: 1-line block ×8, first 2 shown]
	v_cvt_f16_f32_e32 v6, v6
	v_cvt_f16_f32_e32 v7, v7
	;; [unrolled: 1-line block ×4, first 2 shown]
	s_waitcnt lgkmcnt(5)
	v_perm_b32 v11, v12, v11, s63
	s_waitcnt lgkmcnt(4)
	v_perm_b32 v10, v13, v10, s63
	v_cvt_f32_f16_e32 v6, v6
	v_cvt_f32_f16_e32 v7, v7
	;; [unrolled: 1-line block ×4, first 2 shown]
	v_pk_mul_f16 v12, v233, v231
	v_pk_mul_f16 v13, v137, v231
	s_waitcnt lgkmcnt(1)
	v_perm_b32 v15, v16, v15, s63
	s_waitcnt lgkmcnt(0)
	v_perm_b32 v14, v17, v14, s63
	v_mfma_f32_16x16x16_f16 v[6:9], v[10:11], v[26:27], v[6:9]
	v_cvt_f32_f16_e32 v10, v12
	v_cvt_f32_f16_sdwa v11, v12 dst_sel:DWORD dst_unused:UNUSED_PAD src0_sel:WORD_1
	v_cvt_f32_f16_e32 v12, v13
	v_cvt_f32_f16_sdwa v13, v13 dst_sel:DWORD dst_unused:UNUSED_PAD src0_sel:WORD_1
	s_nop 1
	v_mfma_f32_16x16x16_f16 v[10:13], v[14:15], v[30:31], v[10:13]
	ds_read_u16 v14, v147 offset:3904
	ds_read_u16 v15, v148 offset:3904
	;; [unrolled: 1-line block ×4, first 2 shown]
	s_nop 3
	v_cvt_f16_f32_e32 v10, v10
	v_cvt_f16_f32_e32 v11, v11
	;; [unrolled: 1-line block ×4, first 2 shown]
	s_waitcnt lgkmcnt(1)
	v_perm_b32 v15, v16, v15, s63
	s_waitcnt lgkmcnt(0)
	v_perm_b32 v14, v17, v14, s63
	v_cvt_f32_f16_e32 v10, v10
	v_cvt_f32_f16_e32 v11, v11
	;; [unrolled: 1-line block ×4, first 2 shown]
	s_nop 1
	v_mfma_f32_16x16x16_f16 v[10:13], v[14:15], v[34:35], v[10:13]
	ds_read_u16 v14, v147 offset:7744
	ds_read_u16 v15, v148 offset:7744
	;; [unrolled: 1-line block ×4, first 2 shown]
	s_nop 3
	v_cvt_f16_f32_e32 v10, v10
	v_cvt_f16_f32_e32 v11, v11
	;; [unrolled: 1-line block ×4, first 2 shown]
	s_waitcnt lgkmcnt(1)
	v_perm_b32 v15, v16, v15, s63
	s_waitcnt lgkmcnt(0)
	v_perm_b32 v14, v17, v14, s63
	v_cvt_f32_f16_e32 v10, v10
	v_cvt_f32_f16_e32 v11, v11
	;; [unrolled: 1-line block ×4, first 2 shown]
	s_nop 1
	v_mfma_f32_16x16x16_f16 v[10:13], v[14:15], v[32:33], v[10:13]
	ds_read_u16 v14, v147 offset:11584
	ds_read_u16 v15, v148 offset:11584
	;; [unrolled: 1-line block ×4, first 2 shown]
	s_nop 3
	v_cvt_f16_f32_e32 v10, v10
	v_cvt_f16_f32_e32 v11, v11
	;; [unrolled: 1-line block ×4, first 2 shown]
	s_waitcnt lgkmcnt(1)
	v_perm_b32 v15, v16, v15, s63
	s_waitcnt lgkmcnt(0)
	v_perm_b32 v14, v17, v14, s63
	v_pk_mul_f16 v16, v136, v231
	v_pk_mul_f16 v17, v135, v231
	ds_read_u16 v135, v147 offset:96
	ds_read_u16 v136, v148 offset:96
	;; [unrolled: 1-line block ×4, first 2 shown]
	v_cvt_f32_f16_e32 v10, v10
	v_cvt_f32_f16_e32 v11, v11
	;; [unrolled: 1-line block ×4, first 2 shown]
	s_waitcnt lgkmcnt(1)
	v_perm_b32 v137, v137, v136, s63
	s_waitcnt lgkmcnt(0)
	v_perm_b32 v136, v233, v135, s63
	v_mfma_f32_16x16x16_f16 v[10:13], v[14:15], v[26:27], v[10:13]
	v_cvt_f32_f16_e32 v14, v16
	v_cvt_f32_f16_sdwa v15, v16 dst_sel:DWORD dst_unused:UNUSED_PAD src0_sel:WORD_1
	v_cvt_f32_f16_e32 v16, v17
	v_cvt_f32_f16_sdwa v17, v17 dst_sel:DWORD dst_unused:UNUSED_PAD src0_sel:WORD_1
	s_nop 3
	v_cvt_f16_f32_e32 v12, v12
	v_cvt_f16_f32_e32 v13, v13
	v_mfma_f32_16x16x16_f16 v[14:17], v[136:137], v[30:31], v[14:17]
	ds_read_u16 v135, v147 offset:3936
	ds_read_u16 v136, v148 offset:3936
	;; [unrolled: 1-line block ×4, first 2 shown]
	s_nop 3
	v_cvt_f16_f32_e32 v14, v14
	v_cvt_f16_f32_e32 v15, v15
	;; [unrolled: 1-line block ×4, first 2 shown]
	s_waitcnt lgkmcnt(1)
	v_perm_b32 v137, v137, v136, s63
	s_waitcnt lgkmcnt(0)
	v_perm_b32 v136, v233, v135, s63
	v_cvt_f32_f16_e32 v14, v14
	v_cvt_f32_f16_e32 v15, v15
	;; [unrolled: 1-line block ×4, first 2 shown]
	s_nop 1
	v_mfma_f32_16x16x16_f16 v[14:17], v[136:137], v[34:35], v[14:17]
	ds_read_u16 v135, v147 offset:7776
	ds_read_u16 v136, v148 offset:7776
	;; [unrolled: 1-line block ×4, first 2 shown]
	s_nop 3
	v_cvt_f16_f32_e32 v14, v14
	v_cvt_f16_f32_e32 v15, v15
	;; [unrolled: 1-line block ×4, first 2 shown]
	s_waitcnt lgkmcnt(1)
	v_perm_b32 v137, v137, v136, s63
	s_waitcnt lgkmcnt(0)
	v_perm_b32 v136, v233, v135, s63
	v_cvt_f32_f16_e32 v14, v14
	v_cvt_f32_f16_e32 v15, v15
	;; [unrolled: 1-line block ×4, first 2 shown]
	s_nop 1
	v_mfma_f32_16x16x16_f16 v[14:17], v[136:137], v[32:33], v[14:17]
	ds_read_u16 v135, v147 offset:11616
	ds_read_u16 v136, v148 offset:11616
	;; [unrolled: 1-line block ×4, first 2 shown]
	s_nop 3
	v_cvt_f16_f32_e32 v14, v14
	v_cvt_f16_f32_e32 v15, v15
	;; [unrolled: 1-line block ×4, first 2 shown]
	s_waitcnt lgkmcnt(1)
	v_perm_b32 v137, v137, v136, s63
	s_waitcnt lgkmcnt(0)
	v_perm_b32 v136, v233, v135, s63
	v_cvt_f32_f16_e32 v14, v14
	v_cvt_f32_f16_e32 v15, v15
	;; [unrolled: 1-line block ×4, first 2 shown]
	v_pk_mul_f16 v135, v134, v231
	s_nop 0
	v_mfma_f32_16x16x16_f16 v[14:17], v[136:137], v[26:27], v[14:17]
	ds_read_u16 v137, v147 offset:128
	ds_read_u16 v233, v148 offset:128
	;; [unrolled: 1-line block ×4, first 2 shown]
	v_cvt_f32_f16_e32 v134, v135
	v_cvt_f32_f16_sdwa v135, v135 dst_sel:DWORD dst_unused:UNUSED_PAD src0_sel:WORD_1
	v_cvt_f32_f16_e32 v136, v133
	s_waitcnt lgkmcnt(1)
	v_perm_b32 v235, v234, v233, s63
	s_waitcnt lgkmcnt(0)
	v_perm_b32 v234, v236, v137, s63
	v_cvt_f32_f16_sdwa v137, v133 dst_sel:DWORD dst_unused:UNUSED_PAD src0_sel:WORD_1
	v_add_f32_e32 v133, v21, v18
	v_add_f32_e32 v22, v22, v133
	v_mfma_f32_16x16x16_f16 v[18:21], v[234:235], v[30:31], v[134:137]
	s_nop 2
	ds_read_u16 v134, v147 offset:3968
	ds_read_u16 v135, v148 offset:3968
	;; [unrolled: 1-line block ×4, first 2 shown]
	v_add_f32_e32 v22, v23, v22
	v_add_f32_e32 v24, v24, v22
	v_cvt_f16_f32_e32 v18, v18
	v_cvt_f16_f32_e32 v19, v19
	;; [unrolled: 1-line block ×4, first 2 shown]
	s_waitcnt lgkmcnt(1)
	v_perm_b32 v135, v136, v135, s63
	s_waitcnt lgkmcnt(0)
	v_perm_b32 v134, v137, v134, s63
	v_cvt_f32_f16_e32 v18, v18
	v_cvt_f32_f16_e32 v19, v19
	;; [unrolled: 1-line block ×4, first 2 shown]
	v_add_f32_e32 v24, v25, v24
	v_add_f32_e32 v24, v124, v24
	v_mfma_f32_16x16x16_f16 v[18:21], v[134:135], v[34:35], v[18:21]
	ds_read_u16 v22, v147 offset:7808
	ds_read_u16 v23, v148 offset:7808
	;; [unrolled: 1-line block ×4, first 2 shown]
	v_add_f32_e32 v24, v125, v24
	v_add_f32_e32 v126, v126, v24
	s_nop 1
	v_cvt_f16_f32_e32 v18, v18
	v_cvt_f16_f32_e32 v19, v19
	;; [unrolled: 1-line block ×4, first 2 shown]
	s_waitcnt lgkmcnt(1)
	v_perm_b32 v23, v133, v23, s63
	s_waitcnt lgkmcnt(0)
	v_perm_b32 v22, v134, v22, s63
	v_cvt_f32_f16_e32 v18, v18
	v_cvt_f32_f16_e32 v19, v19
	;; [unrolled: 1-line block ×4, first 2 shown]
	v_pk_mul_f16 v24, v131, v231
	v_add_f32_e32 v44, v44, v126
	v_mfma_f32_16x16x16_f16 v[18:21], v[22:23], v[32:33], v[18:21]
	ds_read_u16 v22, v147 offset:11648
	ds_read_u16 v23, v148 offset:11648
	;; [unrolled: 1-line block ×4, first 2 shown]
	v_add_f32_e32 v44, v127, v44
	v_add_f32_e32 v44, v128, v44
	s_nop 1
	v_cvt_f16_f32_e32 v18, v18
	v_cvt_f16_f32_e32 v19, v19
	;; [unrolled: 1-line block ×4, first 2 shown]
	s_waitcnt lgkmcnt(1)
	v_perm_b32 v23, v25, v23, s63
	s_waitcnt lgkmcnt(0)
	v_perm_b32 v22, v124, v22, s63
	v_pk_mul_f16 v25, v132, v231
	ds_read_u16 v124, v147 offset:160
	ds_read_u16 v125, v148 offset:160
	;; [unrolled: 1-line block ×4, first 2 shown]
	v_cvt_f32_f16_e32 v18, v18
	v_cvt_f32_f16_e32 v19, v19
	;; [unrolled: 1-line block ×4, first 2 shown]
	s_waitcnt lgkmcnt(1)
	v_perm_b32 v125, v131, v125, s63
	s_waitcnt lgkmcnt(0)
	v_perm_b32 v124, v132, v124, s63
	v_mfma_f32_16x16x16_f16 v[18:21], v[22:23], v[26:27], v[18:21]
	v_cvt_f32_f16_e32 v22, v24
	v_cvt_f32_f16_sdwa v23, v24 dst_sel:DWORD dst_unused:UNUSED_PAD src0_sel:WORD_1
	v_cvt_f32_f16_e32 v24, v25
	v_cvt_f32_f16_sdwa v25, v25 dst_sel:DWORD dst_unused:UNUSED_PAD src0_sel:WORD_1
	v_add_f32_e32 v44, v129, v44
	v_cvt_f16_f32_e32 v129, v9
	v_mfma_f32_16x16x16_f16 v[22:25], v[124:125], v[30:31], v[22:25]
	ds_read_u16 v124, v147 offset:4000
	ds_read_u16 v125, v148 offset:4000
	;; [unrolled: 1-line block ×4, first 2 shown]
	v_add_f32_e32 v44, v232, v44
	v_fmac_f32_e32 v44, v229, v230
	s_nop 1
	v_cvt_f16_f32_e32 v22, v22
	v_cvt_f16_f32_e32 v23, v23
	;; [unrolled: 1-line block ×4, first 2 shown]
	s_waitcnt lgkmcnt(1)
	v_perm_b32 v125, v126, v125, s63
	s_waitcnt lgkmcnt(0)
	v_perm_b32 v124, v127, v124, s63
	v_cvt_f32_f16_e32 v22, v22
	v_cvt_f32_f16_e32 v23, v23
	;; [unrolled: 1-line block ×4, first 2 shown]
	s_nop 1
	v_mfma_f32_16x16x16_f16 v[22:25], v[124:125], v[34:35], v[22:25]
	ds_read_u16 v124, v147 offset:7840
	ds_read_u16 v125, v148 offset:7840
	;; [unrolled: 1-line block ×4, first 2 shown]
	s_nop 3
	v_cvt_f16_f32_e32 v22, v22
	v_cvt_f16_f32_e32 v23, v23
	v_cvt_f16_f32_e32 v24, v24
	v_cvt_f16_f32_e32 v25, v25
	s_waitcnt lgkmcnt(1)
	v_perm_b32 v125, v126, v125, s63
	s_waitcnt lgkmcnt(0)
	v_perm_b32 v124, v127, v124, s63
	v_cvt_f32_f16_e32 v22, v22
	v_cvt_f32_f16_e32 v23, v23
	;; [unrolled: 1-line block ×4, first 2 shown]
	v_pk_mul_f16 v126, v130, v231
	s_nop 0
	v_mfma_f32_16x16x16_f16 v[22:25], v[124:125], v[32:33], v[22:25]
	ds_read_u16 v124, v147 offset:11680
	ds_read_u16 v125, v148 offset:11680
	;; [unrolled: 1-line block ×4, first 2 shown]
	s_nop 3
	v_cvt_f16_f32_e32 v22, v22
	v_cvt_f16_f32_e32 v23, v23
	v_cvt_f16_f32_e32 v24, v24
	v_cvt_f16_f32_e32 v25, v25
	s_waitcnt lgkmcnt(1)
	v_perm_b32 v125, v127, v125, s63
	s_waitcnt lgkmcnt(0)
	v_perm_b32 v124, v128, v124, s63
	v_cvt_f16_f32_e32 v128, v8
	ds_read_u16 v8, v147 offset:192
	ds_read_u16 v9, v148 offset:192
	;; [unrolled: 1-line block ×4, first 2 shown]
	v_cvt_f32_f16_e32 v22, v22
	v_cvt_f32_f16_e32 v23, v23
	;; [unrolled: 1-line block ×4, first 2 shown]
	s_waitcnt lgkmcnt(1)
	v_perm_b32 v9, v127, v9, s63
	s_waitcnt lgkmcnt(0)
	v_perm_b32 v8, v130, v8, s63
	v_mfma_f32_16x16x16_f16 v[22:25], v[124:125], v[26:27], v[22:25]
	v_cvt_f32_f16_e32 v124, v126
	v_cvt_f32_f16_sdwa v125, v126 dst_sel:DWORD dst_unused:UNUSED_PAD src0_sel:WORD_1
	v_cvt_f32_f16_e32 v126, v37
	v_cvt_f32_f16_sdwa v127, v37 dst_sel:DWORD dst_unused:UNUSED_PAD src0_sel:WORD_1
	v_perm_b32 v4, v129, v128, s63
	s_nop 0
	v_mfma_f32_16x16x16_f16 v[124:127], v[8:9], v[30:31], v[124:127]
	s_nop 7
	v_cvt_f16_f32_e32 v31, v127
	ds_read_u16 v37, v147 offset:4032
	ds_read_u16 v127, v148 offset:4032
	;; [unrolled: 1-line block ×4, first 2 shown]
	v_cvt_f16_f32_e32 v8, v124
	v_cvt_f16_f32_e32 v9, v125
	;; [unrolled: 1-line block ×3, first 2 shown]
	v_cvt_f32_f16_e32 v124, v8
	v_cvt_f32_f16_e32 v125, v9
	s_waitcnt lgkmcnt(1)
	v_perm_b32 v9, v128, v127, s63
	s_waitcnt lgkmcnt(0)
	v_perm_b32 v8, v129, v37, s63
	v_cvt_f32_f16_e32 v126, v30
	v_cvt_f32_f16_e32 v127, v31
	v_cvt_f16_f32_e32 v31, v17
	v_cvt_f16_f32_e32 v30, v16
	v_mfma_f32_16x16x16_f16 v[124:127], v[8:9], v[34:35], v[124:127]
	s_nop 7
	v_cvt_f16_f32_e32 v34, v127
	ds_read_u16 v35, v147 offset:7872
	ds_read_u16 v17, v148 offset:7872
	;; [unrolled: 1-line block ×4, first 2 shown]
	v_cvt_f16_f32_e32 v16, v126
	v_cvt_f16_f32_e32 v8, v124
	;; [unrolled: 1-line block ×3, first 2 shown]
	s_waitcnt lgkmcnt(1)
	v_perm_b32 v17, v37, v17, s63
	v_cvt_f32_f16_e32 v126, v16
	s_waitcnt lgkmcnt(0)
	v_perm_b32 v16, v127, v35, s63
	v_cvt_f32_f16_e32 v124, v8
	v_cvt_f32_f16_e32 v125, v9
	v_cvt_f32_f16_e32 v127, v34
	v_perm_b32 v8, v31, v30, s63
	v_perm_b32 v9, v13, v12, s63
	v_mfma_f32_16x16x16_f16 v[30:33], v[16:17], v[32:33], v[124:127]
	v_cvt_f16_f32_e32 v12, v20
	s_nop 6
	v_cvt_f16_f32_e32 v17, v30
	v_cvt_f16_f32_e32 v20, v31
	;; [unrolled: 1-line block ×4, first 2 shown]
	ds_read_u16 v16, v147 offset:11712
	ds_read_u16 v31, v148 offset:11712
	;; [unrolled: 1-line block ×4, first 2 shown]
	v_cvt_f32_f16_e32 v124, v17
	v_cvt_f32_f16_e32 v125, v20
	v_cvt_f32_f16_e32 v126, v30
	s_waitcnt lgkmcnt(1)
	v_perm_b32 v17, v32, v31, s63
	s_waitcnt lgkmcnt(0)
	v_perm_b32 v16, v33, v16, s63
	v_cvt_f32_f16_e32 v127, v13
	v_cvt_f16_f32_e32 v13, v21
	v_cvt_f16_f32_e32 v20, v24
	;; [unrolled: 1-line block ×3, first 2 shown]
	v_mfma_f32_16x16x16_f16 v[24:27], v[16:17], v[26:27], v[124:127]
	v_perm_b32 v13, v13, v12, s63
	v_perm_b32 v12, v21, v20, s63
	s_barrier
	s_nop 4
	v_cvt_f16_f32_e32 v16, v26
	ds_bpermute_b32 v26, v36, v44
	v_cvt_f16_f32_e32 v17, v27
	v_perm_b32 v16, v17, v16, s63
	s_waitcnt lgkmcnt(0)
	v_add_f32_e32 v17, v44, v26
	ds_bpermute_b32 v20, v29, v17
	s_waitcnt lgkmcnt(0)
	v_add_f32_e32 v29, v17, v20
	s_cbranch_vccnz .LBB19_89
; %bb.88:                               ;   in Loop: Header=BB19_14 Depth=1
	v_lshlrev_b32_e32 v17, 2, v70
	v_readfirstlane_b32 s4, v104
	v_readfirstlane_b32 s5, v105
	v_cvt_pk_f16_f32 v2, v2, v3
	v_cvt_pk_f16_f32 v3, v6, v7
	;; [unrolled: 1-line block ×3, first 2 shown]
	v_max_f32_e32 v7, v28, v28
	v_cvt_pk_f16_f32 v14, v14, v15
	global_load_dword v17, v17, s[4:5]
	v_cvt_pk_f16_f32 v15, v18, v19
	s_waitcnt vmcnt(0)
	v_max_f32_e32 v10, v17, v17
	v_max_f32_e32 v18, v7, v10
	v_sub_f32_e32 v7, v28, v18
	v_sub_f32_e32 v10, v17, v18
	v_mul_f32_e32 v11, 0x3fb8aa3b, v7
	v_mul_f32_e32 v17, 0x3fb8aa3b, v10
	v_fma_f32 v19, v7, s41, -v11
	v_rndne_f32_e32 v20, v11
	v_fma_f32 v21, v10, s41, -v17
	v_rndne_f32_e32 v26, v17
	v_fmac_f32_e32 v19, 0x32a5705f, v7
	v_sub_f32_e32 v11, v11, v20
	v_fmac_f32_e32 v21, 0x32a5705f, v10
	v_sub_f32_e32 v17, v17, v26
	v_add_f32_e32 v11, v11, v19
	v_cvt_i32_f32_e32 v20, v20
	v_add_f32_e32 v17, v17, v21
	v_exp_f32_e32 v11, v11
	v_cvt_i32_f32_e32 v26, v26
	v_exp_f32_e32 v17, v17
	v_cmp_ngt_f32_e32 vcc, s58, v7
	v_ldexp_f32 v11, v11, v20
	v_cvt_pk_f16_f32 v21, v22, v23
	v_ldexp_f32 v17, v17, v26
	v_cndmask_b32_e32 v11, 0, v11, vcc
	v_cmp_ngt_f32_e32 vcc, s58, v10
	v_cvt_pk_f16_f32 v22, v24, v25
	s_nop 0
	v_cndmask_b32_e32 v17, 0, v17, vcc
	v_cmp_nlt_f32_e32 vcc, s59, v7
	s_nop 1
	v_cndmask_b32_e32 v11, v216, v11, vcc
	v_cmp_le_f32_e32 vcc, s62, v7
	s_nop 1
	v_cndmask_b32_e32 v7, 0, v11, vcc
	v_cvt_f16_f32_e32 v11, v7
	v_cmp_nlt_f32_e32 vcc, s59, v10
	s_nop 1
	v_cndmask_b32_e32 v19, v216, v17, vcc
	v_fmac_f32_e32 v19, v29, v7
	v_mul_u32_u24_e32 v17, 0x10001, v11
	v_pk_mul_f16 v11, v2, v17
	v_pk_mul_f16 v5, v5, v17
	;; [unrolled: 1-line block ×14, first 2 shown]
	v_mov_b64_e32 v[28:29], v[18:19]
	s_branch .LBB19_90
.LBB19_89:                              ;   in Loop: Header=BB19_14 Depth=1
	v_cvt_f16_f32_e32 v17, v2
	v_cvt_f16_f32_e32 v20, v3
	v_cvt_f16_f32_e32 v21, v6
	v_cvt_f16_f32_e32 v26, v7
	v_cvt_f16_f32_e32 v7, v10
	v_cvt_f16_f32_e32 v10, v11
	v_cvt_f16_f32_e32 v6, v14
	v_cvt_f16_f32_e32 v11, v15
	v_cvt_f16_f32_e32 v3, v18
	v_cvt_f16_f32_e32 v2, v22
	v_cvt_f16_f32_e32 v14, v23
	v_cvt_f16_f32_e32 v15, v19
	v_cvt_f16_f32_e32 v18, v24
	v_cvt_f16_f32_e32 v19, v25
	v_perm_b32 v2, v14, v2, s63
	v_perm_b32 v3, v15, v3, s63
	;; [unrolled: 1-line block ×7, first 2 shown]
.LBB19_90:                              ;   in Loop: Header=BB19_14 Depth=1
	s_barrier
	s_mov_b64 s[6:7], exec
	v_readlane_b32 s4, v250, 15
	v_readlane_b32 s5, v250, 16
	s_and_b64 s[4:5], s[6:7], s[4:5]
	s_mov_b64 exec, s[4:5]
	s_cbranch_execz .LBB19_92
; %bb.91:                               ;   in Loop: Header=BB19_14 Depth=1
	global_store_dwordx2 v[66:67], v[28:29], off
.LBB19_92:                              ;   in Loop: Header=BB19_14 Depth=1
	s_or_b64 exec, exec, s[6:7]
	v_add_u32_e32 v15, v99, v169
	v_cmp_gt_i32_e64 s[6:7], s28, v217
	v_cmp_gt_i32_e64 s[8:9], s33, v140
	ds_write2_b32 v15, v11, v5 offset1:1
	ds_write2_b32 v15, v10, v4 offset0:8 offset1:9
	ds_write2_b32 v15, v7, v9 offset0:16 offset1:17
	;; [unrolled: 1-line block ×6, first 2 shown]
	v_cmp_le_i32_e32 vcc, s33, v140
	s_and_b64 s[4:5], s[6:7], s[8:9]
	v_mov_b32_e32 v2, 50
	s_waitcnt lgkmcnt(0)
	s_barrier
	s_and_saveexec_b64 s[6:7], s[4:5]
	s_cbranch_execz .LBB19_94
; %bb.93:                               ;   in Loop: Header=BB19_14 Depth=1
	v_add_u32_e32 v2, v182, v209
	ds_read_b32 v5, v2
	v_mad_u64_u32 v[2:3], s[4:5], v217, s29, v[98:99]
	v_mad_u64_u32 v[2:3], s[4:5], v2, 56, v[38:39]
	s_waitcnt lgkmcnt(0)
	v_cvt_f32_f16_e32 v4, v5
	v_cvt_f32_f16_sdwa v5, v5 dst_sel:DWORD dst_unused:UNUSED_PAD src0_sel:WORD_1
	v_ashrrev_i32_e32 v3, 31, v2
	v_lshl_add_u64 v[2:3], v[2:3], 3, v[102:103]
	v_pk_add_f32 v[4:5], v[4:5], 0 op_sel_hi:[1,0]
	global_store_dwordx2 v[2:3], v[4:5], off
	v_mov_b32_e32 v2, 0
.LBB19_94:                              ;   in Loop: Header=BB19_14 Depth=1
	s_or_b64 exec, exec, s[6:7]
	v_cmp_gt_i32_e64 s[6:7], 50, v2
	s_mov_b64 s[72:73], -1
	s_and_saveexec_b64 s[8:9], s[6:7]
; %bb.95:                               ;   in Loop: Header=BB19_14 Depth=1
	v_cmp_eq_u32_e64 s[6:7], 0, v2
	s_orn2_b64 s[72:73], s[6:7], exec
; %bb.96:                               ;   in Loop: Header=BB19_14 Depth=1
	s_or_b64 exec, exec, s[8:9]
	s_and_saveexec_b64 s[8:9], s[72:73]
	s_cbranch_execz .LBB19_129
; %bb.97:                               ;   in Loop: Header=BB19_14 Depth=1
	v_cmp_gt_i32_e64 s[6:7], s28, v228
	s_xor_b64 s[72:73], vcc, -1
	s_and_b64 s[4:5], s[6:7], s[72:73]
	v_mov_b32_e32 v2, 50
	s_and_saveexec_b64 s[6:7], s[4:5]
	s_cbranch_execz .LBB19_99
; %bb.98:                               ;   in Loop: Header=BB19_14 Depth=1
	v_add_u32_e32 v2, v182, v209
	ds_read_b32 v5, v2 offset:1920
	v_mad_u64_u32 v[2:3], s[4:5], v228, s29, v[98:99]
	v_mad_u64_u32 v[2:3], s[4:5], v2, 56, v[38:39]
	s_waitcnt lgkmcnt(0)
	v_cvt_f32_f16_e32 v4, v5
	v_cvt_f32_f16_sdwa v5, v5 dst_sel:DWORD dst_unused:UNUSED_PAD src0_sel:WORD_1
	v_ashrrev_i32_e32 v3, 31, v2
	v_lshl_add_u64 v[2:3], v[2:3], 3, v[102:103]
	v_pk_add_f32 v[4:5], v[4:5], 0 op_sel_hi:[1,0]
	global_store_dwordx2 v[2:3], v[4:5], off
	v_mov_b32_e32 v2, 0
.LBB19_99:                              ;   in Loop: Header=BB19_14 Depth=1
	s_or_b64 exec, exec, s[6:7]
	v_cmp_gt_i32_e32 vcc, 50, v2
	s_mov_b64 s[6:7], -1
	s_and_saveexec_b64 s[74:75], vcc
; %bb.100:                              ;   in Loop: Header=BB19_14 Depth=1
	v_cmp_eq_u32_e32 vcc, 0, v2
	s_orn2_b64 s[6:7], vcc, exec
; %bb.101:                              ;   in Loop: Header=BB19_14 Depth=1
	s_or_b64 exec, exec, s[74:75]
	s_and_b64 exec, exec, s[6:7]
	s_cbranch_execz .LBB19_129
; %bb.102:                              ;   in Loop: Header=BB19_14 Depth=1
	v_cmp_gt_i32_e32 vcc, s28, v227
	s_and_b64 s[4:5], vcc, s[72:73]
	v_mov_b32_e32 v2, 50
	s_and_saveexec_b64 s[6:7], s[4:5]
	s_cbranch_execz .LBB19_104
; %bb.103:                              ;   in Loop: Header=BB19_14 Depth=1
	ds_read_b32 v5, v196
	v_mad_u64_u32 v[2:3], s[4:5], v227, s29, v[98:99]
	v_mad_u64_u32 v[2:3], s[4:5], v2, 56, v[38:39]
	s_waitcnt lgkmcnt(0)
	v_cvt_f32_f16_e32 v4, v5
	v_cvt_f32_f16_sdwa v5, v5 dst_sel:DWORD dst_unused:UNUSED_PAD src0_sel:WORD_1
	v_ashrrev_i32_e32 v3, 31, v2
	v_lshl_add_u64 v[2:3], v[2:3], 3, v[102:103]
	v_pk_add_f32 v[4:5], v[4:5], 0 op_sel_hi:[1,0]
	global_store_dwordx2 v[2:3], v[4:5], off
	v_mov_b32_e32 v2, 0
.LBB19_104:                             ;   in Loop: Header=BB19_14 Depth=1
	s_or_b64 exec, exec, s[6:7]
	v_cmp_gt_i32_e32 vcc, 50, v2
	s_mov_b64 s[6:7], -1
	s_and_saveexec_b64 s[74:75], vcc
; %bb.105:                              ;   in Loop: Header=BB19_14 Depth=1
	v_cmp_eq_u32_e32 vcc, 0, v2
	s_orn2_b64 s[6:7], vcc, exec
; %bb.106:                              ;   in Loop: Header=BB19_14 Depth=1
	s_or_b64 exec, exec, s[74:75]
	s_and_b64 exec, exec, s[6:7]
	s_cbranch_execz .LBB19_129
; %bb.107:                              ;   in Loop: Header=BB19_14 Depth=1
	v_cmp_gt_i32_e32 vcc, s28, v226
	s_and_b64 s[4:5], vcc, s[72:73]
	v_mov_b32_e32 v2, 50
	s_and_saveexec_b64 s[6:7], s[4:5]
	s_cbranch_execz .LBB19_109
; %bb.108:                              ;   in Loop: Header=BB19_14 Depth=1
	v_add_u32_e32 v2, v182, v209
	ds_read_b32 v5, v2 offset:5760
	v_mad_u64_u32 v[2:3], s[4:5], v226, s29, v[98:99]
	v_mad_u64_u32 v[2:3], s[4:5], v2, 56, v[38:39]
	s_waitcnt lgkmcnt(0)
	v_cvt_f32_f16_e32 v4, v5
	v_cvt_f32_f16_sdwa v5, v5 dst_sel:DWORD dst_unused:UNUSED_PAD src0_sel:WORD_1
	v_ashrrev_i32_e32 v3, 31, v2
	v_lshl_add_u64 v[2:3], v[2:3], 3, v[102:103]
	v_pk_add_f32 v[4:5], v[4:5], 0 op_sel_hi:[1,0]
	global_store_dwordx2 v[2:3], v[4:5], off
	v_mov_b32_e32 v2, 0
.LBB19_109:                             ;   in Loop: Header=BB19_14 Depth=1
	s_or_b64 exec, exec, s[6:7]
	v_cmp_gt_i32_e32 vcc, 50, v2
	s_mov_b64 s[6:7], -1
	s_and_saveexec_b64 s[74:75], vcc
; %bb.110:                              ;   in Loop: Header=BB19_14 Depth=1
	v_cmp_eq_u32_e32 vcc, 0, v2
	s_orn2_b64 s[6:7], vcc, exec
; %bb.111:                              ;   in Loop: Header=BB19_14 Depth=1
	s_or_b64 exec, exec, s[74:75]
	s_and_b64 exec, exec, s[6:7]
	s_cbranch_execz .LBB19_129
; %bb.112:                              ;   in Loop: Header=BB19_14 Depth=1
	v_cmp_gt_i32_e32 vcc, s28, v225
	s_and_b64 s[4:5], vcc, s[72:73]
	v_mov_b32_e32 v2, 50
	s_and_saveexec_b64 s[6:7], s[4:5]
	s_cbranch_execz .LBB19_114
; %bb.113:                              ;   in Loop: Header=BB19_14 Depth=1
	ds_read_b32 v5, v197
	v_mad_u64_u32 v[2:3], s[4:5], v225, s29, v[98:99]
	v_mad_u64_u32 v[2:3], s[4:5], v2, 56, v[38:39]
	s_waitcnt lgkmcnt(0)
	v_cvt_f32_f16_e32 v4, v5
	v_cvt_f32_f16_sdwa v5, v5 dst_sel:DWORD dst_unused:UNUSED_PAD src0_sel:WORD_1
	v_ashrrev_i32_e32 v3, 31, v2
	v_lshl_add_u64 v[2:3], v[2:3], 3, v[102:103]
	v_pk_add_f32 v[4:5], v[4:5], 0 op_sel_hi:[1,0]
	global_store_dwordx2 v[2:3], v[4:5], off
	v_mov_b32_e32 v2, 0
.LBB19_114:                             ;   in Loop: Header=BB19_14 Depth=1
	s_or_b64 exec, exec, s[6:7]
	v_cmp_gt_i32_e32 vcc, 50, v2
	s_mov_b64 s[6:7], -1
	s_and_saveexec_b64 s[74:75], vcc
; %bb.115:                              ;   in Loop: Header=BB19_14 Depth=1
	v_cmp_eq_u32_e32 vcc, 0, v2
	s_orn2_b64 s[6:7], vcc, exec
; %bb.116:                              ;   in Loop: Header=BB19_14 Depth=1
	s_or_b64 exec, exec, s[74:75]
	s_and_b64 exec, exec, s[6:7]
	s_cbranch_execz .LBB19_129
; %bb.117:                              ;   in Loop: Header=BB19_14 Depth=1
	v_cmp_gt_i32_e32 vcc, s28, v224
	s_and_b64 s[4:5], vcc, s[72:73]
	v_mov_b32_e32 v2, 50
	s_and_saveexec_b64 s[6:7], s[4:5]
	s_cbranch_execz .LBB19_119
; %bb.118:                              ;   in Loop: Header=BB19_14 Depth=1
	v_add_u32_e32 v2, v182, v209
	ds_read_b32 v5, v2 offset:9600
	v_mad_u64_u32 v[2:3], s[4:5], v224, s29, v[98:99]
	v_mad_u64_u32 v[2:3], s[4:5], v2, 56, v[38:39]
	s_waitcnt lgkmcnt(0)
	v_cvt_f32_f16_e32 v4, v5
	v_cvt_f32_f16_sdwa v5, v5 dst_sel:DWORD dst_unused:UNUSED_PAD src0_sel:WORD_1
	v_ashrrev_i32_e32 v3, 31, v2
	v_lshl_add_u64 v[2:3], v[2:3], 3, v[102:103]
	v_pk_add_f32 v[4:5], v[4:5], 0 op_sel_hi:[1,0]
	global_store_dwordx2 v[2:3], v[4:5], off
	v_mov_b32_e32 v2, 0
.LBB19_119:                             ;   in Loop: Header=BB19_14 Depth=1
	s_or_b64 exec, exec, s[6:7]
	v_cmp_gt_i32_e32 vcc, 50, v2
	s_mov_b64 s[6:7], -1
	s_and_saveexec_b64 s[74:75], vcc
; %bb.120:                              ;   in Loop: Header=BB19_14 Depth=1
	v_cmp_eq_u32_e32 vcc, 0, v2
	s_orn2_b64 s[6:7], vcc, exec
; %bb.121:                              ;   in Loop: Header=BB19_14 Depth=1
	s_or_b64 exec, exec, s[74:75]
	s_and_b64 exec, exec, s[6:7]
	s_cbranch_execz .LBB19_129
; %bb.122:                              ;   in Loop: Header=BB19_14 Depth=1
	v_cmp_gt_i32_e32 vcc, s28, v223
	s_and_b64 s[4:5], vcc, s[72:73]
	v_mov_b32_e32 v2, 50
	s_and_saveexec_b64 s[6:7], s[4:5]
	s_cbranch_execz .LBB19_124
; %bb.123:                              ;   in Loop: Header=BB19_14 Depth=1
	ds_read_b32 v5, v198
	v_mad_u64_u32 v[2:3], s[4:5], v223, s29, v[98:99]
	v_mad_u64_u32 v[2:3], s[4:5], v2, 56, v[38:39]
	s_waitcnt lgkmcnt(0)
	v_cvt_f32_f16_e32 v4, v5
	v_cvt_f32_f16_sdwa v5, v5 dst_sel:DWORD dst_unused:UNUSED_PAD src0_sel:WORD_1
	v_ashrrev_i32_e32 v3, 31, v2
	v_lshl_add_u64 v[2:3], v[2:3], 3, v[102:103]
	v_pk_add_f32 v[4:5], v[4:5], 0 op_sel_hi:[1,0]
	global_store_dwordx2 v[2:3], v[4:5], off
	v_mov_b32_e32 v2, 0
.LBB19_124:                             ;   in Loop: Header=BB19_14 Depth=1
	s_or_b64 exec, exec, s[6:7]
	v_cmp_gt_i32_e32 vcc, 50, v2
	s_mov_b64 s[6:7], -1
	s_and_saveexec_b64 s[74:75], vcc
; %bb.125:                              ;   in Loop: Header=BB19_14 Depth=1
	v_cmp_eq_u32_e32 vcc, 0, v2
	s_orn2_b64 s[6:7], vcc, exec
; %bb.126:                              ;   in Loop: Header=BB19_14 Depth=1
	s_or_b64 exec, exec, s[74:75]
	s_and_b64 exec, exec, s[6:7]
	s_cbranch_execz .LBB19_129
; %bb.127:                              ;   in Loop: Header=BB19_14 Depth=1
	v_cmp_gt_i32_e32 vcc, s28, v221
	s_and_b64 s[4:5], vcc, s[72:73]
	s_and_b64 exec, exec, s[4:5]
	s_cbranch_execz .LBB19_129
; %bb.128:                              ;   in Loop: Header=BB19_14 Depth=1
	v_add_u32_e32 v2, v182, v209
	ds_read_b32 v5, v2 offset:13440
	v_mad_u64_u32 v[2:3], s[4:5], v221, s29, v[98:99]
	v_mad_u64_u32 v[2:3], s[4:5], v2, 56, v[38:39]
	s_waitcnt lgkmcnt(0)
	v_cvt_f32_f16_e32 v4, v5
	v_cvt_f32_f16_sdwa v5, v5 dst_sel:DWORD dst_unused:UNUSED_PAD src0_sel:WORD_1
	v_ashrrev_i32_e32 v3, 31, v2
	v_lshl_add_u64 v[2:3], v[2:3], 3, v[102:103]
	v_pk_add_f32 v[4:5], v[4:5], 0 op_sel_hi:[1,0]
	global_store_dwordx2 v[2:3], v[4:5], off
.LBB19_129:                             ;   in Loop: Header=BB19_14 Depth=1
	s_or_b64 exec, exec, s[8:9]
	v_cmp_gt_i32_e64 s[6:7], s28, v220
	v_cmp_gt_i32_e64 s[8:9], s33, v222
	v_cmp_le_i32_e32 vcc, s33, v222
	s_and_b64 s[4:5], s[6:7], s[8:9]
	v_mov_b32_e32 v2, 50
	s_and_saveexec_b64 s[6:7], s[4:5]
	s_cbranch_execz .LBB19_131
; %bb.130:                              ;   in Loop: Header=BB19_14 Depth=1
	v_add_u32_e32 v2, v176, v211
	ds_read_b32 v5, v2 offset:128
	v_mad_u64_u32 v[2:3], s[4:5], v220, s29, v[94:95]
	v_mul_lo_u32 v2, v2, 56
	v_ashrrev_i32_e32 v3, 31, v2
	s_waitcnt lgkmcnt(0)
	v_cvt_f32_f16_e32 v4, v5
	v_cvt_f32_f16_sdwa v5, v5 dst_sel:DWORD dst_unused:UNUSED_PAD src0_sel:WORD_1
	v_lshl_add_u64 v[2:3], v[2:3], 0, v[40:41]
	v_lshl_add_u64 v[2:3], v[2:3], 3, v[102:103]
	v_pk_add_f32 v[4:5], v[4:5], 0 op_sel_hi:[1,0]
	global_store_dwordx2 v[2:3], v[4:5], off offset:256
	v_mov_b32_e32 v2, 0
.LBB19_131:                             ;   in Loop: Header=BB19_14 Depth=1
	s_or_b64 exec, exec, s[6:7]
	v_cmp_gt_i32_e64 s[6:7], 50, v2
	s_mov_b64 s[72:73], -1
	s_and_saveexec_b64 s[8:9], s[6:7]
; %bb.132:                              ;   in Loop: Header=BB19_14 Depth=1
	v_cmp_eq_u32_e64 s[6:7], 0, v2
	s_orn2_b64 s[72:73], s[6:7], exec
; %bb.133:                              ;   in Loop: Header=BB19_14 Depth=1
	s_or_b64 exec, exec, s[8:9]
	s_and_saveexec_b64 s[8:9], s[72:73]
	s_cbranch_execz .LBB19_146
; %bb.134:                              ;   in Loop: Header=BB19_14 Depth=1
	v_cmp_gt_i32_e64 s[6:7], s28, v219
	s_xor_b64 s[72:73], vcc, -1
	s_and_b64 s[4:5], s[6:7], s[72:73]
	v_mov_b32_e32 v2, 50
	s_and_saveexec_b64 s[6:7], s[4:5]
	s_cbranch_execz .LBB19_136
; %bb.135:                              ;   in Loop: Header=BB19_14 Depth=1
	ds_read_b32 v5, v199 offset:128
	v_mad_u64_u32 v[2:3], s[4:5], v219, s29, v[94:95]
	v_mul_lo_u32 v2, v2, 56
	v_ashrrev_i32_e32 v3, 31, v2
	s_waitcnt lgkmcnt(0)
	v_cvt_f32_f16_e32 v4, v5
	v_cvt_f32_f16_sdwa v5, v5 dst_sel:DWORD dst_unused:UNUSED_PAD src0_sel:WORD_1
	v_lshl_add_u64 v[2:3], v[2:3], 0, v[40:41]
	v_lshl_add_u64 v[2:3], v[2:3], 3, v[102:103]
	v_pk_add_f32 v[4:5], v[4:5], 0 op_sel_hi:[1,0]
	global_store_dwordx2 v[2:3], v[4:5], off offset:256
	v_mov_b32_e32 v2, 0
.LBB19_136:                             ;   in Loop: Header=BB19_14 Depth=1
	s_or_b64 exec, exec, s[6:7]
	v_cmp_gt_i32_e32 vcc, 50, v2
	s_mov_b64 s[6:7], -1
	s_and_saveexec_b64 s[74:75], vcc
; %bb.137:                              ;   in Loop: Header=BB19_14 Depth=1
	v_cmp_eq_u32_e32 vcc, 0, v2
	s_orn2_b64 s[6:7], vcc, exec
; %bb.138:                              ;   in Loop: Header=BB19_14 Depth=1
	s_or_b64 exec, exec, s[74:75]
	s_and_b64 exec, exec, s[6:7]
	s_cbranch_execz .LBB19_146
; %bb.139:                              ;   in Loop: Header=BB19_14 Depth=1
	v_cmp_gt_i32_e32 vcc, s28, v218
	s_and_b64 s[4:5], vcc, s[72:73]
	v_mov_b32_e32 v2, 50
	s_and_saveexec_b64 s[6:7], s[4:5]
	s_cbranch_execz .LBB19_141
; %bb.140:                              ;   in Loop: Header=BB19_14 Depth=1
	ds_read_b32 v5, v200 offset:128
	v_mad_u64_u32 v[2:3], s[4:5], v218, s29, v[94:95]
	v_mul_lo_u32 v2, v2, 56
	v_ashrrev_i32_e32 v3, 31, v2
	s_waitcnt lgkmcnt(0)
	v_cvt_f32_f16_e32 v4, v5
	v_cvt_f32_f16_sdwa v5, v5 dst_sel:DWORD dst_unused:UNUSED_PAD src0_sel:WORD_1
	v_lshl_add_u64 v[2:3], v[2:3], 0, v[40:41]
	v_lshl_add_u64 v[2:3], v[2:3], 3, v[102:103]
	v_pk_add_f32 v[4:5], v[4:5], 0 op_sel_hi:[1,0]
	global_store_dwordx2 v[2:3], v[4:5], off offset:256
	v_mov_b32_e32 v2, 0
.LBB19_141:                             ;   in Loop: Header=BB19_14 Depth=1
	s_or_b64 exec, exec, s[6:7]
	v_cmp_gt_i32_e32 vcc, 50, v2
	s_mov_b64 s[6:7], -1
	s_and_saveexec_b64 s[74:75], vcc
; %bb.142:                              ;   in Loop: Header=BB19_14 Depth=1
	v_cmp_eq_u32_e32 vcc, 0, v2
	s_orn2_b64 s[6:7], vcc, exec
; %bb.143:                              ;   in Loop: Header=BB19_14 Depth=1
	s_or_b64 exec, exec, s[74:75]
	s_and_b64 exec, exec, s[6:7]
	s_cbranch_execz .LBB19_146
; %bb.144:                              ;   in Loop: Header=BB19_14 Depth=1
	v_cmp_gt_i32_e32 vcc, s28, v142
	s_and_b64 s[4:5], vcc, s[72:73]
	s_and_b64 exec, exec, s[4:5]
	s_cbranch_execz .LBB19_146
; %bb.145:                              ;   in Loop: Header=BB19_14 Depth=1
	ds_read_b32 v5, v201 offset:128
	v_mad_u64_u32 v[2:3], s[4:5], v142, s29, v[94:95]
	v_mul_lo_u32 v2, v2, 56
	v_ashrrev_i32_e32 v3, 31, v2
	s_waitcnt lgkmcnt(0)
	v_cvt_f32_f16_e32 v4, v5
	v_cvt_f32_f16_sdwa v5, v5 dst_sel:DWORD dst_unused:UNUSED_PAD src0_sel:WORD_1
	v_lshl_add_u64 v[2:3], v[2:3], 0, v[40:41]
	v_lshl_add_u64 v[2:3], v[2:3], 3, v[102:103]
	v_pk_add_f32 v[4:5], v[4:5], 0 op_sel_hi:[1,0]
	global_store_dwordx2 v[2:3], v[4:5], off offset:256
.LBB19_146:                             ;   in Loop: Header=BB19_14 Depth=1
	s_or_b64 exec, exec, s[8:9]
	v_cmp_gt_i32_e64 s[6:7], s33, v143
	v_cmp_gt_i32_e64 s[8:9], s28, v141
	v_cmp_le_i32_e32 vcc, s33, v143
	s_and_b64 s[4:5], s[8:9], s[6:7]
	v_mov_b32_e32 v2, 50
	s_and_saveexec_b64 s[6:7], s[4:5]
	s_cbranch_execz .LBB19_148
; %bb.147:                              ;   in Loop: Header=BB19_14 Depth=1
	v_add_u32_e32 v2, v166, v163
	ds_read_b32 v4, v2 offset:192
	v_mad_u64_u32 v[2:3], s[4:5], v141, s29, v[90:91]
	v_mul_lo_u32 v6, v2, 56
	v_ashrrev_i32_e32 v5, 31, v6
	s_waitcnt lgkmcnt(0)
	v_cvt_f32_f16_e32 v2, v4
	v_cvt_f32_f16_sdwa v3, v4 dst_sel:DWORD dst_unused:UNUSED_PAD src0_sel:WORD_1
	v_or_b32_e32 v4, v6, v70
	v_lshl_add_u64 v[4:5], v[4:5], 3, v[102:103]
	v_pk_add_f32 v[2:3], v[2:3], 0 op_sel_hi:[1,0]
	global_store_dwordx2 v[4:5], v[2:3], off offset:384
	v_mov_b32_e32 v2, 0
.LBB19_148:                             ;   in Loop: Header=BB19_14 Depth=1
	s_or_b64 exec, exec, s[6:7]
	v_cmp_gt_i32_e64 s[6:7], 50, v2
	s_mov_b64 s[76:77], -1
	s_and_saveexec_b64 s[8:9], s[6:7]
; %bb.149:                              ;   in Loop: Header=BB19_14 Depth=1
	v_cmp_eq_u32_e64 s[6:7], 0, v2
	s_orn2_b64 s[76:77], s[6:7], exec
; %bb.150:                              ;   in Loop: Header=BB19_14 Depth=1
	s_or_b64 exec, exec, s[8:9]
	s_mov_b64 s[72:73], 0
	s_mov_b64 s[8:9], 0
                                        ; implicit-def: $vgpr2_vgpr3
	s_and_saveexec_b64 s[74:75], s[76:77]
	s_cbranch_execz .LBB19_154
; %bb.151:                              ;   in Loop: Header=BB19_14 Depth=1
	v_cmp_gt_i32_e64 s[6:7], s28, v101
	s_xor_b64 s[4:5], vcc, -1
	s_and_b64 s[4:5], s[6:7], s[4:5]
	s_mov_b64 s[6:7], 0
                                        ; implicit-def: $vgpr2_vgpr3
	s_and_saveexec_b64 s[8:9], s[4:5]
	s_xor_b64 s[8:9], exec, s[8:9]
	s_cbranch_execz .LBB19_153
; %bb.152:                              ;   in Loop: Header=BB19_14 Depth=1
	v_add_u32_e32 v2, v166, v163
	ds_read_b32 v3, v2 offset:7872
	s_mov_b64 s[6:7], exec
	s_waitcnt lgkmcnt(0)
	v_cvt_f32_f16_e32 v2, v3
	v_cvt_f32_f16_sdwa v3, v3 dst_sel:DWORD dst_unused:UNUSED_PAD src0_sel:WORD_1
	v_pk_add_f32 v[2:3], v[2:3], 0 op_sel_hi:[1,0]
.LBB19_153:                             ;   in Loop: Header=BB19_14 Depth=1
	s_or_b64 exec, exec, s[8:9]
	s_and_b64 s[8:9], s[6:7], exec
.LBB19_154:                             ;   in Loop: Header=BB19_14 Depth=1
	s_or_b64 exec, exec, s[74:75]
	s_and_b64 vcc, exec, s[72:73]
	s_cbranch_vccz .LBB19_292
.LBB19_155:                             ;   in Loop: Header=BB19_14 Depth=1
	v_cmp_gt_i32_e64 s[6:7], s28, v217
	v_cmp_gt_i32_e32 vcc, s33, v140
	s_and_b64 s[96:97], s[6:7], vcc
	s_xor_b64 s[6:7], s[96:97], -1
	s_and_saveexec_b64 s[72:73], s[6:7]
	s_xor_b64 s[6:7], exec, s[72:73]
; %bb.156:                              ;   in Loop: Header=BB19_14 Depth=1
	v_add_u32_e32 v2, v182, v209
	ds_write_b32 v2, v45
; %bb.157:                              ;   in Loop: Header=BB19_14 Depth=1
	s_andn2_saveexec_b64 s[6:7], s[6:7]
	s_cbranch_execz .LBB19_159
; %bb.158:                              ;   in Loop: Header=BB19_14 Depth=1
	v_mad_u64_u32 v[2:3], s[72:73], v217, s53, v[100:101]
	v_ashrrev_i32_e32 v3, 31, v2
	v_lshl_add_u64 v[2:3], v[2:3], 3, v[120:121]
	global_load_dwordx2 v[2:3], v[2:3], off
	s_waitcnt vmcnt(0)
	v_cvt_pk_f16_f32 v2, v2, v3
	v_pk_mul_f16 v2, v2, v203
	v_add_u32_e32 v3, v182, v209
	ds_write_b32 v3, v2
.LBB19_159:                             ;   in Loop: Header=BB19_14 Depth=1
	s_or_b64 exec, exec, s[6:7]
	v_add_u32_e32 v229, v153, v139
	v_cmp_gt_i32_e64 s[6:7], s28, v229
	s_and_b64 s[94:95], s[6:7], vcc
	s_xor_b64 s[6:7], s[94:95], -1
	s_and_saveexec_b64 s[72:73], s[6:7]
	s_xor_b64 s[6:7], exec, s[72:73]
; %bb.160:                              ;   in Loop: Header=BB19_14 Depth=1
	v_add_u32_e32 v2, v182, v209
	ds_write_b32 v2, v45 offset:1920
; %bb.161:                              ;   in Loop: Header=BB19_14 Depth=1
	s_andn2_saveexec_b64 s[6:7], s[6:7]
	s_cbranch_execz .LBB19_163
; %bb.162:                              ;   in Loop: Header=BB19_14 Depth=1
	v_mad_u64_u32 v[2:3], s[72:73], v229, s53, v[100:101]
	v_ashrrev_i32_e32 v3, 31, v2
	v_lshl_add_u64 v[2:3], v[2:3], 3, v[120:121]
	global_load_dwordx2 v[2:3], v[2:3], off
	s_waitcnt vmcnt(0)
	v_cvt_pk_f16_f32 v2, v2, v3
	v_pk_mul_f16 v2, v2, v203
	v_add_u32_e32 v3, v182, v209
	ds_write_b32 v3, v2 offset:1920
.LBB19_163:                             ;   in Loop: Header=BB19_14 Depth=1
	s_or_b64 exec, exec, s[6:7]
	v_add_u32_e32 v228, v156, v139
	v_cmp_gt_i32_e64 s[6:7], s28, v228
	s_and_b64 s[92:93], s[6:7], vcc
	s_xor_b64 s[6:7], s[92:93], -1
	s_and_saveexec_b64 s[72:73], s[6:7]
	s_xor_b64 s[6:7], exec, s[72:73]
; %bb.164:                              ;   in Loop: Header=BB19_14 Depth=1
	v_add_u32_e32 v2, v182, v209
	ds_write_b32 v2, v45 offset:3840
; %bb.165:                              ;   in Loop: Header=BB19_14 Depth=1
	s_andn2_saveexec_b64 s[6:7], s[6:7]
	s_cbranch_execz .LBB19_167
; %bb.166:                              ;   in Loop: Header=BB19_14 Depth=1
	v_mad_u64_u32 v[2:3], s[72:73], v228, s53, v[100:101]
	v_ashrrev_i32_e32 v3, 31, v2
	v_lshl_add_u64 v[2:3], v[2:3], 3, v[120:121]
	global_load_dwordx2 v[2:3], v[2:3], off
	s_waitcnt vmcnt(0)
	v_cvt_pk_f16_f32 v2, v2, v3
	v_pk_mul_f16 v2, v2, v203
	v_add_u32_e32 v3, v182, v209
	ds_write_b32 v3, v2 offset:3840
.LBB19_167:                             ;   in Loop: Header=BB19_14 Depth=1
	;; [unrolled: 24-line block ×7, first 2 shown]
	s_or_b64 exec, exec, s[6:7]
	v_add_u32_e32 v222, v210, v139
	v_or_b32_e32 v2, v94, v138
	v_cmp_gt_i32_e64 s[6:7], s28, v222
	v_cmp_gt_i32_e32 vcc, s33, v2
	s_and_b64 s[80:81], s[6:7], vcc
	s_xor_b64 s[6:7], s[80:81], -1
	s_and_saveexec_b64 s[72:73], s[6:7]
	s_xor_b64 s[6:7], exec, s[72:73]
; %bb.188:                              ;   in Loop: Header=BB19_14 Depth=1
	ds_write_b32 v178, v45 offset:128
; %bb.189:                              ;   in Loop: Header=BB19_14 Depth=1
	s_andn2_saveexec_b64 s[6:7], s[6:7]
	s_cbranch_execz .LBB19_191
; %bb.190:                              ;   in Loop: Header=BB19_14 Depth=1
	v_mad_u64_u32 v[2:3], s[72:73], v222, s53, v[96:97]
	v_ashrrev_i32_e32 v3, 31, v2
	v_lshl_add_u64 v[2:3], v[2:3], 3, v[120:121]
	global_load_dwordx2 v[2:3], v[2:3], off
	s_waitcnt vmcnt(0)
	v_cvt_pk_f16_f32 v2, v2, v3
	v_pk_mul_f16 v2, v2, v203
	v_add_u32_e32 v3, v176, v211
	ds_write_b32 v3, v2 offset:128
.LBB19_191:                             ;   in Loop: Header=BB19_14 Depth=1
	s_or_b64 exec, exec, s[6:7]
	v_add_u32_e32 v221, v160, v139
	v_cmp_gt_i32_e64 s[6:7], s28, v221
	s_and_b64 s[78:79], s[6:7], vcc
	s_xor_b64 s[6:7], s[78:79], -1
	s_and_saveexec_b64 s[72:73], s[6:7]
	s_xor_b64 s[6:7], exec, s[72:73]
; %bb.192:                              ;   in Loop: Header=BB19_14 Depth=1
	ds_write_b32 v212, v45 offset:128
; %bb.193:                              ;   in Loop: Header=BB19_14 Depth=1
	s_andn2_saveexec_b64 s[6:7], s[6:7]
	s_cbranch_execz .LBB19_195
; %bb.194:                              ;   in Loop: Header=BB19_14 Depth=1
	v_mad_u64_u32 v[2:3], s[72:73], v221, s53, v[96:97]
	v_ashrrev_i32_e32 v3, 31, v2
	v_lshl_add_u64 v[2:3], v[2:3], 3, v[120:121]
	global_load_dwordx2 v[2:3], v[2:3], off
	s_waitcnt vmcnt(0)
	v_cvt_pk_f16_f32 v2, v2, v3
	v_pk_mul_f16 v2, v2, v203
	v_add_u32_e32 v3, v176, v211
	ds_write_b32 v3, v2 offset:3968
.LBB19_195:                             ;   in Loop: Header=BB19_14 Depth=1
	s_or_b64 exec, exec, s[6:7]
	v_add_u32_e32 v220, v161, v139
	v_cmp_gt_i32_e64 s[6:7], s28, v220
	;; [unrolled: 23-line block ×3, first 2 shown]
	s_and_b64 s[74:75], s[6:7], vcc
	s_xor_b64 s[6:7], s[74:75], -1
	s_and_saveexec_b64 s[72:73], s[6:7]
	s_xor_b64 s[6:7], exec, s[72:73]
; %bb.200:                              ;   in Loop: Header=BB19_14 Depth=1
	ds_write_b32 v214, v45 offset:128
; %bb.201:                              ;   in Loop: Header=BB19_14 Depth=1
	s_andn2_saveexec_b64 s[6:7], s[6:7]
	s_cbranch_execz .LBB19_203
; %bb.202:                              ;   in Loop: Header=BB19_14 Depth=1
	v_mad_u64_u32 v[2:3], s[72:73], v219, s53, v[96:97]
	v_ashrrev_i32_e32 v3, 31, v2
	v_lshl_add_u64 v[2:3], v[2:3], 3, v[120:121]
	global_load_dwordx2 v[2:3], v[2:3], off
	s_waitcnt vmcnt(0)
	v_cvt_pk_f16_f32 v2, v2, v3
	v_pk_mul_f16 v2, v2, v203
	v_add_u32_e32 v3, v176, v211
	ds_write_b32 v3, v2 offset:11648
.LBB19_203:                             ;   in Loop: Header=BB19_14 Depth=1
	s_or_b64 exec, exec, s[6:7]
	v_or_b32_e32 v2, v138, v90
	v_add_u32_e32 v218, v164, v139
	v_cmp_gt_i32_e32 vcc, s33, v2
	v_cmp_gt_i32_e64 s[6:7], s28, v218
	s_and_b64 s[72:73], s[6:7], vcc
	s_xor_b64 s[6:7], s[72:73], -1
	s_and_saveexec_b64 s[98:99], s[6:7]
	s_xor_b64 s[6:7], exec, s[98:99]
; %bb.204:                              ;   in Loop: Header=BB19_14 Depth=1
	ds_write_b32 v167, v45 offset:192
; %bb.205:                              ;   in Loop: Header=BB19_14 Depth=1
	s_andn2_saveexec_b64 s[6:7], s[6:7]
	s_cbranch_execz .LBB19_207
; %bb.206:                              ;   in Loop: Header=BB19_14 Depth=1
	v_mad_u64_u32 v[2:3], s[4:5], v218, s53, v[92:93]
	v_ashrrev_i32_e32 v3, 31, v2
	v_lshl_add_u64 v[2:3], v[2:3], 3, v[120:121]
	global_load_dwordx2 v[2:3], v[2:3], off
	s_waitcnt vmcnt(0)
	v_cvt_pk_f16_f32 v2, v2, v3
	v_pk_mul_f16 v2, v2, v203
	v_add_u32_e32 v3, v166, v163
	ds_write_b32 v3, v2 offset:192
.LBB19_207:                             ;   in Loop: Header=BB19_14 Depth=1
	s_or_b64 exec, exec, s[6:7]
	v_add_u32_e32 v101, v165, v139
	v_cmp_gt_i32_e64 s[6:7], s28, v101
	s_and_b64 s[6:7], s[6:7], vcc
	s_xor_b64 s[4:5], s[6:7], -1
	s_and_saveexec_b64 s[98:99], s[4:5]
	s_xor_b64 s[98:99], exec, s[98:99]
; %bb.208:                              ;   in Loop: Header=BB19_14 Depth=1
	ds_write_b32 v168, v45 offset:192
                                        ; implicit-def: $vgpr120_vgpr121
; %bb.209:                              ;   in Loop: Header=BB19_14 Depth=1
	s_andn2_saveexec_b64 s[98:99], s[98:99]
	s_cbranch_execz .LBB19_211
; %bb.210:                              ;   in Loop: Header=BB19_14 Depth=1
	v_mad_u64_u32 v[2:3], s[4:5], v101, s53, v[92:93]
	v_ashrrev_i32_e32 v3, 31, v2
	v_lshl_add_u64 v[2:3], v[2:3], 3, v[120:121]
	global_load_dwordx2 v[2:3], v[2:3], off
	s_waitcnt vmcnt(0)
	v_cvt_pk_f16_f32 v2, v2, v3
	v_pk_mul_f16 v2, v2, v203
	v_add_u32_e32 v3, v166, v163
	ds_write_b32 v3, v2 offset:7872
.LBB19_211:                             ;   in Loop: Header=BB19_14 Depth=1
	s_or_b64 exec, exec, s[98:99]
	s_waitcnt lgkmcnt(0)
	s_barrier
	ds_read2_b64 v[10:13], v43 offset1:4
	ds_read2_b64 v[6:9], v43 offset0:8 offset1:12
	ds_read2_b64 v[2:5], v43 offset0:16 offset1:20
	ds_read_b64 v[120:121], v43 offset:192
	v_add_u32_e32 v14, v139, v39
	v_mul_hi_u32 v15, s42, v14
	v_add_u32_e32 v15, v14, v15
	v_lshrrev_b32_e32 v15, s43, v15
	v_mul_lo_u32 v15, v15, s28
	s_cmp_lt_i32 s38, 2
	v_sub_u32_e32 v44, v14, v15
	s_waitcnt lgkmcnt(0)
	s_barrier
	s_cbranch_scc1 .LBB19_218
; %bb.212:                              ;   in Loop: Header=BB19_14 Depth=1
	v_and_b32_e32 v14, 64, v215
	v_add_u32_e32 v14, 64, v14
	v_xor_b32_e32 v15, 32, v215
	v_cmp_lt_i32_e32 vcc, v15, v14
	v_readlane_b32 s4, v250, 21
	v_readlane_b32 s5, v250, 22
	v_cndmask_b32_e32 v15, v215, v15, vcc
	v_lshlrev_b32_e32 v232, 2, v15
	v_xor_b32_e32 v15, 16, v215
	v_cmp_lt_i32_e32 vcc, v15, v14
	s_add_i32 s49, s38, -1
	v_lshl_add_u64 v[124:125], v[74:75], 0, v[122:123]
	v_cndmask_b32_e32 v14, v215, v15, vcc
	v_lshlrev_b32_e32 v233, 2, v14
	v_mad_i64_i32 v[14:15], s[4:5], s4, v44, v[118:119]
	v_lshl_add_u64 v[118:119], v[72:73], 0, v[14:15]
	v_lshl_add_u64 v[126:127], v[76:77], 0, v[122:123]
	;; [unrolled: 1-line block ×8, first 2 shown]
	v_mov_b32_e32 v34, 0
	v_mov_b32_e32 v27, 0xfeffffff
	;; [unrolled: 1-line block ×3, first 2 shown]
	s_mov_b32 s38, s49
	v_mov_b32_e32 v35, 0
	v_mov_b32_e32 v31, 0
	;; [unrolled: 1-line block ×13, first 2 shown]
	global_load_dword v14, v[118:119], off
	s_waitcnt vmcnt(0)
	ds_write_b32 v51, v14 offset:15360
	s_and_saveexec_b64 s[98:99], s[0:1]
	s_cbranch_execz .LBB19_214
.LBB19_213:                             ;   in Loop: Header=BB19_14 Depth=1
	v_lshl_add_u64 v[14:15], v[116:117], 0, v[112:113]
	global_load_dwordx4 v[14:17], v[14:15], off
	s_waitcnt vmcnt(0)
	ds_write_b128 v144, v[14:17]
.LBB19_214:                             ;   Parent Loop BB19_14 Depth=1
                                        ; =>  This Inner Loop Header: Depth=2
	s_or_b64 exec, exec, s[98:99]
	v_lshl_add_u64 v[14:15], v[130:131], 0, v[112:113]
	global_load_dwordx4 v[14:17], v[14:15], off
	v_lshl_add_u64 v[18:19], v[132:133], 0, v[112:113]
	v_lshl_add_u64 v[20:21], v[134:135], 0, v[112:113]
	v_add_u32_e32 v22, 0x800, v204
	v_add_u32_e32 v230, 0x1800, v204
	s_waitcnt vmcnt(0)
	ds_write_b128 v57, v[14:17]
	global_load_dwordx4 v[14:17], v[18:19], off
	s_waitcnt vmcnt(0)
	ds_write_b128 v93, v[14:17]
	global_load_dwordx4 v[14:17], v[20:21], off
	s_waitcnt vmcnt(0)
	ds_write_b128 v97, v[14:17]
	s_waitcnt lgkmcnt(0)
	s_barrier
	ds_read2_b64 v[14:17], v204 offset1:4
	s_waitcnt lgkmcnt(0)
	v_mfma_f32_16x16x16_f16 v[18:21], v[14:15], v[10:11], 0
	v_mfma_f32_16x16x16_f16 v[14:17], v[16:17], v[12:13], v[18:21]
	s_nop 6
	ds_read2_b64 v[18:21], v204 offset0:8 offset1:12
	s_waitcnt lgkmcnt(0)
	v_mfma_f32_16x16x16_f16 v[14:17], v[18:19], v[6:7], v[14:17]
	v_mfma_f32_16x16x16_f16 v[14:17], v[20:21], v[8:9], v[14:17]
	ds_read2_b64 v[18:21], v204 offset0:16 offset1:20
	s_waitcnt lgkmcnt(0)
	v_mfma_f32_16x16x16_f16 v[14:17], v[18:19], v[2:3], v[14:17]
	ds_read_b64 v[18:19], v204 offset:192
	v_mfma_f32_16x16x16_f16 v[14:17], v[20:21], v[4:5], v[14:17]
	s_waitcnt lgkmcnt(0)
	v_mfma_f32_16x16x16_f16 v[140:143], v[18:19], v[120:121], v[14:17]
	s_nop 5
	ds_read2_b64 v[14:17], v22 offset0:224 offset1:228
	s_waitcnt lgkmcnt(0)
	v_mfma_f32_16x16x16_f16 v[18:21], v[14:15], v[10:11], 0
	v_mfma_f32_16x16x16_f16 v[14:17], v[16:17], v[12:13], v[18:21]
	s_nop 6
	ds_read2_b64 v[18:21], v22 offset0:232 offset1:236
	s_waitcnt lgkmcnt(0)
	v_mfma_f32_16x16x16_f16 v[14:17], v[18:19], v[6:7], v[14:17]
	v_mfma_f32_16x16x16_f16 v[14:17], v[20:21], v[8:9], v[14:17]
	ds_read2_b64 v[18:21], v22 offset0:240 offset1:244
	s_waitcnt lgkmcnt(0)
	v_mfma_f32_16x16x16_f16 v[14:17], v[18:19], v[2:3], v[14:17]
	ds_read_b64 v[18:19], v204 offset:4032
	v_mfma_f32_16x16x16_f16 v[14:17], v[20:21], v[4:5], v[14:17]
	s_waitcnt lgkmcnt(0)
	v_mfma_f32_16x16x16_f16 v[18:21], v[18:19], v[120:121], v[14:17]
	s_nop 5
	ds_read2_b64 v[14:17], v230 offset0:192 offset1:196
	s_waitcnt lgkmcnt(0)
	v_mfma_f32_16x16x16_f16 v[22:25], v[14:15], v[10:11], 0
	v_mfma_f32_16x16x16_f16 v[14:17], v[16:17], v[12:13], v[22:25]
	s_nop 6
	ds_read2_b64 v[22:25], v230 offset0:200 offset1:204
	s_waitcnt lgkmcnt(0)
	v_mfma_f32_16x16x16_f16 v[14:17], v[22:23], v[6:7], v[14:17]
	v_mfma_f32_16x16x16_f16 v[14:17], v[24:25], v[8:9], v[14:17]
	ds_read2_b64 v[22:25], v230 offset0:208 offset1:212
	v_add_u32_e32 v230, 0x2800, v204
	s_waitcnt lgkmcnt(0)
	v_mfma_f32_16x16x16_f16 v[14:17], v[22:23], v[2:3], v[14:17]
	ds_read_b64 v[22:23], v204 offset:7872
	v_mfma_f32_16x16x16_f16 v[14:17], v[24:25], v[4:5], v[14:17]
	s_waitcnt lgkmcnt(0)
	v_mfma_f32_16x16x16_f16 v[22:25], v[22:23], v[120:121], v[14:17]
	s_nop 5
	ds_read2_b64 v[14:17], v230 offset0:160 offset1:164
	s_waitcnt lgkmcnt(0)
	v_mfma_f32_16x16x16_f16 v[234:237], v[14:15], v[10:11], 0
	v_mfma_f32_16x16x16_f16 v[14:17], v[16:17], v[12:13], v[234:237]
	s_nop 6
	ds_read2_b64 v[234:237], v230 offset0:168 offset1:172
	s_waitcnt lgkmcnt(0)
	v_mfma_f32_16x16x16_f16 v[14:17], v[234:235], v[6:7], v[14:17]
	v_mfma_f32_16x16x16_f16 v[14:17], v[236:237], v[8:9], v[14:17]
	ds_read2_b64 v[234:237], v230 offset0:176 offset1:180
	ds_read_b64 v[230:231], v204 offset:11712
	s_waitcnt lgkmcnt(0)
	v_mfma_f32_16x16x16_f16 v[14:17], v[234:235], v[2:3], v[14:17]
	s_barrier
	v_mfma_f32_16x16x16_f16 v[14:17], v[236:237], v[4:5], v[14:17]
	v_mfma_f32_16x16x16_f16 v[14:17], v[230:231], v[120:121], v[14:17]
	ds_read_b32 v230, v145 offset:15360
	s_waitcnt lgkmcnt(0)
	v_cvt_f32_f16_e32 v231, v230
	v_cvt_f32_f16_sdwa v230, v230 dst_sel:DWORD dst_unused:UNUSED_PAD src0_sel:WORD_1
	v_add_f32_e32 v239, v140, v231
	ds_read_b32 v140, v146 offset:15360
	v_add_f32_e32 v238, v141, v230
	s_waitcnt lgkmcnt(0)
	v_cvt_f32_f16_e32 v141, v140
	v_cvt_f32_f16_sdwa v140, v140 dst_sel:DWORD dst_unused:UNUSED_PAD src0_sel:WORD_1
	v_add_f32_e32 v237, v142, v141
	v_add_f32_e32 v235, v143, v140
	v_add_u32_e32 v140, 0x3c00, v205
	ds_read2_b32 v[140:141], v140 offset1:1
	s_waitcnt lgkmcnt(0)
	v_cvt_f32_f16_e32 v142, v140
	v_cvt_f32_f16_sdwa v140, v140 dst_sel:DWORD dst_unused:UNUSED_PAD src0_sel:WORD_1
	v_add_f32_e32 v236, v18, v142
	v_cvt_f32_f16_e32 v18, v141
	v_add_f32_e32 v234, v19, v140
	v_cvt_f32_f16_sdwa v19, v141 dst_sel:DWORD dst_unused:UNUSED_PAD src0_sel:WORD_1
	v_add_f32_e32 v140, v20, v18
	v_add_u32_e32 v18, 0x3c00, v206
	v_add_f32_e32 v141, v21, v19
	ds_read2_b32 v[18:19], v18 offset1:1
	s_waitcnt lgkmcnt(0)
	v_cvt_f32_f16_e32 v20, v18
	v_cvt_f32_f16_sdwa v18, v18 dst_sel:DWORD dst_unused:UNUSED_PAD src0_sel:WORD_1
	v_add_f32_e32 v142, v22, v20
	v_add_f32_e32 v143, v23, v18
	v_cvt_f32_f16_e32 v18, v19
	v_cvt_f32_f16_sdwa v19, v19 dst_sel:DWORD dst_unused:UNUSED_PAD src0_sel:WORD_1
	v_add_f32_e32 v23, v24, v18
	v_add_u32_e32 v18, 0x3c00, v207
	v_add_f32_e32 v22, v25, v19
	ds_read2_b32 v[18:19], v18 offset1:1
	s_waitcnt lgkmcnt(0)
	v_cvt_f32_f16_e32 v20, v18
	v_cvt_f32_f16_sdwa v18, v18 dst_sel:DWORD dst_unused:UNUSED_PAD src0_sel:WORD_1
	v_add_f32_e32 v231, v14, v20
	v_add_f32_e32 v14, v15, v18
	v_cvt_f32_f16_e32 v15, v19
	v_cvt_f32_f16_sdwa v18, v19 dst_sel:DWORD dst_unused:UNUSED_PAD src0_sel:WORD_1
	v_add_f32_e32 v19, 0x40051340, v235
	v_add_f32_e32 v16, v16, v15
	;; [unrolled: 1-line block ×5, first 2 shown]
	v_max3_f32 v17, v27, v17, v18
	v_add_f32_e32 v18, 0x40051340, v237
	v_max3_f32 v17, v17, v18, v19
	v_add_f32_e32 v18, 0x40051340, v236
	v_add_f32_e32 v19, 0x40051340, v234
	v_max3_f32 v17, v17, v18, v19
	v_add_f32_e32 v18, 0x40051340, v140
	;; [unrolled: 3-line block ×6, first 2 shown]
	v_add_f32_e32 v19, 0x40051340, v15
	v_max3_f32 v17, v17, v18, v19
	ds_bpermute_b32 v18, v232, v17
	s_waitcnt lgkmcnt(0)
	v_max_f32_e32 v18, v18, v18
	v_max_f32_e32 v17, v17, v18
	ds_bpermute_b32 v18, v233, v17
	s_and_saveexec_b64 s[98:99], s[0:1]
	s_cbranch_execz .LBB19_216
; %bb.215:                              ;   in Loop: Header=BB19_214 Depth=2
	v_lshl_add_u64 v[20:21], v[124:125], 0, v[114:115]
	global_load_dwordx4 v[240:243], v[20:21], off
	s_waitcnt vmcnt(0)
	ds_write_b128 v144, v[240:243]
.LBB19_216:                             ;   in Loop: Header=BB19_214 Depth=2
	s_or_b64 exec, exec, s[98:99]
	s_waitcnt lgkmcnt(0)
	v_max_f32_e32 v18, v18, v18
	v_max_f32_e32 v17, v17, v17
	;; [unrolled: 1-line block ×3, first 2 shown]
	v_sub_f32_e32 v17, v239, v230
	v_mul_f32_e32 v18, 0x3fb8aa3b, v17
	v_fma_f32 v19, v17, s41, -v18
	v_rndne_f32_e32 v20, v18
	v_fmac_f32_e32 v19, 0x32a5705f, v17
	v_sub_f32_e32 v18, v18, v20
	v_add_f32_e32 v18, v18, v19
	v_exp_f32_e32 v18, v18
	v_cvt_i32_f32_e32 v19, v20
	v_cmp_ngt_f32_e32 vcc, s58, v17
	v_sub_f32_e32 v140, v140, v230
	v_sub_f32_e32 v141, v141, v230
	v_ldexp_f32 v18, v18, v19
	v_cndmask_b32_e32 v18, 0, v18, vcc
	v_cmp_nlt_f32_e32 vcc, s59, v17
	v_sub_f32_e32 v17, v238, v230
	v_mul_f32_e32 v19, 0x3fb8aa3b, v17
	v_fma_f32 v20, v17, s41, -v19
	v_rndne_f32_e32 v21, v19
	v_fmac_f32_e32 v20, 0x32a5705f, v17
	v_sub_f32_e32 v19, v19, v21
	v_add_f32_e32 v19, v19, v20
	v_exp_f32_e32 v19, v19
	v_cvt_i32_f32_e32 v20, v21
	v_cndmask_b32_e32 v18, v216, v18, vcc
	v_cmp_ngt_f32_e32 vcc, s58, v17
	v_sub_f32_e32 v142, v142, v230
	v_ldexp_f32 v19, v19, v20
	v_sub_f32_e32 v20, v237, v230
	v_mul_f32_e32 v21, 0x3fb8aa3b, v20
	v_fma_f32 v24, v20, s41, -v21
	v_rndne_f32_e32 v25, v21
	v_fmac_f32_e32 v24, 0x32a5705f, v20
	v_sub_f32_e32 v21, v21, v25
	v_add_f32_e32 v21, v21, v24
	v_exp_f32_e32 v21, v21
	v_cvt_i32_f32_e32 v24, v25
	v_cndmask_b32_e32 v19, 0, v19, vcc
	v_cmp_nlt_f32_e32 vcc, s59, v17
	v_sub_f32_e32 v143, v143, v230
	v_ldexp_f32 v21, v21, v24
	v_cndmask_b32_e32 v19, v216, v19, vcc
	v_cmp_ngt_f32_e32 vcc, s58, v20
	v_sub_f32_e32 v23, v23, v230
	v_sub_f32_e32 v22, v22, v230
	v_cndmask_b32_e32 v21, 0, v21, vcc
	v_cmp_nlt_f32_e32 vcc, s59, v20
	v_add_f32_e32 v17, v18, v19
	v_sub_f32_e32 v14, v14, v230
	v_cndmask_b32_e32 v20, v216, v21, vcc
	v_sub_f32_e32 v21, v235, v230
	v_mul_f32_e32 v24, 0x3fb8aa3b, v21
	v_fma_f32 v25, v21, s41, -v24
	v_rndne_f32_e32 v235, v24
	v_fmac_f32_e32 v25, 0x32a5705f, v21
	v_sub_f32_e32 v24, v24, v235
	v_add_f32_e32 v24, v24, v25
	v_exp_f32_e32 v24, v24
	v_cvt_i32_f32_e32 v25, v235
	v_cmp_ngt_f32_e32 vcc, s58, v21
	v_add_f32_e32 v17, v20, v17
	v_sub_f32_e32 v16, v16, v230
	v_ldexp_f32 v24, v24, v25
	v_cndmask_b32_e32 v24, 0, v24, vcc
	v_cmp_nlt_f32_e32 vcc, s59, v21
	v_sub_f32_e32 v21, v236, v230
	v_mul_f32_e32 v25, 0x3fb8aa3b, v21
	v_fma_f32 v235, v21, s41, -v25
	v_rndne_f32_e32 v236, v25
	v_fmac_f32_e32 v235, 0x32a5705f, v21
	v_sub_f32_e32 v25, v25, v236
	v_add_f32_e32 v25, v25, v235
	v_exp_f32_e32 v25, v25
	v_cvt_i32_f32_e32 v235, v236
	v_cndmask_b32_e32 v24, v216, v24, vcc
	v_cmp_ngt_f32_e32 vcc, s58, v21
	v_add_f32_e32 v17, v24, v17
	v_ldexp_f32 v25, v25, v235
	v_cndmask_b32_e32 v25, 0, v25, vcc
	v_cmp_nlt_f32_e32 vcc, s59, v21
	v_sub_f32_e32 v15, v15, v230
	s_add_i32 s38, s38, -1
	v_cndmask_b32_e32 v21, v216, v25, vcc
	v_sub_f32_e32 v25, v234, v230
	v_mul_f32_e32 v234, 0x3fb8aa3b, v25
	v_fma_f32 v235, v25, s41, -v234
	v_rndne_f32_e32 v236, v234
	v_fmac_f32_e32 v235, 0x32a5705f, v25
	v_sub_f32_e32 v234, v234, v236
	v_add_f32_e32 v234, v234, v235
	v_exp_f32_e32 v234, v234
	v_cvt_i32_f32_e32 v235, v236
	v_cmp_ngt_f32_e32 vcc, s58, v25
	v_add_f32_e32 v17, v21, v17
	v_lshl_add_u64 v[118:119], v[118:119], 0, s[68:69]
	v_ldexp_f32 v234, v234, v235
	v_cndmask_b32_e32 v234, 0, v234, vcc
	v_cmp_nlt_f32_e32 vcc, s59, v25
	v_lshl_add_u64 v[124:125], v[124:125], 0, s[66:67]
	v_lshl_add_u64 v[130:131], v[130:131], 0, s[70:71]
	v_cndmask_b32_e32 v25, v216, v234, vcc
	v_mul_f32_e32 v234, 0x3fb8aa3b, v140
	v_fma_f32 v235, v140, s41, -v234
	v_rndne_f32_e32 v236, v234
	v_fmac_f32_e32 v235, 0x32a5705f, v140
	v_sub_f32_e32 v234, v234, v236
	v_add_f32_e32 v234, v234, v235
	v_exp_f32_e32 v234, v234
	v_cvt_i32_f32_e32 v235, v236
	v_cmp_ngt_f32_e32 vcc, s58, v140
	v_add_f32_e32 v17, v25, v17
	v_lshl_add_u64 v[132:133], v[132:133], 0, s[70:71]
	v_ldexp_f32 v234, v234, v235
	v_cndmask_b32_e32 v234, 0, v234, vcc
	v_cmp_nlt_f32_e32 vcc, s59, v140
	v_lshl_add_u64 v[134:135], v[134:135], 0, s[70:71]
	v_lshl_add_u64 v[116:117], v[116:117], 0, s[70:71]
	v_cndmask_b32_e32 v140, v216, v234, vcc
	v_mul_f32_e32 v234, 0x3fb8aa3b, v141
	v_fma_f32 v235, v141, s41, -v234
	v_rndne_f32_e32 v236, v234
	v_fmac_f32_e32 v235, 0x32a5705f, v141
	v_sub_f32_e32 v234, v234, v236
	v_add_f32_e32 v234, v234, v235
	v_exp_f32_e32 v234, v234
	v_cvt_i32_f32_e32 v235, v236
	v_cmp_ngt_f32_e32 vcc, s58, v141
	v_add_f32_e32 v17, v140, v17
	s_cmp_lg_u32 s38, 0
	v_ldexp_f32 v234, v234, v235
	v_cndmask_b32_e32 v234, 0, v234, vcc
	v_cmp_nlt_f32_e32 vcc, s59, v141
	s_nop 1
	v_cndmask_b32_e32 v141, v216, v234, vcc
	v_mul_f32_e32 v234, 0x3fb8aa3b, v142
	v_fma_f32 v235, v142, s41, -v234
	v_rndne_f32_e32 v236, v234
	v_fmac_f32_e32 v235, 0x32a5705f, v142
	v_sub_f32_e32 v234, v234, v236
	v_add_f32_e32 v234, v234, v235
	v_exp_f32_e32 v234, v234
	v_cvt_i32_f32_e32 v235, v236
	v_cmp_ngt_f32_e32 vcc, s58, v142
	v_add_f32_e32 v17, v141, v17
	v_cvt_pk_f16_f32 v141, v140, v141
	v_ldexp_f32 v234, v234, v235
	v_cndmask_b32_e32 v234, 0, v234, vcc
	v_cmp_nlt_f32_e32 vcc, s59, v142
	v_cvt_pk_f16_f32 v140, v21, v25
	s_nop 0
	v_cndmask_b32_e32 v142, v216, v234, vcc
	v_mul_f32_e32 v234, 0x3fb8aa3b, v143
	v_fma_f32 v235, v143, s41, -v234
	v_rndne_f32_e32 v236, v234
	v_fmac_f32_e32 v235, 0x32a5705f, v143
	v_sub_f32_e32 v234, v234, v236
	v_add_f32_e32 v234, v234, v235
	v_exp_f32_e32 v234, v234
	v_cvt_i32_f32_e32 v235, v236
	v_cmp_ngt_f32_e32 vcc, s58, v143
	v_add_f32_e32 v17, v142, v17
	v_ldexp_f32 v234, v234, v235
	v_cndmask_b32_e32 v234, 0, v234, vcc
	v_cmp_nlt_f32_e32 vcc, s59, v143
	v_mul_f32_e32 v143, 0x3fb8aa3b, v23
	v_rndne_f32_e32 v235, v143
	v_cndmask_b32_e32 v236, v216, v234, vcc
	v_fma_f32 v234, v23, s41, -v143
	v_fmac_f32_e32 v234, 0x32a5705f, v23
	v_sub_f32_e32 v143, v143, v235
	v_add_f32_e32 v143, v143, v234
	v_exp_f32_e32 v143, v143
	v_cvt_i32_f32_e32 v234, v235
	v_cmp_ngt_f32_e32 vcc, s58, v23
	v_add_f32_e32 v17, v236, v17
	v_cvt_pk_f16_f32 v142, v142, v236
	v_ldexp_f32 v143, v143, v234
	v_cndmask_b32_e32 v143, 0, v143, vcc
	v_cmp_nlt_f32_e32 vcc, s59, v23
	v_mul_f32_e32 v23, 0x3fb8aa3b, v22
	v_fma_f32 v234, v22, s41, -v23
	v_rndne_f32_e32 v235, v23
	v_fmac_f32_e32 v234, 0x32a5705f, v22
	v_sub_f32_e32 v23, v23, v235
	v_add_f32_e32 v23, v23, v234
	v_exp_f32_e32 v23, v23
	v_cvt_i32_f32_e32 v234, v235
	v_cndmask_b32_e32 v143, v216, v143, vcc
	v_cmp_ngt_f32_e32 vcc, s58, v22
	v_add_f32_e32 v17, v143, v17
	v_ldexp_f32 v23, v23, v234
	v_cndmask_b32_e32 v23, 0, v23, vcc
	v_cmp_nlt_f32_e32 vcc, s59, v22
	v_sub_f32_e32 v22, v231, v230
	s_nop 0
	v_cndmask_b32_e32 v238, v216, v23, vcc
	v_mul_f32_e32 v23, 0x3fb8aa3b, v22
	v_fma_f32 v231, v22, s41, -v23
	v_rndne_f32_e32 v234, v23
	v_fmac_f32_e32 v231, 0x32a5705f, v22
	v_sub_f32_e32 v23, v23, v234
	v_add_f32_e32 v23, v23, v231
	v_exp_f32_e32 v23, v23
	v_cvt_i32_f32_e32 v231, v234
	v_cmp_ngt_f32_e32 vcc, s58, v22
	v_add_f32_e32 v17, v238, v17
	v_cvt_pk_f16_f32 v143, v143, v238
	v_ldexp_f32 v23, v23, v231
	v_cndmask_b32_e32 v23, 0, v23, vcc
	v_cmp_nlt_f32_e32 vcc, s59, v22
	v_mul_f32_e32 v22, 0x3fb8aa3b, v14
	v_rndne_f32_e32 v231, v22
	v_cndmask_b32_e32 v237, v216, v23, vcc
	v_fma_f32 v23, v14, s41, -v22
	v_fmac_f32_e32 v23, 0x32a5705f, v14
	v_sub_f32_e32 v22, v22, v231
	v_add_f32_e32 v22, v22, v23
	v_exp_f32_e32 v22, v22
	v_cvt_i32_f32_e32 v23, v231
	v_cmp_ngt_f32_e32 vcc, s58, v14
	v_add_f32_e32 v17, v237, v17
	v_ldexp_f32 v22, v22, v23
	v_cndmask_b32_e32 v22, 0, v22, vcc
	v_cmp_nlt_f32_e32 vcc, s59, v14
	s_nop 1
	v_cndmask_b32_e32 v239, v216, v22, vcc
	v_add_f32_e32 v14, v239, v17
	v_mul_f32_e32 v17, 0x3fb8aa3b, v16
	v_fma_f32 v22, v16, s41, -v17
	v_rndne_f32_e32 v23, v17
	v_fmac_f32_e32 v22, 0x32a5705f, v16
	v_sub_f32_e32 v17, v17, v23
	v_add_f32_e32 v17, v17, v22
	v_exp_f32_e32 v17, v17
	v_cvt_i32_f32_e32 v22, v23
	v_cmp_ngt_f32_e32 vcc, s58, v16
	v_ldexp_f32 v17, v17, v22
	s_nop 0
	v_cndmask_b32_e32 v17, 0, v17, vcc
	v_cmp_nlt_f32_e32 vcc, s59, v16
	v_mul_f32_e32 v16, 0x3fb8aa3b, v15
	v_rndne_f32_e32 v22, v16
	v_cndmask_b32_e32 v240, v216, v17, vcc
	v_fma_f32 v17, v15, s41, -v16
	v_fmac_f32_e32 v17, 0x32a5705f, v15
	v_sub_f32_e32 v16, v16, v22
	v_add_f32_e32 v16, v16, v17
	v_exp_f32_e32 v16, v16
	v_cvt_i32_f32_e32 v17, v22
	v_cmp_ngt_f32_e32 vcc, s58, v15
	v_add_f32_e32 v14, v240, v14
	v_ldexp_f32 v16, v16, v17
	v_cndmask_b32_e32 v16, 0, v16, vcc
	v_cmp_nlt_f32_e32 vcc, s59, v15
	s_nop 1
	v_cndmask_b32_e32 v241, v216, v16, vcc
	v_add_f32_e32 v231, v241, v14
	v_sub_f32_e32 v14, v27, v230
	v_mul_f32_e32 v15, 0x3fb8aa3b, v14
	v_fma_f32 v16, v14, s41, -v15
	v_rndne_f32_e32 v17, v15
	v_fmac_f32_e32 v16, 0x32a5705f, v14
	v_sub_f32_e32 v15, v15, v17
	v_add_f32_e32 v15, v15, v16
	v_exp_f32_e32 v15, v15
	v_cvt_i32_f32_e32 v16, v17
	v_cmp_ngt_f32_e32 vcc, s58, v14
	v_ldexp_f32 v15, v15, v16
	s_nop 0
	v_cndmask_b32_e32 v15, 0, v15, vcc
	v_cmp_nlt_f32_e32 vcc, s59, v14
	s_nop 1
	v_cndmask_b32_e32 v15, v216, v15, vcc
	v_cmp_le_f32_e32 vcc, s62, v14
	s_nop 1
	v_cndmask_b32_e32 v14, 0, v15, vcc
	v_fmac_f32_e32 v231, v26, v14
	v_cvt_f16_f32_e32 v14, v14
	v_mul_u32_u24_e32 v14, 0x10001, v14
	v_pk_mul_f16 v139, v139, v14
	v_pk_mul_f16 v138, v138, v14
	;; [unrolled: 1-line block ×14, first 2 shown]
	v_lshl_add_u64 v[14:15], v[126:127], 0, v[114:115]
	global_load_dwordx4 v[14:17], v[14:15], off
	v_cvt_pk_f16_f32 v137, v240, v241
	v_cvt_pk_f16_f32 v136, v237, v239
	v_cvt_f32_f16_e32 v236, v23
	v_cvt_f32_f16_sdwa v237, v23 dst_sel:DWORD dst_unused:UNUSED_PAD src0_sel:WORD_1
	v_cvt_f32_f16_e32 v238, v22
	v_cvt_f32_f16_sdwa v239, v22 dst_sel:DWORD dst_unused:UNUSED_PAD src0_sel:WORD_1
	v_lshl_add_u64 v[126:127], v[126:127], 0, s[66:67]
	s_waitcnt vmcnt(0)
	ds_write_b128 v57, v[14:17]
	v_lshl_add_u64 v[14:15], v[128:129], 0, v[114:115]
	global_load_dwordx4 v[14:17], v[14:15], off
	v_lshl_add_u64 v[128:129], v[128:129], 0, s[66:67]
	s_waitcnt vmcnt(0)
	ds_write_b128 v93, v[14:17]
	v_lshl_add_u64 v[14:15], v[122:123], 0, v[114:115]
	global_load_dwordx4 v[14:17], v[14:15], off
	v_lshl_add_u64 v[122:123], v[122:123], 0, s[66:67]
	s_waitcnt vmcnt(0)
	ds_write_b128 v97, v[14:17]
	s_waitcnt lgkmcnt(0)
	s_barrier
	ds_read_u16 v28, v147 offset:240
	ds_read_u16 v29, v148
	ds_read_u16 v32, v148 offset:32
	ds_read_u16 v33, v149
	ds_read_u16 v35, v149 offset:32
	v_cvt_f32_f16_e32 v14, v139
	v_cvt_f32_f16_sdwa v15, v139 dst_sel:DWORD dst_unused:UNUSED_PAD src0_sel:WORD_1
	v_cvt_f32_f16_e32 v16, v138
	s_waitcnt lgkmcnt(1)
	v_perm_b32 v29, v33, v29, s63
	ds_read_u16 v33, v147
	ds_read_u16 v37, v147 offset:32
	v_cvt_f32_f16_sdwa v17, v138 dst_sel:DWORD dst_unused:UNUSED_PAD src0_sel:WORD_1
	v_cvt_pk_f16_f32 v139, v20, v24
	v_cvt_pk_f16_f32 v138, v18, v19
	s_waitcnt lgkmcnt(1)
	v_perm_b32 v28, v28, v33, s63
	ds_read_u16 v18, v147 offset:3840
	ds_read_u16 v20, v147 offset:4080
	;; [unrolled: 1-line block ×4, first 2 shown]
	v_mfma_f32_16x16x16_f16 v[14:17], v[28:29], v[138:139], v[14:17]
	s_waitcnt lgkmcnt(0)
	v_perm_b32 v19, v24, v19, s63
	v_perm_b32 v18, v20, v18, s63
	;; [unrolled: 1-line block ×3, first 2 shown]
	s_nop 3
	v_cvt_f16_f32_e32 v14, v14
	v_cvt_f16_f32_e32 v15, v15
	;; [unrolled: 1-line block ×4, first 2 shown]
	v_cvt_f32_f16_e32 v14, v14
	v_cvt_f32_f16_e32 v15, v15
	;; [unrolled: 1-line block ×4, first 2 shown]
	s_nop 1
	v_mfma_f32_16x16x16_f16 v[14:17], v[18:19], v[140:141], v[14:17]
	ds_read_u16 v18, v147 offset:7680
	ds_read_u16 v20, v147 offset:7920
	;; [unrolled: 1-line block ×4, first 2 shown]
	s_nop 3
	v_cvt_f16_f32_e32 v14, v14
	v_cvt_f16_f32_e32 v15, v15
	;; [unrolled: 1-line block ×4, first 2 shown]
	s_waitcnt lgkmcnt(0)
	v_perm_b32 v19, v21, v19, s63
	v_perm_b32 v18, v20, v18, s63
	v_cvt_f32_f16_e32 v14, v14
	v_cvt_f32_f16_e32 v15, v15
	;; [unrolled: 1-line block ×4, first 2 shown]
	s_nop 1
	v_mfma_f32_16x16x16_f16 v[14:17], v[18:19], v[142:143], v[14:17]
	ds_read_u16 v18, v147 offset:11520
	ds_read_u16 v20, v147 offset:11760
	ds_read_u16 v19, v148 offset:11520
	ds_read_u16 v21, v149 offset:11520
	ds_read_u16 v24, v147 offset:272
	s_nop 2
	v_cvt_f16_f32_e32 v14, v14
	v_cvt_f16_f32_e32 v15, v15
	;; [unrolled: 1-line block ×4, first 2 shown]
	s_waitcnt lgkmcnt(1)
	v_perm_b32 v19, v21, v19, s63
	v_perm_b32 v18, v20, v18, s63
	v_cvt_f32_f16_e32 v14, v14
	v_cvt_f32_f16_e32 v15, v15
	v_cvt_f32_f16_e32 v16, v16
	v_cvt_f32_f16_e32 v17, v17
	s_waitcnt lgkmcnt(0)
	v_perm_b32 v24, v24, v37, s63
	v_cvt_f32_f16_e32 v20, v242
	v_mfma_f32_16x16x16_f16 v[14:17], v[18:19], v[136:137], v[14:17]
	v_cvt_f32_f16_e32 v18, v243
	v_cvt_f32_f16_sdwa v19, v243 dst_sel:DWORD dst_unused:UNUSED_PAD src0_sel:WORD_1
	v_cvt_f32_f16_sdwa v21, v242 dst_sel:DWORD dst_unused:UNUSED_PAD src0_sel:WORD_1
	s_nop 1
	v_mfma_f32_16x16x16_f16 v[18:21], v[24:25], v[138:139], v[18:21]
	ds_read_u16 v24, v147 offset:3872
	ds_read_u16 v28, v147 offset:4112
	ds_read_u16 v25, v148 offset:3872
	ds_read_u16 v29, v149 offset:3872
	s_nop 3
	v_cvt_f16_f32_e32 v18, v18
	v_cvt_f16_f32_e32 v19, v19
	v_cvt_f16_f32_e32 v20, v20
	v_cvt_f16_f32_e32 v21, v21
	s_waitcnt lgkmcnt(0)
	v_perm_b32 v25, v29, v25, s63
	v_perm_b32 v24, v28, v24, s63
	v_cvt_f32_f16_e32 v18, v18
	v_cvt_f32_f16_e32 v19, v19
	v_cvt_f32_f16_e32 v20, v20
	v_cvt_f32_f16_e32 v21, v21
	s_nop 1
	v_mfma_f32_16x16x16_f16 v[18:21], v[24:25], v[140:141], v[18:21]
	ds_read_u16 v24, v147 offset:7712
	ds_read_u16 v28, v147 offset:7952
	ds_read_u16 v25, v148 offset:7712
	ds_read_u16 v29, v149 offset:7712
	s_nop 3
	v_cvt_f16_f32_e32 v18, v18
	v_cvt_f16_f32_e32 v19, v19
	v_cvt_f16_f32_e32 v20, v20
	v_cvt_f16_f32_e32 v21, v21
	s_waitcnt lgkmcnt(0)
	v_perm_b32 v25, v29, v25, s63
	v_perm_b32 v24, v28, v24, s63
	v_cvt_f32_f16_e32 v18, v18
	v_cvt_f32_f16_e32 v19, v19
	v_cvt_f32_f16_e32 v20, v20
	v_cvt_f32_f16_e32 v21, v21
	;; [unrolled: 18-line block ×3, first 2 shown]
	s_nop 1
	v_mfma_f32_16x16x16_f16 v[18:21], v[24:25], v[136:137], v[18:21]
	ds_read_u16 v24, v147 offset:64
	ds_read_u16 v25, v147 offset:304
	;; [unrolled: 1-line block ×4, first 2 shown]
	s_waitcnt lgkmcnt(2)
	v_perm_b32 v22, v25, v24, s63
	s_waitcnt lgkmcnt(0)
	v_perm_b32 v23, v29, v28, s63
	ds_read_u16 v28, v147 offset:3904
	ds_read_u16 v32, v147 offset:4144
	;; [unrolled: 1-line block ×4, first 2 shown]
	v_mfma_f32_16x16x16_f16 v[22:25], v[22:23], v[138:139], v[236:239]
	s_waitcnt lgkmcnt(0)
	v_perm_b32 v29, v33, v29, s63
	v_perm_b32 v28, v32, v28, s63
	v_cvt_f32_f16_e32 v236, v27
	s_nop 3
	v_cvt_f16_f32_e32 v22, v22
	v_cvt_f16_f32_e32 v23, v23
	;; [unrolled: 1-line block ×4, first 2 shown]
	v_cvt_f32_f16_e32 v22, v22
	v_cvt_f32_f16_e32 v23, v23
	;; [unrolled: 1-line block ×4, first 2 shown]
	v_cvt_f32_f16_sdwa v237, v27 dst_sel:DWORD dst_unused:UNUSED_PAD src0_sel:WORD_1
	v_cvt_f32_f16_e32 v238, v26
	v_mfma_f32_16x16x16_f16 v[22:25], v[28:29], v[140:141], v[22:25]
	ds_read_u16 v28, v147 offset:7744
	ds_read_u16 v32, v147 offset:7984
	;; [unrolled: 1-line block ×4, first 2 shown]
	v_cvt_f32_f16_sdwa v239, v26 dst_sel:DWORD dst_unused:UNUSED_PAD src0_sel:WORD_1
	s_nop 2
	v_cvt_f16_f32_e32 v22, v22
	v_cvt_f16_f32_e32 v23, v23
	;; [unrolled: 1-line block ×4, first 2 shown]
	s_waitcnt lgkmcnt(0)
	v_perm_b32 v29, v33, v29, s63
	v_perm_b32 v28, v32, v28, s63
	v_cvt_f32_f16_e32 v22, v22
	v_cvt_f32_f16_e32 v23, v23
	;; [unrolled: 1-line block ×4, first 2 shown]
	s_nop 1
	v_mfma_f32_16x16x16_f16 v[22:25], v[28:29], v[142:143], v[22:25]
	ds_read_u16 v28, v147 offset:11584
	ds_read_u16 v32, v147 offset:11824
	;; [unrolled: 1-line block ×4, first 2 shown]
	s_nop 3
	v_cvt_f16_f32_e32 v22, v22
	v_cvt_f16_f32_e32 v23, v23
	;; [unrolled: 1-line block ×4, first 2 shown]
	s_waitcnt lgkmcnt(0)
	v_perm_b32 v29, v33, v29, s63
	v_perm_b32 v28, v32, v28, s63
	v_cvt_f32_f16_e32 v22, v22
	v_cvt_f32_f16_e32 v23, v23
	;; [unrolled: 1-line block ×4, first 2 shown]
	s_nop 1
	v_mfma_f32_16x16x16_f16 v[22:25], v[28:29], v[136:137], v[22:25]
	ds_read_u16 v28, v147 offset:96
	ds_read_u16 v29, v147 offset:336
	;; [unrolled: 1-line block ×4, first 2 shown]
	s_waitcnt lgkmcnt(2)
	v_perm_b32 v26, v29, v28, s63
	s_waitcnt lgkmcnt(0)
	v_perm_b32 v27, v33, v32, s63
	ds_read_u16 v32, v147 offset:3936
	ds_read_u16 v35, v147 offset:4176
	;; [unrolled: 1-line block ×4, first 2 shown]
	v_mfma_f32_16x16x16_f16 v[26:29], v[26:27], v[138:139], v[236:239]
	s_waitcnt lgkmcnt(0)
	v_perm_b32 v33, v37, v33, s63
	v_perm_b32 v32, v35, v32, s63
	v_cvt_f32_f16_e32 v236, v31
	s_nop 3
	v_cvt_f16_f32_e32 v26, v26
	v_cvt_f16_f32_e32 v27, v27
	;; [unrolled: 1-line block ×4, first 2 shown]
	v_cvt_f32_f16_e32 v26, v26
	v_cvt_f32_f16_e32 v27, v27
	;; [unrolled: 1-line block ×4, first 2 shown]
	v_cvt_f32_f16_sdwa v237, v31 dst_sel:DWORD dst_unused:UNUSED_PAD src0_sel:WORD_1
	v_cvt_f32_f16_e32 v238, v30
	v_mfma_f32_16x16x16_f16 v[26:29], v[32:33], v[140:141], v[26:29]
	ds_read_u16 v32, v147 offset:7776
	ds_read_u16 v35, v147 offset:8016
	;; [unrolled: 1-line block ×4, first 2 shown]
	v_cvt_f32_f16_sdwa v239, v30 dst_sel:DWORD dst_unused:UNUSED_PAD src0_sel:WORD_1
	s_nop 2
	v_cvt_f16_f32_e32 v26, v26
	v_cvt_f16_f32_e32 v27, v27
	;; [unrolled: 1-line block ×4, first 2 shown]
	s_waitcnt lgkmcnt(0)
	v_perm_b32 v33, v37, v33, s63
	v_perm_b32 v32, v35, v32, s63
	v_cvt_f32_f16_e32 v26, v26
	v_cvt_f32_f16_e32 v27, v27
	;; [unrolled: 1-line block ×4, first 2 shown]
	s_nop 1
	v_mfma_f32_16x16x16_f16 v[26:29], v[32:33], v[142:143], v[26:29]
	ds_read_u16 v32, v147 offset:11616
	ds_read_u16 v35, v147 offset:11856
	;; [unrolled: 1-line block ×4, first 2 shown]
	s_nop 3
	v_cvt_f16_f32_e32 v26, v26
	v_cvt_f16_f32_e32 v27, v27
	;; [unrolled: 1-line block ×4, first 2 shown]
	s_waitcnt lgkmcnt(0)
	v_perm_b32 v33, v37, v33, s63
	v_perm_b32 v32, v35, v32, s63
	v_cvt_f32_f16_e32 v26, v26
	v_cvt_f32_f16_e32 v27, v27
	;; [unrolled: 1-line block ×4, first 2 shown]
	s_nop 1
	v_mfma_f32_16x16x16_f16 v[26:29], v[32:33], v[136:137], v[26:29]
	ds_read_u16 v32, v147 offset:128
	ds_read_u16 v33, v147 offset:368
	;; [unrolled: 1-line block ×4, first 2 shown]
	s_waitcnt lgkmcnt(2)
	v_perm_b32 v30, v33, v32, s63
	s_waitcnt lgkmcnt(0)
	v_perm_b32 v31, v37, v35, s63
	s_nop 1
	v_mfma_f32_16x16x16_f16 v[30:33], v[30:31], v[138:139], v[236:239]
	ds_read_u16 v35, v147 offset:3968
	ds_read_u16 v37, v147 offset:4208
	s_nop 0
	ds_read_u16 v236, v148 offset:3968
	ds_read_u16 v237, v149 offset:3968
	v_cvt_f32_f16_e32 v238, v34
	v_cvt_f32_f16_sdwa v239, v34 dst_sel:DWORD dst_unused:UNUSED_PAD src0_sel:WORD_1
	s_nop 0
	v_cvt_f16_f32_e32 v30, v30
	v_cvt_f16_f32_e32 v31, v31
	;; [unrolled: 1-line block ×4, first 2 shown]
	s_waitcnt lgkmcnt(0)
	v_perm_b32 v237, v237, v236, s63
	v_perm_b32 v236, v37, v35, s63
	v_cvt_f32_f16_e32 v30, v30
	v_cvt_f32_f16_e32 v31, v31
	;; [unrolled: 1-line block ×4, first 2 shown]
	s_nop 1
	v_mfma_f32_16x16x16_f16 v[30:33], v[236:237], v[140:141], v[30:33]
	ds_read_u16 v35, v147 offset:7808
	ds_read_u16 v37, v147 offset:8048
	ds_read_u16 v236, v148 offset:7808
	ds_read_u16 v237, v149 offset:7808
	s_nop 3
	v_cvt_f16_f32_e32 v30, v30
	v_cvt_f16_f32_e32 v31, v31
	;; [unrolled: 1-line block ×4, first 2 shown]
	s_waitcnt lgkmcnt(0)
	v_perm_b32 v237, v237, v236, s63
	v_perm_b32 v236, v37, v35, s63
	v_cvt_f32_f16_e32 v30, v30
	v_cvt_f32_f16_e32 v31, v31
	v_cvt_f32_f16_e32 v32, v32
	v_cvt_f32_f16_e32 v33, v33
	s_nop 1
	v_mfma_f32_16x16x16_f16 v[30:33], v[236:237], v[142:143], v[30:33]
	ds_read_u16 v35, v147 offset:11648
	ds_read_u16 v37, v147 offset:11888
	;; [unrolled: 1-line block ×4, first 2 shown]
	s_nop 3
	v_cvt_f16_f32_e32 v30, v30
	v_cvt_f16_f32_e32 v31, v31
	;; [unrolled: 1-line block ×4, first 2 shown]
	s_waitcnt lgkmcnt(0)
	v_perm_b32 v237, v237, v236, s63
	v_perm_b32 v236, v37, v35, s63
	ds_read_u16 v37, v147 offset:160
	ds_read_u16 v240, v147 offset:400
	;; [unrolled: 1-line block ×4, first 2 shown]
	v_cvt_f32_f16_e32 v30, v30
	v_cvt_f32_f16_e32 v31, v31
	;; [unrolled: 1-line block ×4, first 2 shown]
	s_waitcnt lgkmcnt(0)
	v_perm_b32 v35, v241, v35, s63
	v_perm_b32 v34, v240, v37, s63
	v_mfma_f32_16x16x16_f16 v[30:33], v[236:237], v[136:137], v[30:33]
	v_cvt_f32_f16_e32 v236, v36
	v_cvt_f32_f16_sdwa v237, v36 dst_sel:DWORD dst_unused:UNUSED_PAD src0_sel:WORD_1
	s_nop 1
	v_mfma_f32_16x16x16_f16 v[34:37], v[34:35], v[138:139], v[236:239]
	s_nop 2
	ds_read_u16 v236, v147 offset:4000
	ds_read_u16 v238, v147 offset:4240
	;; [unrolled: 1-line block ×4, first 2 shown]
	v_cvt_pk_f16_f32 v31, v30, v31
	v_cvt_pk_f16_f32 v30, v32, v33
	v_cvt_f16_f32_e32 v34, v34
	v_cvt_f16_f32_e32 v35, v35
	;; [unrolled: 1-line block ×4, first 2 shown]
	s_waitcnt lgkmcnt(0)
	v_perm_b32 v237, v239, v237, s63
	v_perm_b32 v236, v238, v236, s63
	v_cvt_f32_f16_e32 v34, v34
	v_cvt_f32_f16_e32 v35, v35
	;; [unrolled: 1-line block ×4, first 2 shown]
	v_cvt_pk_f16_f32 v33, v26, v27
	v_cvt_pk_f16_f32 v32, v28, v29
	v_mfma_f32_16x16x16_f16 v[34:37], v[236:237], v[140:141], v[34:37]
	ds_read_u16 v236, v147 offset:7840
	ds_read_u16 v238, v147 offset:8080
	;; [unrolled: 1-line block ×4, first 2 shown]
	s_nop 3
	v_cvt_f16_f32_e32 v34, v34
	v_cvt_f16_f32_e32 v35, v35
	;; [unrolled: 1-line block ×4, first 2 shown]
	s_waitcnt lgkmcnt(0)
	v_perm_b32 v237, v239, v237, s63
	v_perm_b32 v236, v238, v236, s63
	v_cvt_f32_f16_e32 v34, v34
	v_cvt_f32_f16_e32 v35, v35
	;; [unrolled: 1-line block ×4, first 2 shown]
	s_nop 1
	v_mfma_f32_16x16x16_f16 v[34:37], v[236:237], v[142:143], v[34:37]
	ds_read_u16 v236, v147 offset:11680
	ds_read_u16 v238, v147 offset:11920
	;; [unrolled: 1-line block ×8, first 2 shown]
	v_cvt_f16_f32_e32 v34, v34
	v_cvt_f16_f32_e32 v35, v35
	;; [unrolled: 1-line block ×4, first 2 shown]
	s_waitcnt lgkmcnt(4)
	v_perm_b32 v237, v239, v237, s63
	v_perm_b32 v236, v238, v236, s63
	v_cvt_f32_f16_e32 v34, v34
	v_cvt_f32_f16_e32 v35, v35
	;; [unrolled: 1-line block ×5, first 2 shown]
	v_cvt_f32_f16_sdwa v239, v234 dst_sel:DWORD dst_unused:UNUSED_PAD src0_sel:WORD_1
	v_mfma_f32_16x16x16_f16 v[34:37], v[236:237], v[136:137], v[34:37]
	v_cvt_f32_f16_e32 v236, v235
	v_cvt_f32_f16_sdwa v237, v235 dst_sel:DWORD dst_unused:UNUSED_PAD src0_sel:WORD_1
	s_waitcnt lgkmcnt(0)
	v_perm_b32 v235, v243, v242, s63
	v_perm_b32 v234, v241, v240, s63
	s_nop 2
	v_cvt_pk_f16_f32 v34, v34, v35
	v_cvt_pk_f16_f32 v35, v36, v37
	v_mfma_f32_16x16x16_f16 v[234:237], v[234:235], v[138:139], v[236:239]
	s_nop 2
	ds_read_u16 v238, v147 offset:4032
	ds_read_u16 v239, v147 offset:4272
	;; [unrolled: 1-line block ×4, first 2 shown]
	v_cvt_pk_f16_f32 v37, v22, v23
	v_cvt_pk_f16_f32 v36, v24, v25
	v_cvt_f16_f32_e32 v138, v234
	v_cvt_f16_f32_e32 v139, v235
	;; [unrolled: 1-line block ×4, first 2 shown]
	v_cvt_f32_f16_e32 v234, v138
	v_cvt_f32_f16_e32 v235, v139
	s_waitcnt lgkmcnt(0)
	v_perm_b32 v139, v241, v240, s63
	v_perm_b32 v138, v239, v238, s63
	v_cvt_f32_f16_e32 v236, v236
	v_cvt_f32_f16_e32 v237, v237
	s_nop 1
	v_mfma_f32_16x16x16_f16 v[138:141], v[138:139], v[140:141], v[234:237]
	s_nop 2
	ds_read_u16 v234, v147 offset:7872
	ds_read_u16 v236, v147 offset:8112
	;; [unrolled: 1-line block ×4, first 2 shown]
	s_nop 0
	v_cvt_f16_f32_e32 v138, v138
	v_cvt_f16_f32_e32 v139, v139
	;; [unrolled: 1-line block ×4, first 2 shown]
	s_waitcnt lgkmcnt(0)
	v_perm_b32 v235, v237, v235, s63
	v_perm_b32 v234, v236, v234, s63
	v_cvt_f32_f16_e32 v138, v138
	v_cvt_f32_f16_e32 v139, v139
	;; [unrolled: 1-line block ×4, first 2 shown]
	s_nop 1
	v_mfma_f32_16x16x16_f16 v[140:143], v[234:235], v[142:143], v[138:141]
	s_nop 2
	ds_read_u16 v138, v147 offset:11712
	ds_read_u16 v139, v147 offset:11952
	;; [unrolled: 1-line block ×4, first 2 shown]
	s_waitcnt lgkmcnt(0)
	s_barrier
	v_cvt_f16_f32_e32 v140, v140
	v_cvt_f16_f32_e32 v141, v141
	;; [unrolled: 1-line block ×4, first 2 shown]
	v_perm_b32 v235, v235, v234, s63
	v_perm_b32 v234, v139, v138, s63
	v_cvt_f32_f16_e32 v140, v140
	v_cvt_f32_f16_e32 v141, v141
	;; [unrolled: 1-line block ×4, first 2 shown]
	v_cvt_pk_f16_f32 v139, v14, v15
	v_cvt_pk_f16_f32 v138, v16, v17
	v_mfma_f32_16x16x16_f16 v[140:143], v[234:235], v[136:137], v[140:143]
	v_cvt_pk_f16_f32 v137, v18, v19
	v_cvt_pk_f16_f32 v136, v20, v21
	s_nop 5
	v_cvt_pk_f16_f32 v29, v140, v141
	v_cvt_pk_f16_f32 v28, v142, v143
	s_cbranch_scc0 .LBB19_219
; %bb.217:                              ;   in Loop: Header=BB19_214 Depth=2
	v_mov_b32_e32 v26, v231
	v_mov_b32_e32 v27, v230
	global_load_dword v14, v[118:119], off
	s_waitcnt vmcnt(0)
	ds_write_b32 v51, v14 offset:15360
	s_and_saveexec_b64 s[98:99], s[0:1]
	s_cbranch_execnz .LBB19_213
	s_branch .LBB19_214
.LBB19_218:                             ;   in Loop: Header=BB19_14 Depth=1
	v_mov_b32_e32 v230, 0xfeffffff
	v_mov_b32_e32 v231, 0
	s_mov_b64 s[98:99], 0
	v_mov_b32_e32 v28, 0
	v_mov_b32_e32 v29, 0
	;; [unrolled: 1-line block ×14, first 2 shown]
	s_branch .LBB19_220
.LBB19_219:                             ;   in Loop: Header=BB19_14 Depth=1
	v_readlane_b32 s4, v250, 11
	v_readlane_b32 s5, v250, 12
	s_mov_b32 s99, s5
	s_lshl_b32 s98, s49, 6
	v_writelane_b32 v250, s4, 11
	s_nop 1
	v_writelane_b32 v250, s5, 12
.LBB19_220:                             ;   in Loop: Header=BB19_14 Depth=1
	v_mad_i64_i32 v[14:15], s[4:5], v44, s40, 0
	s_lshl_b64 s[4:5], s[98:99], 1
	s_nop 0
	v_lshl_add_u64 v[16:17], v[110:111], 0, s[4:5]
	v_lshl_add_u64 v[14:15], v[14:15], 1, v[16:17]
	v_lshlrev_b32_e32 v44, 1, v42
	v_lshl_add_u64 v[14:15], v[14:15], 0, v[44:45]
	global_load_dword v14, v[14:15], off
	s_mul_i32 s5, s98, s35
	s_mul_hi_u32 s38, s98, s34
	s_mul_i32 s4, s98, s34
	s_add_i32 s5, s38, s5
	s_lshl_b64 s[4:5], s[4:5], 2
	s_waitcnt vmcnt(0)
	ds_write_b32 v51, v14 offset:15360
	v_lshl_add_u64 v[14:15], v[108:109], 0, s[4:5]
	s_and_saveexec_b64 vcc, s[0:1]
	s_cbranch_execz .LBB19_222
; %bb.221:                              ;   in Loop: Header=BB19_14 Depth=1
	v_lshl_add_u64 v[16:17], v[58:59], 2, v[14:15]
	v_lshlrev_b32_e32 v44, 2, v56
	v_lshl_add_u64 v[16:17], v[16:17], 0, v[44:45]
	global_load_dwordx4 v[16:19], v[16:17], off offset:192
	s_waitcnt vmcnt(0)
	ds_write_b128 v144, v[16:19]
.LBB19_222:                             ;   in Loop: Header=BB19_14 Depth=1
	s_or_b64 exec, exec, vcc
	v_lshl_add_u64 v[16:17], v[46:47], 2, v[14:15]
	v_lshlrev_b32_e32 v44, 2, v48
	v_lshl_add_u64 v[16:17], v[16:17], 0, v[44:45]
	v_lshl_add_u64 v[18:19], v[52:53], 2, v[14:15]
	v_lshlrev_b32_e32 v22, 2, v50
	v_mov_b32_e32 v23, v45
	v_lshl_add_u64 v[14:15], v[54:55], 2, v[14:15]
	v_lshl_add_u64 v[20:21], v[14:15], 0, v[22:23]
	global_load_dwordx4 v[14:17], v[16:17], off offset:128
	v_lshl_add_u64 v[18:19], v[18:19], 0, v[22:23]
	v_add_u32_e32 v108, 0x800, v204
	v_add_u32_e32 v112, 0x1800, v204
	;; [unrolled: 1-line block ×3, first 2 shown]
	s_mul_i32 s4, s98, s31
	s_mul_hi_u32 s5, s98, s30
	s_add_i32 s5, s5, s4
	s_mul_i32 s4, s98, s30
	s_lshl_b64 s[4:5], s[4:5], 2
	s_waitcnt vmcnt(0)
	ds_write_b128 v57, v[14:17]
	global_load_dwordx4 v[14:17], v[18:19], off
	s_waitcnt vmcnt(0)
	ds_write_b128 v93, v[14:17]
	global_load_dwordx4 v[14:17], v[20:21], off
	s_waitcnt vmcnt(0)
	ds_write_b128 v97, v[14:17]
	s_waitcnt lgkmcnt(0)
	s_barrier
	ds_read2_b64 v[14:17], v204 offset1:4
	s_waitcnt lgkmcnt(0)
	v_mfma_f32_16x16x16_f16 v[18:21], v[14:15], v[10:11], 0
	v_mfma_f32_16x16x16_f16 v[14:17], v[16:17], v[12:13], v[18:21]
	s_nop 6
	ds_read2_b64 v[18:21], v204 offset0:8 offset1:12
	s_waitcnt lgkmcnt(0)
	v_mfma_f32_16x16x16_f16 v[14:17], v[18:19], v[6:7], v[14:17]
	v_mfma_f32_16x16x16_f16 v[14:17], v[20:21], v[8:9], v[14:17]
	ds_read2_b64 v[18:21], v204 offset0:16 offset1:20
	s_waitcnt lgkmcnt(0)
	v_mfma_f32_16x16x16_f16 v[14:17], v[18:19], v[2:3], v[14:17]
	ds_read_b64 v[18:19], v204 offset:192
	v_mfma_f32_16x16x16_f16 v[14:17], v[20:21], v[4:5], v[14:17]
	s_waitcnt lgkmcnt(0)
	v_mfma_f32_16x16x16_f16 v[24:27], v[18:19], v[120:121], v[14:17]
	s_nop 5
	ds_read2_b64 v[14:17], v108 offset0:224 offset1:228
	s_waitcnt lgkmcnt(0)
	v_mfma_f32_16x16x16_f16 v[18:21], v[14:15], v[10:11], 0
	v_mfma_f32_16x16x16_f16 v[14:17], v[16:17], v[12:13], v[18:21]
	s_nop 6
	ds_read2_b64 v[18:21], v108 offset0:232 offset1:236
	s_waitcnt lgkmcnt(0)
	v_mfma_f32_16x16x16_f16 v[14:17], v[18:19], v[6:7], v[14:17]
	v_mfma_f32_16x16x16_f16 v[14:17], v[20:21], v[8:9], v[14:17]
	ds_read2_b64 v[18:21], v108 offset0:240 offset1:244
	s_waitcnt lgkmcnt(0)
	v_mfma_f32_16x16x16_f16 v[14:17], v[18:19], v[2:3], v[14:17]
	ds_read_b64 v[18:19], v204 offset:4032
	v_mfma_f32_16x16x16_f16 v[14:17], v[20:21], v[4:5], v[14:17]
	s_waitcnt lgkmcnt(0)
	v_mfma_f32_16x16x16_f16 v[14:17], v[18:19], v[120:121], v[14:17]
	ds_read2_b64 v[18:21], v112 offset0:192 offset1:196
	s_waitcnt lgkmcnt(0)
	v_mfma_f32_16x16x16_f16 v[108:111], v[18:19], v[10:11], 0
	v_mfma_f32_16x16x16_f16 v[18:21], v[20:21], v[12:13], v[108:111]
	s_nop 6
	ds_read2_b64 v[108:111], v112 offset0:200 offset1:204
	s_waitcnt lgkmcnt(0)
	v_mfma_f32_16x16x16_f16 v[18:21], v[108:109], v[6:7], v[18:21]
	v_mfma_f32_16x16x16_f16 v[18:21], v[110:111], v[8:9], v[18:21]
	ds_read2_b64 v[108:111], v112 offset0:208 offset1:212
	s_waitcnt lgkmcnt(0)
	v_mfma_f32_16x16x16_f16 v[18:21], v[108:109], v[2:3], v[18:21]
	ds_read_b64 v[108:109], v204 offset:7872
	v_mfma_f32_16x16x16_f16 v[18:21], v[110:111], v[4:5], v[18:21]
	s_waitcnt lgkmcnt(0)
	v_mfma_f32_16x16x16_f16 v[18:21], v[108:109], v[120:121], v[18:21]
	ds_read2_b64 v[108:111], v116 offset0:160 offset1:164
	s_waitcnt lgkmcnt(0)
	v_mfma_f32_16x16x16_f16 v[112:115], v[108:109], v[10:11], 0
	v_mfma_f32_16x16x16_f16 v[10:13], v[110:111], v[12:13], v[112:115]
	ds_read2_b64 v[108:111], v116 offset0:168 offset1:172
	s_waitcnt lgkmcnt(0)
	v_mfma_f32_16x16x16_f16 v[10:13], v[108:109], v[6:7], v[10:13]
	v_mfma_f32_16x16x16_f16 v[6:9], v[110:111], v[8:9], v[10:13]
	s_nop 6
	ds_read2_b64 v[10:13], v116 offset0:176 offset1:180
	s_waitcnt lgkmcnt(0)
	v_mfma_f32_16x16x16_f16 v[6:9], v[10:11], v[2:3], v[6:9]
	v_mfma_f32_16x16x16_f16 v[2:5], v[12:13], v[4:5], v[6:9]
	s_nop 6
	ds_read_b64 v[6:7], v204 offset:11712
	s_waitcnt lgkmcnt(0)
	v_mfma_f32_16x16x16_f16 v[2:5], v[6:7], v[120:121], v[2:5]
	s_barrier
	ds_read_b32 v6, v145 offset:15360
	s_waitcnt lgkmcnt(0)
	v_cvt_f32_f16_e32 v7, v6
	v_cvt_f32_f16_sdwa v8, v6 dst_sel:DWORD dst_unused:UNUSED_PAD src0_sel:WORD_1
	v_add_f32_e32 v6, v24, v7
	v_add_f32_e32 v7, v25, v8
	ds_read_b32 v8, v146 offset:15360
	s_waitcnt lgkmcnt(0)
	v_cvt_f32_f16_e32 v9, v8
	v_cvt_f32_f16_sdwa v8, v8 dst_sel:DWORD dst_unused:UNUSED_PAD src0_sel:WORD_1
	v_add_f32_e32 v108, v26, v9
	v_add_f32_e32 v25, v27, v8
	v_add_u32_e32 v8, 0x3c00, v205
	ds_read2_b32 v[8:9], v8 offset1:1
	s_waitcnt lgkmcnt(0)
	v_cvt_f32_f16_e32 v10, v8
	v_cvt_f32_f16_sdwa v8, v8 dst_sel:DWORD dst_unused:UNUSED_PAD src0_sel:WORD_1
	v_add_f32_e32 v27, v14, v10
	v_add_f32_e32 v24, v15, v8
	v_cvt_f32_f16_e32 v8, v9
	v_cvt_f32_f16_sdwa v9, v9 dst_sel:DWORD dst_unused:UNUSED_PAD src0_sel:WORD_1
	v_add_f32_e32 v15, v16, v8
	v_add_u32_e32 v8, 0x3c00, v206
	v_add_f32_e32 v13, v17, v9
	ds_read2_b32 v[8:9], v8 offset1:1
	s_waitcnt lgkmcnt(0)
	v_cvt_f32_f16_e32 v10, v8
	v_cvt_f32_f16_sdwa v8, v8 dst_sel:DWORD dst_unused:UNUSED_PAD src0_sel:WORD_1
	v_cvt_f32_f16_sdwa v12, v9 dst_sel:DWORD dst_unused:UNUSED_PAD src0_sel:WORD_1
	v_add_f32_e32 v11, v18, v10
	v_add_f32_e32 v10, v19, v8
	v_cvt_f32_f16_e32 v8, v9
	v_add_f32_e32 v9, v20, v8
	v_add_f32_e32 v8, v21, v12
	v_add_u32_e32 v12, 0x3c00, v207
	ds_read2_b32 v[16:17], v12 offset1:1
	s_waitcnt lgkmcnt(0)
	v_cvt_f32_f16_e32 v12, v16
	v_cvt_f32_f16_sdwa v16, v16 dst_sel:DWORD dst_unused:UNUSED_PAD src0_sel:WORD_1
	v_add_f32_e32 v14, v2, v12
	v_add_f32_e32 v12, v3, v16
	v_cvt_f32_f16_e32 v2, v17
	v_cvt_f32_f16_sdwa v3, v17 dst_sel:DWORD dst_unused:UNUSED_PAD src0_sel:WORD_1
	v_add_f32_e32 v21, v4, v2
	v_add_f32_e32 v4, v5, v3
	;; [unrolled: 1-line block ×4, first 2 shown]
	v_max3_f32 v2, v230, v2, v3
	v_add_f32_e32 v3, 0x40051340, v108
	v_add_f32_e32 v5, 0x40051340, v25
	v_max3_f32 v2, v2, v3, v5
	v_add_f32_e32 v3, 0x40051340, v27
	v_add_f32_e32 v5, 0x40051340, v24
	v_max3_f32 v2, v2, v3, v5
	v_add_f32_e32 v3, 0x40051340, v15
	v_add_f32_e32 v5, 0x40051340, v13
	v_max3_f32 v2, v2, v3, v5
	v_add_f32_e32 v3, 0x40051340, v11
	v_add_f32_e32 v5, 0x40051340, v10
	v_max3_f32 v2, v2, v3, v5
	v_add_f32_e32 v3, 0x40051340, v9
	v_add_f32_e32 v5, 0x40051340, v8
	v_max3_f32 v2, v2, v3, v5
	v_add_f32_e32 v3, 0x40051340, v14
	v_add_f32_e32 v5, 0x40051340, v12
	v_max3_f32 v2, v2, v3, v5
	v_add_f32_e32 v3, 0x40051340, v21
	v_add_f32_e32 v5, 0x40051340, v4
	v_max3_f32 v2, v2, v3, v5
	v_and_b32_e32 v3, 64, v215
	v_add_u32_e32 v3, 64, v3
	v_xor_b32_e32 v5, 32, v215
	v_cmp_lt_i32_e32 vcc, v5, v3
	s_nop 1
	v_cndmask_b32_e32 v5, v215, v5, vcc
	v_lshlrev_b32_e32 v26, 2, v5
	ds_bpermute_b32 v5, v26, v2
	s_waitcnt lgkmcnt(0)
	v_max_f32_e32 v5, v5, v5
	v_max_f32_e32 v5, v2, v5
	v_xor_b32_e32 v2, 16, v215
	v_cmp_lt_i32_e32 vcc, v2, v3
	s_nop 1
	v_cndmask_b32_e32 v2, v215, v2, vcc
	v_lshlrev_b32_e32 v19, 2, v2
	ds_bpermute_b32 v16, v19, v5
	v_lshl_add_u64 v[2:3], v[106:107], 0, s[4:5]
	s_and_saveexec_b64 s[98:99], s[0:1]
	s_cbranch_execz .LBB19_224
; %bb.223:                              ;   in Loop: Header=BB19_14 Depth=1
	v_lshl_add_u64 v[106:107], v[60:61], 2, v[2:3]
	v_lshlrev_b32_e32 v110, 2, v56
	v_mov_b32_e32 v111, v45
	v_lshl_add_u64 v[106:107], v[106:107], 0, v[110:111]
	global_load_dwordx4 v[110:113], v[106:107], off offset:192
	s_waitcnt vmcnt(0)
	ds_write_b128 v144, v[110:113]
.LBB19_224:                             ;   in Loop: Header=BB19_14 Depth=1
	s_or_b64 exec, exec, s[98:99]
	s_waitcnt lgkmcnt(0)
	v_max_f32_e32 v16, v16, v16
	v_max_f32_e32 v5, v5, v5
	;; [unrolled: 1-line block ×3, first 2 shown]
	v_sub_f32_e32 v5, v6, v18
	v_mul_f32_e32 v6, 0x3fb8aa3b, v5
	v_fma_f32 v16, v5, s41, -v6
	v_rndne_f32_e32 v17, v6
	v_fmac_f32_e32 v16, 0x32a5705f, v5
	v_sub_f32_e32 v6, v6, v17
	v_add_f32_e32 v6, v6, v16
	v_exp_f32_e32 v6, v6
	v_cvt_i32_f32_e32 v16, v17
	v_cmp_ngt_f32_e32 vcc, s58, v5
	v_sub_f32_e32 v24, v24, v18
	v_sub_f32_e32 v15, v15, v18
	v_ldexp_f32 v6, v6, v16
	v_cndmask_b32_e32 v6, 0, v6, vcc
	v_cmp_nlt_f32_e32 vcc, s59, v5
	v_sub_f32_e32 v5, v7, v18
	v_mul_f32_e32 v7, 0x3fb8aa3b, v5
	v_fma_f32 v16, v5, s41, -v7
	v_rndne_f32_e32 v17, v7
	v_fmac_f32_e32 v16, 0x32a5705f, v5
	v_sub_f32_e32 v7, v7, v17
	v_add_f32_e32 v7, v7, v16
	v_exp_f32_e32 v7, v7
	v_cvt_i32_f32_e32 v16, v17
	v_cndmask_b32_e32 v6, v216, v6, vcc
	v_cmp_ngt_f32_e32 vcc, s58, v5
	v_sub_f32_e32 v13, v13, v18
	v_ldexp_f32 v7, v7, v16
	v_sub_f32_e32 v16, v108, v18
	v_mul_f32_e32 v17, 0x3fb8aa3b, v16
	v_fma_f32 v20, v16, s41, -v17
	v_rndne_f32_e32 v106, v17
	v_fmac_f32_e32 v20, 0x32a5705f, v16
	v_sub_f32_e32 v17, v17, v106
	v_add_f32_e32 v17, v17, v20
	v_exp_f32_e32 v17, v17
	v_cvt_i32_f32_e32 v20, v106
	v_cndmask_b32_e32 v7, 0, v7, vcc
	v_cmp_nlt_f32_e32 vcc, s59, v5
	v_sub_f32_e32 v11, v11, v18
	v_ldexp_f32 v17, v17, v20
	v_cndmask_b32_e32 v7, v216, v7, vcc
	v_cmp_ngt_f32_e32 vcc, s58, v16
	v_sub_f32_e32 v10, v10, v18
	v_sub_f32_e32 v9, v9, v18
	v_cndmask_b32_e32 v17, 0, v17, vcc
	v_cmp_nlt_f32_e32 vcc, s59, v16
	v_sub_f32_e32 v8, v8, v18
	v_add_f32_e32 v5, v6, v7
	v_cndmask_b32_e32 v16, v216, v17, vcc
	v_sub_f32_e32 v17, v25, v18
	v_mul_f32_e32 v20, 0x3fb8aa3b, v17
	v_fma_f32 v25, v17, s41, -v20
	v_rndne_f32_e32 v106, v20
	v_fmac_f32_e32 v25, 0x32a5705f, v17
	v_sub_f32_e32 v20, v20, v106
	v_add_f32_e32 v20, v20, v25
	v_exp_f32_e32 v20, v20
	v_cvt_i32_f32_e32 v25, v106
	v_cmp_ngt_f32_e32 vcc, s58, v17
	v_add_f32_e32 v5, v16, v5
	v_sub_f32_e32 v4, v4, v18
	v_ldexp_f32 v20, v20, v25
	v_cndmask_b32_e32 v20, 0, v20, vcc
	v_cmp_nlt_f32_e32 vcc, s59, v17
	v_sub_f32_e32 v17, v27, v18
	v_mul_f32_e32 v25, 0x3fb8aa3b, v17
	v_fma_f32 v27, v17, s41, -v25
	v_rndne_f32_e32 v106, v25
	v_fmac_f32_e32 v27, 0x32a5705f, v17
	v_sub_f32_e32 v25, v25, v106
	v_add_f32_e32 v25, v25, v27
	v_exp_f32_e32 v25, v25
	v_cvt_i32_f32_e32 v27, v106
	v_cndmask_b32_e32 v20, v216, v20, vcc
	v_cmp_ngt_f32_e32 vcc, s58, v17
	v_add_f32_e32 v5, v20, v5
	v_ldexp_f32 v25, v25, v27
	v_cndmask_b32_e32 v25, 0, v25, vcc
	v_cmp_nlt_f32_e32 vcc, s59, v17
	s_nop 1
	v_cndmask_b32_e32 v17, v216, v25, vcc
	v_mul_f32_e32 v25, 0x3fb8aa3b, v24
	v_fma_f32 v27, v24, s41, -v25
	v_rndne_f32_e32 v106, v25
	v_fmac_f32_e32 v27, 0x32a5705f, v24
	v_sub_f32_e32 v25, v25, v106
	v_add_f32_e32 v25, v25, v27
	v_exp_f32_e32 v25, v25
	v_cvt_i32_f32_e32 v27, v106
	v_cmp_ngt_f32_e32 vcc, s58, v24
	v_add_f32_e32 v5, v17, v5
	v_ldexp_f32 v25, v25, v27
	v_cndmask_b32_e32 v25, 0, v25, vcc
	v_cmp_nlt_f32_e32 vcc, s59, v24
	s_nop 1
	v_cndmask_b32_e32 v24, v216, v25, vcc
	v_mul_f32_e32 v25, 0x3fb8aa3b, v15
	v_fma_f32 v27, v15, s41, -v25
	v_rndne_f32_e32 v106, v25
	v_fmac_f32_e32 v27, 0x32a5705f, v15
	v_sub_f32_e32 v25, v25, v106
	v_add_f32_e32 v25, v25, v27
	v_exp_f32_e32 v25, v25
	v_cvt_i32_f32_e32 v27, v106
	v_cmp_ngt_f32_e32 vcc, s58, v15
	v_add_f32_e32 v5, v24, v5
	v_ldexp_f32 v25, v25, v27
	v_cndmask_b32_e32 v25, 0, v25, vcc
	v_cmp_nlt_f32_e32 vcc, s59, v15
	v_mul_f32_e32 v15, 0x3fb8aa3b, v13
	v_fma_f32 v27, v13, s41, -v15
	v_rndne_f32_e32 v106, v15
	v_fmac_f32_e32 v27, 0x32a5705f, v13
	v_sub_f32_e32 v15, v15, v106
	v_add_f32_e32 v15, v15, v27
	v_exp_f32_e32 v15, v15
	v_cvt_i32_f32_e32 v27, v106
	v_cndmask_b32_e32 v25, v216, v25, vcc
	v_cmp_ngt_f32_e32 vcc, s58, v13
	v_add_f32_e32 v5, v25, v5
	v_ldexp_f32 v15, v15, v27
	v_cndmask_b32_e32 v15, 0, v15, vcc
	v_cmp_nlt_f32_e32 vcc, s59, v13
	v_mul_f32_e32 v13, 0x3fb8aa3b, v11
	v_rndne_f32_e32 v27, v13
	v_cndmask_b32_e32 v106, v216, v15, vcc
	v_fma_f32 v15, v11, s41, -v13
	v_fmac_f32_e32 v15, 0x32a5705f, v11
	v_sub_f32_e32 v13, v13, v27
	v_add_f32_e32 v13, v13, v15
	v_exp_f32_e32 v13, v13
	v_cvt_i32_f32_e32 v15, v27
	v_cmp_ngt_f32_e32 vcc, s58, v11
	v_add_f32_e32 v5, v106, v5
	v_ldexp_f32 v13, v13, v15
	v_cndmask_b32_e32 v13, 0, v13, vcc
	v_cmp_nlt_f32_e32 vcc, s59, v11
	v_mul_f32_e32 v11, 0x3fb8aa3b, v10
	v_rndne_f32_e32 v15, v11
	v_cndmask_b32_e32 v107, v216, v13, vcc
	v_fma_f32 v13, v10, s41, -v11
	v_fmac_f32_e32 v13, 0x32a5705f, v10
	v_sub_f32_e32 v11, v11, v15
	v_add_f32_e32 v11, v11, v13
	v_exp_f32_e32 v11, v11
	v_cvt_i32_f32_e32 v13, v15
	;; [unrolled: 14-line block ×4, first 2 shown]
	v_cmp_ngt_f32_e32 vcc, s58, v8
	v_add_f32_e32 v5, v109, v5
	v_ldexp_f32 v9, v9, v10
	v_cndmask_b32_e32 v9, 0, v9, vcc
	v_cmp_nlt_f32_e32 vcc, s59, v8
	v_sub_f32_e32 v8, v14, v18
	s_nop 0
	v_cndmask_b32_e32 v111, v216, v9, vcc
	v_mul_f32_e32 v9, 0x3fb8aa3b, v8
	v_fma_f32 v10, v8, s41, -v9
	v_rndne_f32_e32 v11, v9
	v_fmac_f32_e32 v10, 0x32a5705f, v8
	v_sub_f32_e32 v9, v9, v11
	v_add_f32_e32 v9, v9, v10
	v_exp_f32_e32 v9, v9
	v_cvt_i32_f32_e32 v10, v11
	v_cmp_ngt_f32_e32 vcc, s58, v8
	v_add_f32_e32 v5, v111, v5
	v_ldexp_f32 v9, v9, v10
	v_cndmask_b32_e32 v9, 0, v9, vcc
	v_cmp_nlt_f32_e32 vcc, s59, v8
	v_sub_f32_e32 v8, v12, v18
	s_nop 0
	v_cndmask_b32_e32 v110, v216, v9, vcc
	v_mul_f32_e32 v9, 0x3fb8aa3b, v8
	v_fma_f32 v10, v8, s41, -v9
	v_rndne_f32_e32 v11, v9
	v_fmac_f32_e32 v10, 0x32a5705f, v8
	v_sub_f32_e32 v9, v9, v11
	v_add_f32_e32 v9, v9, v10
	v_exp_f32_e32 v9, v9
	v_cvt_i32_f32_e32 v10, v11
	;; [unrolled: 16-line block ×3, first 2 shown]
	v_cmp_ngt_f32_e32 vcc, s58, v8
	v_add_f32_e32 v5, v112, v5
	v_ldexp_f32 v9, v9, v10
	v_cndmask_b32_e32 v9, 0, v9, vcc
	v_cmp_nlt_f32_e32 vcc, s59, v8
	v_mul_f32_e32 v8, 0x3fb8aa3b, v4
	v_rndne_f32_e32 v10, v8
	v_cndmask_b32_e32 v113, v216, v9, vcc
	v_fma_f32 v9, v4, s41, -v8
	v_fmac_f32_e32 v9, 0x32a5705f, v4
	v_sub_f32_e32 v8, v8, v10
	v_add_f32_e32 v8, v8, v9
	v_exp_f32_e32 v8, v8
	v_cvt_i32_f32_e32 v9, v10
	v_cmp_ngt_f32_e32 vcc, s58, v4
	v_add_f32_e32 v5, v113, v5
	v_ldexp_f32 v8, v8, v9
	v_cndmask_b32_e32 v8, 0, v8, vcc
	v_cmp_nlt_f32_e32 vcc, s59, v4
	v_sub_f32_e32 v4, v230, v18
	s_nop 0
	v_cndmask_b32_e32 v114, v216, v8, vcc
	v_add_f32_e32 v27, v114, v5
	v_mul_f32_e32 v5, 0x3fb8aa3b, v4
	v_fma_f32 v8, v4, s41, -v5
	v_rndne_f32_e32 v9, v5
	v_fmac_f32_e32 v8, 0x32a5705f, v4
	v_sub_f32_e32 v5, v5, v9
	v_add_f32_e32 v5, v5, v8
	v_exp_f32_e32 v5, v5
	v_cvt_i32_f32_e32 v8, v9
	v_cmp_ngt_f32_e32 vcc, s58, v4
	v_ldexp_f32 v5, v5, v8
	s_nop 0
	v_cndmask_b32_e32 v5, 0, v5, vcc
	v_cmp_nlt_f32_e32 vcc, s59, v4
	s_nop 1
	v_cndmask_b32_e32 v5, v216, v5, vcc
	v_cmp_le_f32_e32 vcc, s62, v4
	s_nop 1
	v_cndmask_b32_e32 v4, 0, v5, vcc
	v_fmac_f32_e32 v27, v231, v4
	v_cvt_f16_f32_e32 v4, v4
	v_cmp_eq_u64_e32 vcc, 0, v[104:105]
	s_and_b64 vcc, exec, vcc
	v_mul_u32_u24_e32 v4, 0x10001, v4
	v_pk_mul_f16 v117, v139, v4
	v_pk_mul_f16 v21, v138, v4
	;; [unrolled: 1-line block ×14, first 2 shown]
	v_lshl_add_u64 v[4:5], v[68:69], 2, v[2:3]
	v_lshl_add_u64 v[4:5], v[4:5], 0, v[44:45]
	global_load_dwordx4 v[28:31], v[4:5], off offset:128
	v_lshl_add_u64 v[4:5], v[64:65], 2, v[2:3]
	v_lshl_add_u64 v[2:3], v[62:63], 2, v[2:3]
	;; [unrolled: 1-line block ×4, first 2 shown]
	s_waitcnt vmcnt(0)
	ds_write_b128 v57, v[28:31]
	global_load_dwordx4 v[28:31], v[4:5], off
	s_waitcnt vmcnt(0)
	ds_write_b128 v93, v[28:31]
	global_load_dwordx4 v[2:5], v[2:3], off
	s_waitcnt vmcnt(0)
	ds_write_b128 v97, v[2:5]
	s_waitcnt lgkmcnt(0)
	s_barrier
	ds_read_u16 v22, v147 offset:240
	v_cvt_f32_f16_e32 v4, v21
	v_cvt_f32_f16_sdwa v5, v21 dst_sel:DWORD dst_unused:UNUSED_PAD src0_sel:WORD_1
	ds_read_u16 v21, v148
	ds_read_u16 v29, v148 offset:32
	ds_read_u16 v23, v149
	ds_read_u16 v30, v149 offset:32
	v_cvt_f32_f16_e32 v2, v117
	v_cvt_f32_f16_sdwa v3, v117 dst_sel:DWORD dst_unused:UNUSED_PAD src0_sel:WORD_1
	s_waitcnt lgkmcnt(1)
	v_perm_b32 v23, v23, v21, s63
	ds_read_u16 v21, v147
	ds_read_u16 v32, v147 offset:32
	s_waitcnt lgkmcnt(2)
	v_perm_b32 v31, v30, v29, s63
	s_waitcnt lgkmcnt(1)
	v_perm_b32 v22, v22, v21, s63
	v_cvt_pk_f16_f32 v21, v16, v20
	v_cvt_pk_f16_f32 v20, v6, v7
	s_nop 1
	v_mfma_f32_16x16x16_f16 v[2:5], v[22:23], v[20:21], v[2:5]
	ds_read_u16 v6, v147 offset:3840
	ds_read_u16 v16, v147 offset:4080
	;; [unrolled: 1-line block ×4, first 2 shown]
	v_cvt_pk_f16_f32 v23, v25, v106
	v_cvt_pk_f16_f32 v25, v109, v111
	s_nop 1
	v_cvt_f16_f32_e32 v2, v2
	v_cvt_f16_f32_e32 v3, v3
	;; [unrolled: 1-line block ×4, first 2 shown]
	s_waitcnt lgkmcnt(0)
	v_perm_b32 v7, v22, v7, s63
	v_perm_b32 v6, v16, v6, s63
	v_cvt_f32_f16_e32 v2, v2
	v_cvt_f32_f16_e32 v3, v3
	;; [unrolled: 1-line block ×4, first 2 shown]
	v_cvt_pk_f16_f32 v22, v17, v24
	v_cvt_pk_f16_f32 v24, v107, v108
	v_cvt_f32_f16_e32 v106, v9
	v_mfma_f32_16x16x16_f16 v[2:5], v[6:7], v[22:23], v[2:5]
	ds_read_u16 v6, v147 offset:7680
	ds_read_u16 v16, v147 offset:7920
	;; [unrolled: 1-line block ×4, first 2 shown]
	v_cvt_f32_f16_sdwa v107, v9 dst_sel:DWORD dst_unused:UNUSED_PAD src0_sel:WORD_1
	v_cvt_f32_f16_e32 v108, v8
	s_nop 1
	v_cvt_f16_f32_e32 v2, v2
	v_cvt_f16_f32_e32 v3, v3
	;; [unrolled: 1-line block ×4, first 2 shown]
	s_waitcnt lgkmcnt(0)
	v_perm_b32 v7, v17, v7, s63
	v_perm_b32 v6, v16, v6, s63
	v_cvt_f32_f16_e32 v2, v2
	v_cvt_f32_f16_e32 v3, v3
	;; [unrolled: 1-line block ×4, first 2 shown]
	v_cvt_f32_f16_sdwa v109, v8 dst_sel:DWORD dst_unused:UNUSED_PAD src0_sel:WORD_1
	s_nop 0
	v_mfma_f32_16x16x16_f16 v[2:5], v[6:7], v[24:25], v[2:5]
	ds_read_u16 v6, v147 offset:11520
	ds_read_u16 v16, v147 offset:11760
	;; [unrolled: 1-line block ×5, first 2 shown]
	s_nop 2
	v_cvt_f16_f32_e32 v2, v2
	v_cvt_f16_f32_e32 v3, v3
	;; [unrolled: 1-line block ×4, first 2 shown]
	s_waitcnt lgkmcnt(1)
	v_perm_b32 v7, v17, v7, s63
	v_perm_b32 v6, v16, v6, s63
	v_cvt_f32_f16_e32 v2, v2
	v_cvt_f32_f16_e32 v3, v3
	;; [unrolled: 1-line block ×4, first 2 shown]
	v_cvt_pk_f16_f32 v17, v113, v114
	v_cvt_pk_f16_f32 v16, v110, v112
	s_waitcnt lgkmcnt(0)
	v_perm_b32 v30, v35, v32, s63
	v_mfma_f32_16x16x16_f16 v[2:5], v[6:7], v[16:17], v[2:5]
	v_cvt_f32_f16_e32 v6, v115
	v_cvt_f32_f16_sdwa v7, v115 dst_sel:DWORD dst_unused:UNUSED_PAD src0_sel:WORD_1
	s_nop 5
	v_cvt_f16_f32_e32 v4, v4
	v_cvt_f16_f32_e32 v5, v5
	v_perm_b32 v28, v5, v4, s63
	v_cvt_f32_f16_e32 v4, v116
	v_cvt_f32_f16_sdwa v5, v116 dst_sel:DWORD dst_unused:UNUSED_PAD src0_sel:WORD_1
	s_nop 1
	v_mfma_f32_16x16x16_f16 v[4:7], v[30:31], v[20:21], v[4:7]
	ds_read_u16 v29, v147 offset:3872
	ds_read_u16 v30, v147 offset:4112
	ds_read_u16 v31, v148 offset:3872
	ds_read_u16 v32, v149 offset:3872
	s_nop 3
	v_cvt_f16_f32_e32 v4, v4
	v_cvt_f16_f32_e32 v5, v5
	v_cvt_f16_f32_e32 v6, v6
	v_cvt_f16_f32_e32 v7, v7
	s_waitcnt lgkmcnt(0)
	v_perm_b32 v31, v32, v31, s63
	v_perm_b32 v30, v30, v29, s63
	v_cvt_f32_f16_e32 v4, v4
	v_cvt_f32_f16_e32 v5, v5
	v_cvt_f32_f16_e32 v6, v6
	v_cvt_f32_f16_e32 v7, v7
	s_nop 1
	v_mfma_f32_16x16x16_f16 v[4:7], v[30:31], v[22:23], v[4:7]
	ds_read_u16 v29, v147 offset:7712
	ds_read_u16 v30, v147 offset:7952
	ds_read_u16 v31, v148 offset:7712
	ds_read_u16 v32, v149 offset:7712
	s_nop 3
	v_cvt_f16_f32_e32 v4, v4
	v_cvt_f16_f32_e32 v5, v5
	v_cvt_f16_f32_e32 v6, v6
	v_cvt_f16_f32_e32 v7, v7
	s_waitcnt lgkmcnt(0)
	v_perm_b32 v31, v32, v31, s63
	v_perm_b32 v30, v30, v29, s63
	v_cvt_f32_f16_e32 v4, v4
	v_cvt_f32_f16_e32 v5, v5
	v_cvt_f32_f16_e32 v6, v6
	v_cvt_f32_f16_e32 v7, v7
	s_nop 1
	v_mfma_f32_16x16x16_f16 v[4:7], v[30:31], v[24:25], v[4:7]
	ds_read_u16 v29, v147 offset:11552
	ds_read_u16 v30, v147 offset:11792
	ds_read_u16 v31, v148 offset:11552
	ds_read_u16 v32, v149 offset:11552
	s_nop 3
	v_cvt_f16_f32_e32 v4, v4
	v_cvt_f16_f32_e32 v5, v5
	v_cvt_f16_f32_e32 v6, v6
	v_cvt_f16_f32_e32 v7, v7
	s_waitcnt lgkmcnt(0)
	v_perm_b32 v31, v32, v31, s63
	v_perm_b32 v30, v30, v29, s63
	v_cvt_f32_f16_e32 v4, v4
	v_cvt_f32_f16_e32 v5, v5
	v_cvt_f32_f16_e32 v6, v6
	v_cvt_f32_f16_e32 v7, v7
	s_nop 1
	v_mfma_f32_16x16x16_f16 v[4:7], v[30:31], v[16:17], v[4:7]
	s_nop 7
	v_cvt_f16_f32_e32 v6, v6
	v_cvt_f16_f32_e32 v7, v7
	v_perm_b32 v29, v7, v6, s63
	ds_read_u16 v6, v147 offset:64
	ds_read_u16 v30, v147 offset:304
	;; [unrolled: 1-line block ×4, first 2 shown]
	s_waitcnt lgkmcnt(2)
	v_perm_b32 v6, v30, v6, s63
	s_waitcnt lgkmcnt(0)
	v_perm_b32 v7, v31, v7, s63
	ds_read_u16 v30, v147 offset:3904
	ds_read_u16 v32, v147 offset:4144
	;; [unrolled: 1-line block ×4, first 2 shown]
	v_mfma_f32_16x16x16_f16 v[6:9], v[6:7], v[20:21], v[106:109]
	s_waitcnt lgkmcnt(0)
	v_perm_b32 v31, v35, v31, s63
	v_perm_b32 v30, v32, v30, s63
	v_cvt_f32_f16_e32 v106, v11
	s_nop 3
	v_cvt_f16_f32_e32 v6, v6
	v_cvt_f16_f32_e32 v7, v7
	;; [unrolled: 1-line block ×4, first 2 shown]
	v_cvt_f32_f16_e32 v6, v6
	v_cvt_f32_f16_e32 v7, v7
	;; [unrolled: 1-line block ×4, first 2 shown]
	v_cvt_f32_f16_sdwa v107, v11 dst_sel:DWORD dst_unused:UNUSED_PAD src0_sel:WORD_1
	v_cvt_f32_f16_e32 v108, v10
	v_mfma_f32_16x16x16_f16 v[6:9], v[30:31], v[22:23], v[6:9]
	ds_read_u16 v30, v147 offset:7744
	ds_read_u16 v32, v147 offset:7984
	ds_read_u16 v31, v148 offset:7744
	ds_read_u16 v35, v149 offset:7744
	v_cvt_f32_f16_sdwa v109, v10 dst_sel:DWORD dst_unused:UNUSED_PAD src0_sel:WORD_1
	s_nop 2
	v_cvt_f16_f32_e32 v6, v6
	v_cvt_f16_f32_e32 v7, v7
	v_cvt_f16_f32_e32 v8, v8
	v_cvt_f16_f32_e32 v9, v9
	s_waitcnt lgkmcnt(0)
	v_perm_b32 v31, v35, v31, s63
	v_perm_b32 v30, v32, v30, s63
	v_cvt_f32_f16_e32 v6, v6
	v_cvt_f32_f16_e32 v7, v7
	;; [unrolled: 1-line block ×4, first 2 shown]
	s_nop 1
	v_mfma_f32_16x16x16_f16 v[6:9], v[30:31], v[24:25], v[6:9]
	ds_read_u16 v30, v147 offset:11584
	ds_read_u16 v32, v147 offset:11824
	;; [unrolled: 1-line block ×4, first 2 shown]
	s_nop 3
	v_cvt_f16_f32_e32 v6, v6
	v_cvt_f16_f32_e32 v7, v7
	;; [unrolled: 1-line block ×4, first 2 shown]
	s_waitcnt lgkmcnt(0)
	v_perm_b32 v31, v35, v31, s63
	v_perm_b32 v30, v32, v30, s63
	v_cvt_f32_f16_e32 v6, v6
	v_cvt_f32_f16_e32 v7, v7
	;; [unrolled: 1-line block ×4, first 2 shown]
	s_nop 1
	v_mfma_f32_16x16x16_f16 v[6:9], v[30:31], v[16:17], v[6:9]
	s_nop 7
	v_cvt_f16_f32_e32 v8, v8
	v_cvt_f16_f32_e32 v9, v9
	v_perm_b32 v30, v9, v8, s63
	ds_read_u16 v8, v147 offset:96
	ds_read_u16 v31, v147 offset:336
	;; [unrolled: 1-line block ×4, first 2 shown]
	s_waitcnt lgkmcnt(2)
	v_perm_b32 v8, v31, v8, s63
	s_waitcnt lgkmcnt(0)
	v_perm_b32 v9, v32, v9, s63
	ds_read_u16 v31, v147 offset:3936
	ds_read_u16 v32, v147 offset:4176
	ds_read_u16 v35, v148 offset:3936
	ds_read_u16 v36, v149 offset:3936
	v_mfma_f32_16x16x16_f16 v[8:11], v[8:9], v[20:21], v[106:109]
	s_waitcnt lgkmcnt(0)
	v_perm_b32 v37, v36, v35, s63
	v_perm_b32 v36, v32, v31, s63
	v_cvt_f32_f16_e32 v106, v13
	s_nop 3
	v_cvt_f16_f32_e32 v8, v8
	v_cvt_f16_f32_e32 v9, v9
	v_cvt_f16_f32_e32 v10, v10
	v_cvt_f16_f32_e32 v11, v11
	v_cvt_f32_f16_e32 v8, v8
	v_cvt_f32_f16_e32 v9, v9
	v_cvt_f32_f16_e32 v10, v10
	v_cvt_f32_f16_e32 v11, v11
	v_cvt_f32_f16_sdwa v107, v13 dst_sel:DWORD dst_unused:UNUSED_PAD src0_sel:WORD_1
	v_cvt_f32_f16_e32 v108, v12
	v_mfma_f32_16x16x16_f16 v[8:11], v[36:37], v[22:23], v[8:11]
	ds_read_u16 v31, v147 offset:7776
	ds_read_u16 v32, v147 offset:8016
	;; [unrolled: 1-line block ×4, first 2 shown]
	v_cvt_f32_f16_sdwa v109, v12 dst_sel:DWORD dst_unused:UNUSED_PAD src0_sel:WORD_1
	s_nop 2
	v_cvt_f16_f32_e32 v8, v8
	v_cvt_f16_f32_e32 v9, v9
	;; [unrolled: 1-line block ×4, first 2 shown]
	s_waitcnt lgkmcnt(0)
	v_perm_b32 v37, v36, v35, s63
	v_perm_b32 v36, v32, v31, s63
	v_cvt_f32_f16_e32 v8, v8
	v_cvt_f32_f16_e32 v9, v9
	;; [unrolled: 1-line block ×4, first 2 shown]
	s_nop 1
	v_mfma_f32_16x16x16_f16 v[8:11], v[36:37], v[24:25], v[8:11]
	ds_read_u16 v31, v147 offset:11616
	ds_read_u16 v32, v147 offset:11856
	;; [unrolled: 1-line block ×4, first 2 shown]
	s_nop 3
	v_cvt_f16_f32_e32 v8, v8
	v_cvt_f16_f32_e32 v9, v9
	;; [unrolled: 1-line block ×4, first 2 shown]
	s_waitcnt lgkmcnt(0)
	v_perm_b32 v37, v36, v35, s63
	v_perm_b32 v36, v32, v31, s63
	v_cvt_f32_f16_e32 v8, v8
	v_cvt_f32_f16_e32 v9, v9
	;; [unrolled: 1-line block ×4, first 2 shown]
	s_nop 1
	v_mfma_f32_16x16x16_f16 v[8:11], v[36:37], v[16:17], v[8:11]
	s_nop 7
	v_cvt_f16_f32_e32 v10, v10
	v_cvt_f16_f32_e32 v11, v11
	v_perm_b32 v31, v11, v10, s63
	ds_read_u16 v10, v147 offset:128
	ds_read_u16 v32, v147 offset:368
	;; [unrolled: 1-line block ×4, first 2 shown]
	s_waitcnt lgkmcnt(2)
	v_perm_b32 v10, v32, v10, s63
	s_waitcnt lgkmcnt(0)
	v_perm_b32 v11, v35, v11, s63
	ds_read_u16 v32, v147 offset:3968
	ds_read_u16 v35, v147 offset:4208
	;; [unrolled: 1-line block ×4, first 2 shown]
	v_mfma_f32_16x16x16_f16 v[10:13], v[10:11], v[20:21], v[106:109]
	s_waitcnt lgkmcnt(0)
	v_perm_b32 v37, v37, v36, s63
	v_perm_b32 v36, v35, v32, s63
	v_cvt_f32_f16_e32 v106, v15
	s_nop 3
	v_cvt_f16_f32_e32 v10, v10
	v_cvt_f16_f32_e32 v11, v11
	;; [unrolled: 1-line block ×4, first 2 shown]
	v_cvt_f32_f16_e32 v10, v10
	v_cvt_f32_f16_e32 v11, v11
	;; [unrolled: 1-line block ×4, first 2 shown]
	v_cvt_f32_f16_sdwa v107, v15 dst_sel:DWORD dst_unused:UNUSED_PAD src0_sel:WORD_1
	v_cvt_f32_f16_e32 v108, v14
	v_mfma_f32_16x16x16_f16 v[10:13], v[36:37], v[22:23], v[10:13]
	ds_read_u16 v32, v147 offset:7808
	ds_read_u16 v35, v147 offset:8048
	;; [unrolled: 1-line block ×4, first 2 shown]
	v_cvt_f32_f16_sdwa v109, v14 dst_sel:DWORD dst_unused:UNUSED_PAD src0_sel:WORD_1
	s_nop 2
	v_cvt_f16_f32_e32 v10, v10
	v_cvt_f16_f32_e32 v11, v11
	;; [unrolled: 1-line block ×4, first 2 shown]
	s_waitcnt lgkmcnt(0)
	v_perm_b32 v37, v37, v36, s63
	v_perm_b32 v36, v35, v32, s63
	v_cvt_f32_f16_e32 v10, v10
	v_cvt_f32_f16_e32 v11, v11
	;; [unrolled: 1-line block ×4, first 2 shown]
	s_nop 1
	v_mfma_f32_16x16x16_f16 v[10:13], v[36:37], v[24:25], v[10:13]
	ds_read_u16 v32, v147 offset:11648
	ds_read_u16 v35, v147 offset:11888
	;; [unrolled: 1-line block ×4, first 2 shown]
	s_nop 3
	v_cvt_f16_f32_e32 v10, v10
	v_cvt_f16_f32_e32 v11, v11
	;; [unrolled: 1-line block ×4, first 2 shown]
	s_waitcnt lgkmcnt(0)
	v_perm_b32 v37, v37, v36, s63
	v_perm_b32 v36, v35, v32, s63
	v_cvt_f32_f16_e32 v10, v10
	v_cvt_f32_f16_e32 v11, v11
	;; [unrolled: 1-line block ×4, first 2 shown]
	s_nop 1
	v_mfma_f32_16x16x16_f16 v[10:13], v[36:37], v[16:17], v[10:13]
	s_nop 7
	v_cvt_f16_f32_e32 v12, v12
	v_cvt_f16_f32_e32 v13, v13
	v_perm_b32 v32, v13, v12, s63
	ds_read_u16 v12, v147 offset:160
	ds_read_u16 v35, v147 offset:400
	;; [unrolled: 1-line block ×4, first 2 shown]
	s_waitcnt lgkmcnt(2)
	v_perm_b32 v12, v35, v12, s63
	s_waitcnt lgkmcnt(0)
	v_perm_b32 v13, v36, v13, s63
	ds_read_u16 v35, v147 offset:4000
	ds_read_u16 v36, v147 offset:4240
	;; [unrolled: 1-line block ×4, first 2 shown]
	v_mfma_f32_16x16x16_f16 v[12:15], v[12:13], v[20:21], v[106:109]
	s_waitcnt lgkmcnt(0)
	v_perm_b32 v37, v44, v37, s63
	v_perm_b32 v36, v36, v35, s63
	v_cvt_f32_f16_e32 v106, v34
	s_nop 3
	v_cvt_f16_f32_e32 v12, v12
	v_cvt_f16_f32_e32 v13, v13
	v_cvt_f16_f32_e32 v14, v14
	v_cvt_f16_f32_e32 v15, v15
	v_cvt_f32_f16_e32 v12, v12
	v_cvt_f32_f16_e32 v13, v13
	;; [unrolled: 1-line block ×4, first 2 shown]
	v_cvt_f32_f16_sdwa v107, v34 dst_sel:DWORD dst_unused:UNUSED_PAD src0_sel:WORD_1
	v_cvt_f32_f16_e32 v108, v33
	v_mfma_f32_16x16x16_f16 v[12:15], v[36:37], v[22:23], v[12:15]
	ds_read_u16 v35, v147 offset:7840
	ds_read_u16 v36, v147 offset:8080
	;; [unrolled: 1-line block ×4, first 2 shown]
	v_cvt_f32_f16_sdwa v109, v33 dst_sel:DWORD dst_unused:UNUSED_PAD src0_sel:WORD_1
	s_nop 2
	v_cvt_f16_f32_e32 v12, v12
	v_cvt_f16_f32_e32 v13, v13
	;; [unrolled: 1-line block ×4, first 2 shown]
	s_waitcnt lgkmcnt(0)
	v_perm_b32 v37, v44, v37, s63
	v_perm_b32 v36, v36, v35, s63
	v_cvt_f32_f16_e32 v12, v12
	v_cvt_f32_f16_e32 v13, v13
	v_cvt_f32_f16_e32 v14, v14
	v_cvt_f32_f16_e32 v15, v15
	s_nop 1
	v_mfma_f32_16x16x16_f16 v[12:15], v[36:37], v[24:25], v[12:15]
	ds_read_u16 v35, v147 offset:11680
	ds_read_u16 v36, v147 offset:11920
	;; [unrolled: 1-line block ×4, first 2 shown]
	s_nop 3
	v_cvt_f16_f32_e32 v12, v12
	v_cvt_f16_f32_e32 v13, v13
	;; [unrolled: 1-line block ×4, first 2 shown]
	s_waitcnt lgkmcnt(0)
	v_perm_b32 v37, v44, v37, s63
	v_perm_b32 v36, v36, v35, s63
	v_cvt_f32_f16_e32 v12, v12
	v_cvt_f32_f16_e32 v13, v13
	;; [unrolled: 1-line block ×4, first 2 shown]
	s_nop 1
	v_mfma_f32_16x16x16_f16 v[12:15], v[36:37], v[16:17], v[12:15]
	s_nop 7
	v_cvt_f16_f32_e32 v14, v14
	v_cvt_f16_f32_e32 v15, v15
	v_perm_b32 v35, v15, v14, s63
	ds_read_u16 v14, v147 offset:192
	ds_read_u16 v36, v147 offset:432
	;; [unrolled: 1-line block ×4, first 2 shown]
	s_waitcnt lgkmcnt(2)
	v_perm_b32 v14, v36, v14, s63
	s_waitcnt lgkmcnt(0)
	v_perm_b32 v15, v37, v15, s63
	ds_read_u16 v33, v147 offset:4032
	ds_read_u16 v34, v147 offset:4272
	;; [unrolled: 1-line block ×4, first 2 shown]
	v_mfma_f32_16x16x16_f16 v[106:109], v[14:15], v[20:21], v[106:109]
	s_nop 7
	v_cvt_f16_f32_e32 v14, v106
	v_cvt_f16_f32_e32 v15, v107
	;; [unrolled: 1-line block ×4, first 2 shown]
	v_cvt_f32_f16_e32 v106, v14
	v_cvt_f32_f16_e32 v107, v15
	s_waitcnt lgkmcnt(0)
	v_perm_b32 v15, v37, v36, s63
	v_perm_b32 v14, v34, v33, s63
	v_cvt_f32_f16_e32 v108, v20
	v_cvt_f32_f16_e32 v109, v21
	ds_read_u16 v33, v147 offset:7872
	ds_read_u16 v34, v147 offset:8112
	;; [unrolled: 1-line block ×4, first 2 shown]
	v_mfma_f32_16x16x16_f16 v[20:23], v[14:15], v[22:23], v[106:109]
	s_nop 7
	v_cvt_f16_f32_e32 v14, v20
	v_cvt_f16_f32_e32 v15, v21
	;; [unrolled: 1-line block ×4, first 2 shown]
	v_cvt_f32_f16_e32 v20, v14
	v_cvt_f32_f16_e32 v21, v15
	s_waitcnt lgkmcnt(0)
	v_perm_b32 v15, v37, v36, s63
	v_perm_b32 v14, v34, v33, s63
	v_cvt_f32_f16_e32 v22, v22
	v_cvt_f32_f16_e32 v23, v23
	s_nop 1
	v_mfma_f32_16x16x16_f16 v[20:23], v[14:15], v[24:25], v[20:23]
	ds_read_u16 v14, v147 offset:11712
	ds_read_u16 v15, v147 offset:11952
	;; [unrolled: 1-line block ×4, first 2 shown]
	s_waitcnt lgkmcnt(0)
	s_barrier
	s_nop 1
	v_cvt_f16_f32_e32 v20, v20
	v_cvt_f16_f32_e32 v21, v21
	;; [unrolled: 1-line block ×4, first 2 shown]
	v_perm_b32 v25, v25, v24, s63
	v_perm_b32 v24, v15, v14, s63
	v_cvt_f32_f16_e32 v20, v20
	v_cvt_f32_f16_e32 v21, v21
	;; [unrolled: 1-line block ×4, first 2 shown]
	s_nop 1
	v_mfma_f32_16x16x16_f16 v[14:17], v[24:25], v[16:17], v[20:23]
	s_nop 7
	v_cvt_f16_f32_e32 v16, v16
	v_cvt_f16_f32_e32 v17, v17
	v_perm_b32 v16, v17, v16, s63
	ds_bpermute_b32 v17, v26, v27
	s_waitcnt lgkmcnt(0)
	v_add_f32_e32 v17, v27, v17
	ds_bpermute_b32 v19, v19, v17
	s_waitcnt lgkmcnt(0)
	v_add_f32_e32 v19, v17, v19
	s_cbranch_vccnz .LBB19_226
; %bb.225:                              ;   in Loop: Header=BB19_14 Depth=1
	v_cvt_pk_f16_f32 v3, v2, v3
	v_lshlrev_b32_e32 v2, 2, v70
	v_readfirstlane_b32 s4, v104
	v_readfirstlane_b32 s5, v105
	v_cvt_pk_f16_f32 v4, v4, v5
	v_cvt_pk_f16_f32 v5, v6, v7
	;; [unrolled: 1-line block ×3, first 2 shown]
	v_max_f32_e32 v8, v18, v18
	v_cvt_pk_f16_f32 v10, v10, v11
	global_load_dword v7, v2, s[4:5]
	v_cvt_pk_f16_f32 v11, v12, v13
	v_cvt_pk_f16_f32 v12, v14, v15
	s_waitcnt vmcnt(0)
	v_max_f32_e32 v2, v7, v7
	v_max_f32_e32 v2, v8, v2
	v_sub_f32_e32 v8, v18, v2
	v_mul_f32_e32 v9, 0x3fb8aa3b, v8
	v_fma_f32 v13, v8, s41, -v9
	v_rndne_f32_e32 v14, v9
	v_fmac_f32_e32 v13, 0x32a5705f, v8
	v_sub_f32_e32 v9, v9, v14
	v_add_f32_e32 v9, v9, v13
	v_exp_f32_e32 v9, v9
	v_cvt_i32_f32_e32 v13, v14
	v_cmp_ngt_f32_e32 vcc, s58, v8
	v_sub_f32_e32 v14, v7, v2
	v_ldexp_f32 v9, v9, v13
	v_cndmask_b32_e32 v9, 0, v9, vcc
	v_cmp_nlt_f32_e32 vcc, s59, v8
	s_nop 1
	v_cndmask_b32_e32 v9, v216, v9, vcc
	v_cmp_le_f32_e32 vcc, s62, v8
	s_nop 1
	v_cndmask_b32_e32 v13, 0, v9, vcc
	v_cvt_f16_f32_e32 v7, v13
	v_cmp_ngt_f32_e32 vcc, s58, v14
	v_mul_u32_u24_e32 v15, 0x10001, v7
	v_pk_mul_f16 v9, v3, v15
	v_mul_f32_e32 v3, 0x3fb8aa3b, v14
	v_pk_mul_f16 v8, v4, v15
	v_pk_mul_f16 v7, v5, v15
	;; [unrolled: 1-line block ×5, first 2 shown]
	v_fma_f32 v11, v14, s41, -v3
	v_rndne_f32_e32 v12, v3
	v_fmac_f32_e32 v11, 0x32a5705f, v14
	v_sub_f32_e32 v3, v3, v12
	v_add_f32_e32 v3, v3, v11
	v_exp_f32_e32 v3, v3
	v_cvt_i32_f32_e32 v11, v12
	v_pk_mul_f16 v28, v28, v15
	v_pk_mul_f16 v29, v29, v15
	;; [unrolled: 1-line block ×3, first 2 shown]
	v_ldexp_f32 v3, v3, v11
	v_cndmask_b32_e32 v3, 0, v3, vcc
	v_cmp_nlt_f32_e32 vcc, s59, v14
	v_pk_mul_f16 v6, v6, v15
	v_pk_mul_f16 v31, v31, v15
	v_cndmask_b32_e32 v3, v216, v3, vcc
	v_fmac_f32_e32 v3, v19, v13
	v_pk_mul_f16 v32, v32, v15
	v_pk_mul_f16 v35, v35, v15
	;; [unrolled: 1-line block ×3, first 2 shown]
	v_mov_b64_e32 v[18:19], v[2:3]
	s_branch .LBB19_227
.LBB19_226:                             ;   in Loop: Header=BB19_14 Depth=1
	v_cvt_f16_f32_e32 v2, v2
	v_cvt_f16_f32_e32 v3, v3
	;; [unrolled: 1-line block ×14, first 2 shown]
	v_perm_b32 v4, v9, v4, s63
	v_perm_b32 v5, v10, v5, s63
	;; [unrolled: 1-line block ×7, first 2 shown]
.LBB19_227:                             ;   in Loop: Header=BB19_14 Depth=1
	s_mov_b64 s[98:99], exec
	v_readlane_b32 s4, v250, 15
	v_readlane_b32 s5, v250, 16
	s_and_b64 s[4:5], s[98:99], s[4:5]
	s_mov_b64 exec, s[4:5]
; %bb.228:                              ;   in Loop: Header=BB19_14 Depth=1
	ds_write2_b32 v202, v18, v19 offset0:56 offset1:57
; %bb.229:                              ;   in Loop: Header=BB19_14 Depth=1
	s_or_b64 exec, exec, s[98:99]
	v_add_u32_e32 v2, v99, v169
	s_waitcnt lgkmcnt(0)
	s_barrier
	ds_write2_b32 v2, v9, v28 offset1:1
	ds_write2_b32 v2, v8, v29 offset0:8 offset1:9
	ds_write2_b32 v2, v7, v30 offset0:16 offset1:17
	;; [unrolled: 1-line block ×6, first 2 shown]
	v_mov_b32_e32 v2, 50
	s_waitcnt lgkmcnt(0)
	s_barrier
	s_and_saveexec_b64 s[98:99], s[96:97]
	s_cbranch_execz .LBB19_231
; %bb.230:                              ;   in Loop: Header=BB19_14 Depth=1
	ds_read_b32 v6, v183 offset:228
	ds_read_b32 v4, v184
	v_mad_u64_u32 v[2:3], s[4:5], v217, s29, v[98:99]
	v_mad_u64_u32 v[2:3], s[4:5], v2, 56, v[38:39]
	s_waitcnt lgkmcnt(0)
	v_cvt_f32_f16_sdwa v5, v4 dst_sel:DWORD dst_unused:UNUSED_PAD src0_sel:WORD_1
	v_cvt_f32_f16_e32 v4, v4
	v_ashrrev_i32_e32 v3, 31, v2
	v_lshl_add_u64 v[2:3], v[2:3], 3, v[102:103]
	v_pk_add_f32 v[4:5], v[4:5], 0 op_sel_hi:[1,0]
	s_nop 0
	v_div_scale_f32 v7, s[4:5], v6, v6, v5
	v_rcp_f32_e32 v8, v7
	s_nop 0
	v_fma_f32 v9, -v7, v8, 1.0
	v_fmac_f32_e32 v8, v9, v8
	v_div_scale_f32 v9, vcc, v5, v6, v5
	v_mul_f32_e32 v10, v9, v8
	v_fma_f32 v11, -v7, v10, v9
	v_fmac_f32_e32 v10, v11, v8
	v_fma_f32 v7, -v7, v10, v9
	v_div_fmas_f32 v7, v7, v8, v10
	v_div_fixup_f32 v5, v7, v6, v5
	v_div_scale_f32 v7, s[4:5], v6, v6, v4
	v_rcp_f32_e32 v8, v7
	s_nop 0
	v_fma_f32 v9, -v7, v8, 1.0
	v_fmac_f32_e32 v8, v9, v8
	v_div_scale_f32 v9, vcc, v4, v6, v4
	v_mul_f32_e32 v10, v9, v8
	v_fma_f32 v11, -v7, v10, v9
	v_fmac_f32_e32 v10, v11, v8
	v_fma_f32 v7, -v7, v10, v9
	v_div_fmas_f32 v7, v7, v8, v10
	v_div_fixup_f32 v4, v7, v6, v4
	global_store_dwordx2 v[2:3], v[4:5], off
	v_mov_b32_e32 v2, 0
.LBB19_231:                             ;   in Loop: Header=BB19_14 Depth=1
	s_or_b64 exec, exec, s[98:99]
	v_cmp_gt_i32_e32 vcc, 50, v2
	s_mov_b64 s[98:99], -1
	s_and_saveexec_b64 s[96:97], vcc
; %bb.232:                              ;   in Loop: Header=BB19_14 Depth=1
	v_cmp_eq_u32_e32 vcc, 0, v2
	s_orn2_b64 s[98:99], vcc, exec
; %bb.233:                              ;   in Loop: Header=BB19_14 Depth=1
	s_or_b64 exec, exec, s[96:97]
	s_and_saveexec_b64 s[96:97], s[98:99]
	s_cbranch_execz .LBB19_266
; %bb.234:                              ;   in Loop: Header=BB19_14 Depth=1
	v_mov_b32_e32 v2, 50
	s_and_saveexec_b64 s[98:99], s[94:95]
	s_cbranch_execz .LBB19_236
; %bb.235:                              ;   in Loop: Header=BB19_14 Depth=1
	ds_read_b32 v6, v185 offset:228
	ds_read_b32 v4, v186
	v_mad_u64_u32 v[2:3], s[4:5], v229, s29, v[98:99]
	v_mad_u64_u32 v[2:3], s[4:5], v2, 56, v[38:39]
	s_waitcnt lgkmcnt(0)
	v_cvt_f32_f16_sdwa v5, v4 dst_sel:DWORD dst_unused:UNUSED_PAD src0_sel:WORD_1
	v_cvt_f32_f16_e32 v4, v4
	v_ashrrev_i32_e32 v3, 31, v2
	v_lshl_add_u64 v[2:3], v[2:3], 3, v[102:103]
	v_pk_add_f32 v[4:5], v[4:5], 0 op_sel_hi:[1,0]
	s_nop 0
	v_div_scale_f32 v7, s[4:5], v6, v6, v5
	v_rcp_f32_e32 v8, v7
	s_nop 0
	v_fma_f32 v9, -v7, v8, 1.0
	v_fmac_f32_e32 v8, v9, v8
	v_div_scale_f32 v9, vcc, v5, v6, v5
	v_mul_f32_e32 v10, v9, v8
	v_fma_f32 v11, -v7, v10, v9
	v_fmac_f32_e32 v10, v11, v8
	v_fma_f32 v7, -v7, v10, v9
	v_div_fmas_f32 v7, v7, v8, v10
	v_div_fixup_f32 v5, v7, v6, v5
	v_div_scale_f32 v7, s[4:5], v6, v6, v4
	v_rcp_f32_e32 v8, v7
	s_nop 0
	v_fma_f32 v9, -v7, v8, 1.0
	v_fmac_f32_e32 v8, v9, v8
	v_div_scale_f32 v9, vcc, v4, v6, v4
	v_mul_f32_e32 v10, v9, v8
	v_fma_f32 v11, -v7, v10, v9
	v_fmac_f32_e32 v10, v11, v8
	v_fma_f32 v7, -v7, v10, v9
	v_div_fmas_f32 v7, v7, v8, v10
	v_div_fixup_f32 v4, v7, v6, v4
	global_store_dwordx2 v[2:3], v[4:5], off
	v_mov_b32_e32 v2, 0
.LBB19_236:                             ;   in Loop: Header=BB19_14 Depth=1
	s_or_b64 exec, exec, s[98:99]
	v_cmp_gt_i32_e32 vcc, 50, v2
	s_mov_b64 s[94:95], -1
	s_and_saveexec_b64 s[98:99], vcc
; %bb.237:                              ;   in Loop: Header=BB19_14 Depth=1
	v_cmp_eq_u32_e32 vcc, 0, v2
	s_orn2_b64 s[94:95], vcc, exec
; %bb.238:                              ;   in Loop: Header=BB19_14 Depth=1
	s_or_b64 exec, exec, s[98:99]
	s_and_b64 exec, exec, s[94:95]
	s_cbranch_execz .LBB19_266
; %bb.239:                              ;   in Loop: Header=BB19_14 Depth=1
	v_mov_b32_e32 v2, 50
	s_and_saveexec_b64 s[94:95], s[92:93]
	s_cbranch_execz .LBB19_241
; %bb.240:                              ;   in Loop: Header=BB19_14 Depth=1
	ds_read_b32 v6, v170 offset:228
	ds_read_b32 v4, v187
	v_mad_u64_u32 v[2:3], s[4:5], v228, s29, v[98:99]
	v_mad_u64_u32 v[2:3], s[4:5], v2, 56, v[38:39]
	s_waitcnt lgkmcnt(0)
	v_cvt_f32_f16_sdwa v5, v4 dst_sel:DWORD dst_unused:UNUSED_PAD src0_sel:WORD_1
	v_cvt_f32_f16_e32 v4, v4
	v_ashrrev_i32_e32 v3, 31, v2
	v_lshl_add_u64 v[2:3], v[2:3], 3, v[102:103]
	v_pk_add_f32 v[4:5], v[4:5], 0 op_sel_hi:[1,0]
	s_nop 0
	v_div_scale_f32 v7, s[4:5], v6, v6, v5
	v_rcp_f32_e32 v8, v7
	s_nop 0
	v_fma_f32 v9, -v7, v8, 1.0
	v_fmac_f32_e32 v8, v9, v8
	v_div_scale_f32 v9, vcc, v5, v6, v5
	v_mul_f32_e32 v10, v9, v8
	v_fma_f32 v11, -v7, v10, v9
	v_fmac_f32_e32 v10, v11, v8
	v_fma_f32 v7, -v7, v10, v9
	v_div_fmas_f32 v7, v7, v8, v10
	v_div_fixup_f32 v5, v7, v6, v5
	v_div_scale_f32 v7, s[4:5], v6, v6, v4
	v_rcp_f32_e32 v8, v7
	s_nop 0
	v_fma_f32 v9, -v7, v8, 1.0
	v_fmac_f32_e32 v8, v9, v8
	v_div_scale_f32 v9, vcc, v4, v6, v4
	v_mul_f32_e32 v10, v9, v8
	v_fma_f32 v11, -v7, v10, v9
	v_fmac_f32_e32 v10, v11, v8
	v_fma_f32 v7, -v7, v10, v9
	v_div_fmas_f32 v7, v7, v8, v10
	v_div_fixup_f32 v4, v7, v6, v4
	global_store_dwordx2 v[2:3], v[4:5], off
	v_mov_b32_e32 v2, 0
.LBB19_241:                             ;   in Loop: Header=BB19_14 Depth=1
	s_or_b64 exec, exec, s[94:95]
	v_cmp_gt_i32_e32 vcc, 50, v2
	s_mov_b64 s[92:93], -1
	s_and_saveexec_b64 s[94:95], vcc
; %bb.242:                              ;   in Loop: Header=BB19_14 Depth=1
	v_cmp_eq_u32_e32 vcc, 0, v2
	s_orn2_b64 s[92:93], vcc, exec
; %bb.243:                              ;   in Loop: Header=BB19_14 Depth=1
	s_or_b64 exec, exec, s[94:95]
	s_and_b64 exec, exec, s[92:93]
	;; [unrolled: 54-line block ×6, first 2 shown]
	s_cbranch_execz .LBB19_266
; %bb.264:                              ;   in Loop: Header=BB19_14 Depth=1
	s_and_b64 exec, exec, s[82:83]
	s_cbranch_execz .LBB19_266
; %bb.265:                              ;   in Loop: Header=BB19_14 Depth=1
	ds_read_b32 v6, v194 offset:228
	ds_read_b32 v4, v195
	v_mad_u64_u32 v[2:3], s[4:5], v223, s29, v[98:99]
	v_mad_u64_u32 v[2:3], s[4:5], v2, 56, v[38:39]
	s_waitcnt lgkmcnt(0)
	v_cvt_f32_f16_sdwa v5, v4 dst_sel:DWORD dst_unused:UNUSED_PAD src0_sel:WORD_1
	v_cvt_f32_f16_e32 v4, v4
	v_ashrrev_i32_e32 v3, 31, v2
	v_lshl_add_u64 v[2:3], v[2:3], 3, v[102:103]
	v_pk_add_f32 v[4:5], v[4:5], 0 op_sel_hi:[1,0]
	s_nop 0
	v_div_scale_f32 v7, s[4:5], v6, v6, v5
	v_rcp_f32_e32 v8, v7
	s_nop 0
	v_fma_f32 v9, -v7, v8, 1.0
	v_fmac_f32_e32 v8, v9, v8
	v_div_scale_f32 v9, vcc, v5, v6, v5
	v_mul_f32_e32 v10, v9, v8
	v_fma_f32 v11, -v7, v10, v9
	v_fmac_f32_e32 v10, v11, v8
	v_fma_f32 v7, -v7, v10, v9
	v_div_fmas_f32 v7, v7, v8, v10
	v_div_fixup_f32 v5, v7, v6, v5
	v_div_scale_f32 v7, s[4:5], v6, v6, v4
	v_rcp_f32_e32 v8, v7
	s_nop 0
	v_fma_f32 v9, -v7, v8, 1.0
	v_fmac_f32_e32 v8, v9, v8
	v_div_scale_f32 v9, vcc, v4, v6, v4
	v_mul_f32_e32 v10, v9, v8
	v_fma_f32 v11, -v7, v10, v9
	v_fmac_f32_e32 v10, v11, v8
	v_fma_f32 v7, -v7, v10, v9
	v_div_fmas_f32 v7, v7, v8, v10
	v_div_fixup_f32 v4, v7, v6, v4
	global_store_dwordx2 v[2:3], v[4:5], off
.LBB19_266:                             ;   in Loop: Header=BB19_14 Depth=1
	s_or_b64 exec, exec, s[96:97]
	v_mov_b32_e32 v2, 50
	s_and_saveexec_b64 s[82:83], s[80:81]
	s_cbranch_execz .LBB19_268
; %bb.267:                              ;   in Loop: Header=BB19_14 Depth=1
	ds_read_b32 v2, v178 offset:128
	ds_read_b32 v6, v177 offset:228
	v_mad_u64_u32 v[4:5], s[4:5], v222, s29, v[94:95]
	v_mul_lo_u32 v4, v4, 56
	s_waitcnt lgkmcnt(1)
	v_cvt_f32_f16_sdwa v3, v2 dst_sel:DWORD dst_unused:UNUSED_PAD src0_sel:WORD_1
	v_cvt_f32_f16_e32 v2, v2
	v_ashrrev_i32_e32 v5, 31, v4
	v_lshl_add_u64 v[4:5], v[4:5], 0, v[40:41]
	v_lshl_add_u64 v[4:5], v[4:5], 3, v[102:103]
	v_pk_add_f32 v[2:3], v[2:3], 0 op_sel_hi:[1,0]
	s_waitcnt lgkmcnt(0)
	v_div_scale_f32 v7, s[4:5], v6, v6, v3
	v_rcp_f32_e32 v8, v7
	s_nop 0
	v_fma_f32 v9, -v7, v8, 1.0
	v_fmac_f32_e32 v8, v9, v8
	v_div_scale_f32 v9, vcc, v3, v6, v3
	v_mul_f32_e32 v10, v9, v8
	v_fma_f32 v11, -v7, v10, v9
	v_fmac_f32_e32 v10, v11, v8
	v_fma_f32 v7, -v7, v10, v9
	v_div_scale_f32 v9, s[4:5], v6, v6, v2
	v_rcp_f32_e32 v11, v9
	v_div_fmas_f32 v7, v7, v8, v10
	v_div_fixup_f32 v3, v7, v6, v3
	v_fma_f32 v7, -v9, v11, 1.0
	v_fmac_f32_e32 v11, v7, v11
	v_div_scale_f32 v7, vcc, v2, v6, v2
	v_mul_f32_e32 v8, v7, v11
	v_fma_f32 v10, -v9, v8, v7
	v_fmac_f32_e32 v8, v10, v11
	v_fma_f32 v7, -v9, v8, v7
	v_div_fmas_f32 v7, v7, v11, v8
	v_div_fixup_f32 v2, v7, v6, v2
	global_store_dwordx2 v[4:5], v[2:3], off offset:256
	v_mov_b32_e32 v2, 0
.LBB19_268:                             ;   in Loop: Header=BB19_14 Depth=1
	s_or_b64 exec, exec, s[82:83]
	v_cmp_gt_i32_e32 vcc, 50, v2
	s_mov_b64 s[82:83], -1
	s_and_saveexec_b64 s[80:81], vcc
; %bb.269:                              ;   in Loop: Header=BB19_14 Depth=1
	v_cmp_eq_u32_e32 vcc, 0, v2
	s_orn2_b64 s[82:83], vcc, exec
; %bb.270:                              ;   in Loop: Header=BB19_14 Depth=1
	s_or_b64 exec, exec, s[80:81]
	s_and_saveexec_b64 s[80:81], s[82:83]
	s_cbranch_execz .LBB19_283
; %bb.271:                              ;   in Loop: Header=BB19_14 Depth=1
	v_mov_b32_e32 v2, 50
	s_and_saveexec_b64 s[82:83], s[78:79]
	s_cbranch_execz .LBB19_273
; %bb.272:                              ;   in Loop: Header=BB19_14 Depth=1
	ds_read_b32 v2, v179 offset:128
	ds_read_b32 v6, v173 offset:228
	v_mad_u64_u32 v[4:5], s[4:5], v221, s29, v[94:95]
	v_mul_lo_u32 v4, v4, 56
	s_waitcnt lgkmcnt(1)
	v_cvt_f32_f16_sdwa v3, v2 dst_sel:DWORD dst_unused:UNUSED_PAD src0_sel:WORD_1
	v_cvt_f32_f16_e32 v2, v2
	v_ashrrev_i32_e32 v5, 31, v4
	v_lshl_add_u64 v[4:5], v[4:5], 0, v[40:41]
	v_lshl_add_u64 v[4:5], v[4:5], 3, v[102:103]
	v_pk_add_f32 v[2:3], v[2:3], 0 op_sel_hi:[1,0]
	s_waitcnt lgkmcnt(0)
	v_div_scale_f32 v7, s[4:5], v6, v6, v3
	v_rcp_f32_e32 v8, v7
	s_nop 0
	v_fma_f32 v9, -v7, v8, 1.0
	v_fmac_f32_e32 v8, v9, v8
	v_div_scale_f32 v9, vcc, v3, v6, v3
	v_mul_f32_e32 v10, v9, v8
	v_fma_f32 v11, -v7, v10, v9
	v_fmac_f32_e32 v10, v11, v8
	v_fma_f32 v7, -v7, v10, v9
	v_div_scale_f32 v9, s[4:5], v6, v6, v2
	v_rcp_f32_e32 v11, v9
	v_div_fmas_f32 v7, v7, v8, v10
	v_div_fixup_f32 v3, v7, v6, v3
	v_fma_f32 v7, -v9, v11, 1.0
	v_fmac_f32_e32 v11, v7, v11
	v_div_scale_f32 v7, vcc, v2, v6, v2
	v_mul_f32_e32 v8, v7, v11
	v_fma_f32 v10, -v9, v8, v7
	v_fmac_f32_e32 v8, v10, v11
	v_fma_f32 v7, -v9, v8, v7
	v_div_fmas_f32 v7, v7, v11, v8
	v_div_fixup_f32 v2, v7, v6, v2
	global_store_dwordx2 v[4:5], v[2:3], off offset:256
	v_mov_b32_e32 v2, 0
.LBB19_273:                             ;   in Loop: Header=BB19_14 Depth=1
	s_or_b64 exec, exec, s[82:83]
	v_cmp_gt_i32_e32 vcc, 50, v2
	s_mov_b64 s[78:79], -1
	s_and_saveexec_b64 s[82:83], vcc
; %bb.274:                              ;   in Loop: Header=BB19_14 Depth=1
	v_cmp_eq_u32_e32 vcc, 0, v2
	s_orn2_b64 s[78:79], vcc, exec
; %bb.275:                              ;   in Loop: Header=BB19_14 Depth=1
	s_or_b64 exec, exec, s[82:83]
	s_and_b64 exec, exec, s[78:79]
	s_cbranch_execz .LBB19_283
; %bb.276:                              ;   in Loop: Header=BB19_14 Depth=1
	v_mov_b32_e32 v2, 50
	s_and_saveexec_b64 s[78:79], s[76:77]
	s_cbranch_execz .LBB19_278
; %bb.277:                              ;   in Loop: Header=BB19_14 Depth=1
	ds_read_b32 v2, v180 offset:128
	ds_read_b32 v6, v174 offset:228
	v_mad_u64_u32 v[4:5], s[4:5], v220, s29, v[94:95]
	v_mul_lo_u32 v4, v4, 56
	s_waitcnt lgkmcnt(1)
	v_cvt_f32_f16_sdwa v3, v2 dst_sel:DWORD dst_unused:UNUSED_PAD src0_sel:WORD_1
	v_cvt_f32_f16_e32 v2, v2
	v_ashrrev_i32_e32 v5, 31, v4
	v_lshl_add_u64 v[4:5], v[4:5], 0, v[40:41]
	v_lshl_add_u64 v[4:5], v[4:5], 3, v[102:103]
	v_pk_add_f32 v[2:3], v[2:3], 0 op_sel_hi:[1,0]
	s_waitcnt lgkmcnt(0)
	v_div_scale_f32 v7, s[4:5], v6, v6, v3
	v_rcp_f32_e32 v8, v7
	s_nop 0
	v_fma_f32 v9, -v7, v8, 1.0
	v_fmac_f32_e32 v8, v9, v8
	v_div_scale_f32 v9, vcc, v3, v6, v3
	v_mul_f32_e32 v10, v9, v8
	v_fma_f32 v11, -v7, v10, v9
	v_fmac_f32_e32 v10, v11, v8
	v_fma_f32 v7, -v7, v10, v9
	v_div_scale_f32 v9, s[4:5], v6, v6, v2
	v_rcp_f32_e32 v11, v9
	v_div_fmas_f32 v7, v7, v8, v10
	v_div_fixup_f32 v3, v7, v6, v3
	v_fma_f32 v7, -v9, v11, 1.0
	v_fmac_f32_e32 v11, v7, v11
	v_div_scale_f32 v7, vcc, v2, v6, v2
	v_mul_f32_e32 v8, v7, v11
	v_fma_f32 v10, -v9, v8, v7
	v_fmac_f32_e32 v8, v10, v11
	v_fma_f32 v7, -v9, v8, v7
	v_div_fmas_f32 v7, v7, v11, v8
	v_div_fixup_f32 v2, v7, v6, v2
	global_store_dwordx2 v[4:5], v[2:3], off offset:256
	v_mov_b32_e32 v2, 0
.LBB19_278:                             ;   in Loop: Header=BB19_14 Depth=1
	s_or_b64 exec, exec, s[78:79]
	v_cmp_gt_i32_e32 vcc, 50, v2
	s_mov_b64 s[76:77], -1
	s_and_saveexec_b64 s[78:79], vcc
; %bb.279:                              ;   in Loop: Header=BB19_14 Depth=1
	v_cmp_eq_u32_e32 vcc, 0, v2
	s_orn2_b64 s[76:77], vcc, exec
; %bb.280:                              ;   in Loop: Header=BB19_14 Depth=1
	s_or_b64 exec, exec, s[78:79]
	s_and_b64 exec, exec, s[76:77]
	s_cbranch_execz .LBB19_283
; %bb.281:                              ;   in Loop: Header=BB19_14 Depth=1
	s_and_b64 exec, exec, s[74:75]
	s_cbranch_execz .LBB19_283
; %bb.282:                              ;   in Loop: Header=BB19_14 Depth=1
	ds_read_b32 v2, v181 offset:128
	ds_read_b32 v6, v175 offset:228
	v_mad_u64_u32 v[4:5], s[4:5], v219, s29, v[94:95]
	v_mul_lo_u32 v4, v4, 56
	s_waitcnt lgkmcnt(1)
	v_cvt_f32_f16_sdwa v3, v2 dst_sel:DWORD dst_unused:UNUSED_PAD src0_sel:WORD_1
	v_cvt_f32_f16_e32 v2, v2
	v_ashrrev_i32_e32 v5, 31, v4
	v_lshl_add_u64 v[4:5], v[4:5], 0, v[40:41]
	v_lshl_add_u64 v[4:5], v[4:5], 3, v[102:103]
	v_pk_add_f32 v[2:3], v[2:3], 0 op_sel_hi:[1,0]
	s_waitcnt lgkmcnt(0)
	v_div_scale_f32 v7, s[4:5], v6, v6, v3
	v_rcp_f32_e32 v8, v7
	s_nop 0
	v_fma_f32 v9, -v7, v8, 1.0
	v_fmac_f32_e32 v8, v9, v8
	v_div_scale_f32 v9, vcc, v3, v6, v3
	v_mul_f32_e32 v10, v9, v8
	v_fma_f32 v11, -v7, v10, v9
	v_fmac_f32_e32 v10, v11, v8
	v_fma_f32 v7, -v7, v10, v9
	v_div_scale_f32 v9, s[4:5], v6, v6, v2
	v_rcp_f32_e32 v11, v9
	v_div_fmas_f32 v7, v7, v8, v10
	v_div_fixup_f32 v3, v7, v6, v3
	v_fma_f32 v7, -v9, v11, 1.0
	v_fmac_f32_e32 v11, v7, v11
	v_div_scale_f32 v7, vcc, v2, v6, v2
	v_mul_f32_e32 v8, v7, v11
	v_fma_f32 v10, -v9, v8, v7
	v_fmac_f32_e32 v8, v10, v11
	v_fma_f32 v7, -v9, v8, v7
	v_div_fmas_f32 v7, v7, v11, v8
	v_div_fixup_f32 v2, v7, v6, v2
	global_store_dwordx2 v[4:5], v[2:3], off offset:256
.LBB19_283:                             ;   in Loop: Header=BB19_14 Depth=1
	s_or_b64 exec, exec, s[80:81]
	v_mov_b32_e32 v2, 50
	s_and_saveexec_b64 s[74:75], s[72:73]
	s_cbranch_execz .LBB19_285
; %bb.284:                              ;   in Loop: Header=BB19_14 Depth=1
	ds_read_b32 v2, v167 offset:192
	ds_read_b32 v6, v91 offset:228
	v_mad_u64_u32 v[4:5], s[4:5], v218, s29, v[90:91]
	v_mul_lo_u32 v4, v4, 56
	s_waitcnt lgkmcnt(1)
	v_cvt_f32_f16_sdwa v3, v2 dst_sel:DWORD dst_unused:UNUSED_PAD src0_sel:WORD_1
	v_cvt_f32_f16_e32 v2, v2
	v_ashrrev_i32_e32 v5, 31, v4
	v_or_b32_e32 v4, v4, v70
	v_lshl_add_u64 v[4:5], v[4:5], 3, v[102:103]
	v_pk_add_f32 v[2:3], v[2:3], 0 op_sel_hi:[1,0]
	s_waitcnt lgkmcnt(0)
	v_div_scale_f32 v7, s[4:5], v6, v6, v3
	v_rcp_f32_e32 v8, v7
	s_nop 0
	v_fma_f32 v9, -v7, v8, 1.0
	v_fmac_f32_e32 v8, v9, v8
	v_div_scale_f32 v9, vcc, v3, v6, v3
	v_mul_f32_e32 v10, v9, v8
	v_fma_f32 v11, -v7, v10, v9
	v_fmac_f32_e32 v10, v11, v8
	v_fma_f32 v7, -v7, v10, v9
	v_div_scale_f32 v9, s[4:5], v6, v6, v2
	v_rcp_f32_e32 v11, v9
	v_div_fmas_f32 v7, v7, v8, v10
	v_div_fixup_f32 v3, v7, v6, v3
	v_fma_f32 v7, -v9, v11, 1.0
	v_fmac_f32_e32 v11, v7, v11
	v_div_scale_f32 v7, vcc, v2, v6, v2
	v_mul_f32_e32 v8, v7, v11
	v_fma_f32 v10, -v9, v8, v7
	v_fmac_f32_e32 v8, v10, v11
	v_fma_f32 v7, -v9, v8, v7
	v_div_fmas_f32 v7, v7, v11, v8
	v_div_fixup_f32 v2, v7, v6, v2
	global_store_dwordx2 v[4:5], v[2:3], off offset:384
	v_mov_b32_e32 v2, 0
.LBB19_285:                             ;   in Loop: Header=BB19_14 Depth=1
	s_or_b64 exec, exec, s[74:75]
	v_cmp_gt_i32_e32 vcc, 50, v2
	s_mov_b64 s[74:75], -1
	s_and_saveexec_b64 s[72:73], vcc
; %bb.286:                              ;   in Loop: Header=BB19_14 Depth=1
	v_cmp_eq_u32_e32 vcc, 0, v2
	s_orn2_b64 s[74:75], vcc, exec
; %bb.287:                              ;   in Loop: Header=BB19_14 Depth=1
	s_or_b64 exec, exec, s[72:73]
                                        ; implicit-def: $vgpr2_vgpr3
	s_and_saveexec_b64 s[72:73], s[74:75]
	s_cbranch_execz .LBB19_291
; %bb.288:                              ;   in Loop: Header=BB19_14 Depth=1
	s_mov_b64 s[76:77], s[8:9]
                                        ; implicit-def: $vgpr2_vgpr3
	s_and_saveexec_b64 s[74:75], s[6:7]
	s_cbranch_execz .LBB19_290
; %bb.289:                              ;   in Loop: Header=BB19_14 Depth=1
	ds_read_b32 v2, v168 offset:192
	ds_read_b32 v4, v95 offset:228
	s_or_b64 s[76:77], s[8:9], exec
	s_waitcnt lgkmcnt(1)
	v_cvt_f32_f16_sdwa v3, v2 dst_sel:DWORD dst_unused:UNUSED_PAD src0_sel:WORD_1
	v_cvt_f32_f16_e32 v2, v2
	v_pk_add_f32 v[2:3], v[2:3], 0 op_sel_hi:[1,0]
	s_waitcnt lgkmcnt(0)
	v_div_scale_f32 v5, s[4:5], v4, v4, v3
	v_rcp_f32_e32 v7, v5
	v_div_scale_f32 v6, s[4:5], v4, v4, v2
	v_div_scale_f32 v9, vcc, v3, v4, v3
	v_fma_f32 v10, -v5, v7, 1.0
	v_fmac_f32_e32 v7, v10, v7
	v_rcp_f32_e32 v8, v6
	v_mul_f32_e32 v10, v9, v7
	v_fma_f32 v12, -v5, v10, v9
	v_fmac_f32_e32 v10, v12, v7
	v_fma_f32 v5, -v5, v10, v9
	v_fma_f32 v11, -v6, v8, 1.0
	v_div_fmas_f32 v5, v5, v7, v10
	v_div_fixup_f32 v3, v5, v4, v3
	v_fmac_f32_e32 v8, v11, v8
	v_div_scale_f32 v5, vcc, v2, v4, v2
	v_mul_f32_e32 v7, v5, v8
	v_fma_f32 v9, -v6, v7, v5
	v_fmac_f32_e32 v7, v9, v8
	v_fma_f32 v5, -v6, v7, v5
	v_div_fmas_f32 v5, v5, v8, v7
	v_div_fixup_f32 v2, v5, v4, v2
.LBB19_290:                             ;   in Loop: Header=BB19_14 Depth=1
	s_or_b64 exec, exec, s[74:75]
	s_andn2_b64 s[4:5], s[8:9], exec
	s_and_b64 s[6:7], s[76:77], exec
	s_or_b64 s[8:9], s[4:5], s[6:7]
.LBB19_291:                             ;   in Loop: Header=BB19_14 Depth=1
	s_or_b64 exec, exec, s[72:73]
.LBB19_292:                             ;   in Loop: Header=BB19_14 Depth=1
	s_and_saveexec_b64 s[6:7], s[8:9]
	s_cbranch_execz .LBB19_13
; %bb.293:                              ;   in Loop: Header=BB19_14 Depth=1
	v_mad_u64_u32 v[4:5], s[4:5], v101, s29, v[90:91]
	v_mul_lo_u32 v4, v4, 56
	v_ashrrev_i32_e32 v5, 31, v4
	v_or_b32_e32 v4, v4, v70
	v_lshl_add_u64 v[4:5], v[4:5], 3, v[102:103]
	global_store_dwordx2 v[4:5], v[2:3], off offset:384
	s_branch .LBB19_13
.LBB19_294:
	v_readlane_b32 s8, v250, 13
	v_readlane_b32 s9, v250, 14
	s_andn2_b64 vcc, exec, s[6:7]
	s_cbranch_vccnz .LBB19_11
.LBB19_295:
	s_abs_i32 s0, s11
	v_cvt_f32_u32_e32 v2, s0
	s_sub_i32 s3, 0, s0
	s_abs_i32 s2, s52
	s_xor_b32 s1, s52, s11
	v_rcp_iflag_f32_e32 v2, v2
	s_ashr_i32 s1, s1, 31
	v_mov_b32_e32 v12, s38
	v_mul_f32_e32 v2, 0x4f7ffffe, v2
	v_cvt_u32_f32_e32 v2, v2
	s_nop 0
	v_readfirstlane_b32 s4, v2
	s_mul_i32 s3, s3, s4
	s_mul_hi_u32 s3, s4, s3
	s_add_i32 s4, s4, s3
	s_mul_hi_u32 s3, s2, s4
	s_mul_i32 s4, s3, s0
	s_sub_i32 s2, s2, s4
	s_add_i32 s5, s3, 1
	s_sub_i32 s4, s2, s0
	s_cmp_ge_u32 s2, s0
	s_cselect_b32 s3, s5, s3
	s_cselect_b32 s2, s4, s2
	s_add_i32 s4, s3, 1
	s_cmp_ge_u32 s2, s0
	s_cselect_b32 s0, s4, s3
	s_abs_i32 s3, s10
	v_cvt_f32_u32_e32 v2, s3
	s_xor_b32 s0, s0, s1
	s_sub_i32 s4, 0, s3
	s_sub_i32 s2, s0, s1
	v_rcp_iflag_f32_e32 v2, v2
	s_mul_i32 s0, s2, s11
	s_sub_i32 s0, s52, s0
	s_abs_i32 s5, s0
	v_mul_f32_e32 v2, 0x4f7ffffe, v2
	v_cvt_u32_f32_e32 v2, v2
	s_xor_b32 s1, s0, s10
	s_ashr_i32 s1, s1, 31
	v_readfirstlane_b32 s6, v2
	s_mul_i32 s4, s4, s6
	s_mul_hi_u32 s4, s6, s4
	s_add_i32 s6, s6, s4
	s_mul_hi_u32 s4, s5, s6
	s_mul_i32 s6, s4, s3
	s_sub_i32 s5, s5, s6
	s_add_i32 s7, s4, 1
	s_sub_i32 s6, s5, s3
	s_cmp_ge_u32 s5, s3
	s_cselect_b32 s4, s7, s4
	s_cselect_b32 s5, s6, s5
	s_add_i32 s6, s4, 1
	s_cmp_ge_u32 s5, s3
	s_cselect_b32 s3, s6, s4
	s_abs_i32 s4, s55
	v_cvt_f32_u32_e32 v2, s4
	s_xor_b32 s3, s3, s1
	s_sub_i32 s5, 0, s4
	s_sub_i32 s3, s3, s1
	v_rcp_iflag_f32_e32 v2, v2
	s_mul_i32 s1, s3, s10
	s_sub_i32 s1, s0, s1
	s_abs_i32 s6, s1
	v_mul_f32_e32 v2, 0x4f7ffffe, v2
	v_cvt_u32_f32_e32 v2, v2
	s_xor_b32 s0, s1, s55
	s_ashr_i32 s0, s0, 31
	s_mov_b32 s10, s8
	v_readfirstlane_b32 s7, v2
	s_mul_i32 s5, s5, s7
	s_mul_hi_u32 s5, s7, s5
	s_add_i32 s7, s7, s5
	s_mul_hi_u32 s5, s6, s7
	s_mul_i32 s7, s5, s4
	s_sub_i32 s6, s6, s7
	s_add_i32 s8, s5, 1
	s_sub_i32 s7, s6, s4
	s_cmp_ge_u32 s6, s4
	s_cselect_b32 s5, s8, s5
	s_cselect_b32 s6, s7, s6
	s_add_i32 s7, s5, 1
	s_cmp_ge_u32 s6, s4
	s_cselect_b32 s4, s7, s5
	s_xor_b32 s4, s4, s0
	s_sub_i32 s0, s4, s0
	s_mul_i32 s4, s0, s55
	s_sub_i32 s1, s1, s4
	s_ashr_i32 s4, s1, 31
	v_readlane_b32 s5, v250, 7
	s_abs_i32 s1, s1
	s_xor_b32 s4, s4, s5
	s_mul_hi_u32 s5, s1, s48
	s_mul_i32 s6, s5, s65
	s_sub_i32 s1, s1, s6
	s_add_i32 s6, s5, 1
	s_sub_i32 s7, s1, s65
	s_cmp_ge_u32 s1, s65
	s_cselect_b32 s5, s6, s5
	s_cselect_b32 s1, s7, s1
	s_add_i32 s6, s5, 1
	s_cmp_ge_u32 s1, s65
	s_cselect_b32 s1, s6, s5
	s_abs_i32 s8, s10
	v_cvt_f32_u32_e32 v2, s8
	s_xor_b32 s1, s1, s4
	s_sub_i32 s1, s1, s4
	s_cmp_eq_u64 s[22:23], 0
	v_rcp_iflag_f32_e32 v2, v2
	s_nop 0
	v_mul_f32_e32 v2, 0x4f7ffffe, v2
	v_cvt_u32_f32_e32 v2, v2
	s_nop 0
	v_readfirstlane_b32 s10, v2
	s_cbranch_scc1 .LBB19_297
; %bb.296:
	v_readlane_b32 s4, v250, 0
	s_mul_i32 s4, s2, s4
	s_add_i32 s4, s1, s4
	s_ashr_i32 s5, s4, 31
	s_lshl_b64 s[4:5], s[4:5], 2
	s_add_u32 s4, s22, s4
	s_addc_u32 s5, s23, s5
	v_mov_b32_e32 v2, 0
	global_load_dword v2, v2, s[4:5]
	s_waitcnt vmcnt(0)
	v_ashrrev_i32_e32 v3, 31, v2
	v_lshrrev_b32_e32 v3, 26, v3
	v_add_u32_e32 v2, v2, v3
	v_ashrrev_i32_e32 v2, 6, v2
	v_min_i32_e32 v12, s38, v2
.LBB19_297:
	s_mul_i32 s4, s3, s33
	s_lshl_b32 s11, s0, 3
	s_add_i32 s0, s11, s4
	s_mul_i32 s4, s2, s51
	s_ashr_i32 s5, s4, 31
	s_add_u32 s4, s12, s4
	s_mul_i32 s0, s0, s50
	s_addc_u32 s5, s13, s5
	s_ashr_i32 s7, s0, 31
	s_add_u32 s6, s4, s0
	s_addc_u32 s7, s5, s7
	s_lshl_b32 s9, s1, 3
	v_lshrrev_b32_e32 v3, 3, v39
	v_and_b32_e32 v2, 7, v39
	v_add_u32_e32 v3, s9, v3
	v_or_b32_e32 v4, s11, v2
	v_cmp_le_i32_e64 s[0:1], s28, v3
	v_cmp_le_i32_e64 s[4:5], s33, v4
	s_mov_b32 s12, 0x10001
	v_lshl_add_u32 v45, v38, 2, 0
	v_cmp_gt_i32_e32 vcc, s33, v4
	s_or_b64 s[0:1], s[0:1], s[4:5]
	s_and_saveexec_b64 s[4:5], s[0:1]
	s_xor_b64 s[0:1], exec, s[4:5]
; %bb.298:
	s_movk_i32 s4, 0xf0
	v_mad_u32_u24 v3, v39, s4, v45
	v_mov_b32_e32 v4, 0
	ds_write_b32 v3, v4
                                        ; implicit-def: $vgpr3
; %bb.299:
	s_or_saveexec_b64 s[0:1], s[0:1]
	v_mul_lo_u32 v1, v1, s12
	v_readlane_b32 s22, v250, 8
	s_xor_b64 exec, exec, s[0:1]
	s_cbranch_execz .LBB19_301
; %bb.300:
	v_mul_lo_u32 v3, v3, s53
	v_mul_lo_u32 v4, v2, s22
	v_add3_u32 v4, v4, v38, v3
	v_ashrrev_i32_e32 v5, 31, v4
	v_lshl_add_u64 v[4:5], v[4:5], 3, s[6:7]
	global_load_dwordx2 v[4:5], v[4:5], off
	s_movk_i32 s4, 0xf0
	s_waitcnt vmcnt(0)
	v_cvt_pk_f16_f32 v3, v4, v5
	v_pk_mul_f16 v3, v3, v1
	v_mad_u32_u24 v4, v39, s4, v45
	ds_write_b32 v4, v3
.LBB19_301:
	s_or_b64 exec, exec, s[0:1]
	v_add_u32_e32 v3, 8, v39
	v_lshrrev_b32_e32 v4, 3, v3
	v_add_u32_e32 v4, s9, v4
	v_cmp_le_i32_e64 s[0:1], s28, v4
	s_xor_b64 s[4:5], vcc, -1
	s_or_b64 s[0:1], s[0:1], s[4:5]
	s_and_saveexec_b64 s[12:13], s[0:1]
	s_xor_b64 s[0:1], exec, s[12:13]
; %bb.302:
	s_movk_i32 s12, 0xf0
	v_mad_u32_u24 v3, v3, s12, v45
	v_mov_b32_e32 v4, 0
	ds_write_b32 v3, v4
                                        ; implicit-def: $vgpr4
                                        ; implicit-def: $vgpr3
; %bb.303:
	s_andn2_saveexec_b64 s[0:1], s[0:1]
	s_cbranch_execz .LBB19_305
; %bb.304:
	v_mul_lo_u32 v4, v4, s53
	v_mul_lo_u32 v5, v2, s22
	v_add3_u32 v4, v5, v38, v4
	v_ashrrev_i32_e32 v5, 31, v4
	v_lshl_add_u64 v[4:5], v[4:5], 3, s[6:7]
	global_load_dwordx2 v[4:5], v[4:5], off
	s_movk_i32 s12, 0xf0
	v_mad_u32_u24 v3, v3, s12, v45
	s_waitcnt vmcnt(0)
	v_cvt_pk_f16_f32 v4, v4, v5
	v_pk_mul_f16 v4, v4, v1
	ds_write_b32 v3, v4
.LBB19_305:
	s_or_b64 exec, exec, s[0:1]
	v_add_u32_e32 v64, 16, v39
	v_lshrrev_b32_e32 v3, 3, v64
	v_add_u32_e32 v3, s9, v3
	v_cmp_le_i32_e32 vcc, s28, v3
	s_or_b64 s[0:1], vcc, s[4:5]
	s_and_saveexec_b64 s[12:13], s[0:1]
	s_xor_b64 s[0:1], exec, s[12:13]
; %bb.306:
	s_movk_i32 s12, 0xf0
	v_mad_u32_u24 v3, v64, s12, v45
	v_mov_b32_e32 v4, 0
	ds_write_b32 v3, v4
                                        ; implicit-def: $vgpr3
; %bb.307:
	s_andn2_saveexec_b64 s[0:1], s[0:1]
	s_cbranch_execz .LBB19_309
; %bb.308:
	v_mul_lo_u32 v3, v3, s53
	v_mul_lo_u32 v4, v2, s22
	v_add3_u32 v4, v4, v38, v3
	v_ashrrev_i32_e32 v5, 31, v4
	v_lshl_add_u64 v[4:5], v[4:5], 3, s[6:7]
	global_load_dwordx2 v[4:5], v[4:5], off
	s_movk_i32 s12, 0xf0
	s_waitcnt vmcnt(0)
	v_cvt_pk_f16_f32 v3, v4, v5
	v_pk_mul_f16 v3, v3, v1
	v_mad_u32_u24 v4, v64, s12, v45
	ds_write_b32 v4, v3
.LBB19_309:
	s_or_b64 exec, exec, s[0:1]
	v_add_u32_e32 v3, 24, v39
	v_lshrrev_b32_e32 v4, 3, v3
	v_add_u32_e32 v4, s9, v4
	v_cmp_le_i32_e32 vcc, s28, v4
	s_or_b64 s[0:1], vcc, s[4:5]
	s_and_saveexec_b64 s[12:13], s[0:1]
	s_xor_b64 s[0:1], exec, s[12:13]
; %bb.310:
	s_movk_i32 s12, 0xf0
	v_mad_u32_u24 v3, v3, s12, v45
	v_mov_b32_e32 v4, 0
	ds_write_b32 v3, v4
                                        ; implicit-def: $vgpr4
                                        ; implicit-def: $vgpr3
; %bb.311:
	s_andn2_saveexec_b64 s[0:1], s[0:1]
	s_cbranch_execz .LBB19_313
; %bb.312:
	v_mul_lo_u32 v4, v4, s53
	v_mul_lo_u32 v5, v2, s22
	v_add3_u32 v4, v5, v38, v4
	v_ashrrev_i32_e32 v5, 31, v4
	v_lshl_add_u64 v[4:5], v[4:5], 3, s[6:7]
	global_load_dwordx2 v[4:5], v[4:5], off
	s_movk_i32 s12, 0xf0
	v_mad_u32_u24 v3, v3, s12, v45
	s_waitcnt vmcnt(0)
	v_cvt_pk_f16_f32 v4, v4, v5
	v_pk_mul_f16 v4, v4, v1
	ds_write_b32 v3, v4
.LBB19_313:
	s_or_b64 exec, exec, s[0:1]
	v_add_u32_e32 v65, 32, v39
	v_lshrrev_b32_e32 v3, 3, v65
	v_add_u32_e32 v3, s9, v3
	v_cmp_le_i32_e32 vcc, s28, v3
	s_or_b64 s[0:1], vcc, s[4:5]
	s_and_saveexec_b64 s[12:13], s[0:1]
	s_xor_b64 s[0:1], exec, s[12:13]
; %bb.314:
	s_movk_i32 s12, 0xf0
	v_mad_u32_u24 v3, v65, s12, v45
	v_mov_b32_e32 v4, 0
	ds_write_b32 v3, v4
                                        ; implicit-def: $vgpr3
; %bb.315:
	s_andn2_saveexec_b64 s[0:1], s[0:1]
	s_cbranch_execz .LBB19_317
; %bb.316:
	v_mul_lo_u32 v3, v3, s53
	v_mul_lo_u32 v4, v2, s22
	v_add3_u32 v4, v4, v38, v3
	v_ashrrev_i32_e32 v5, 31, v4
	v_lshl_add_u64 v[4:5], v[4:5], 3, s[6:7]
	global_load_dwordx2 v[4:5], v[4:5], off
	s_movk_i32 s12, 0xf0
	s_waitcnt vmcnt(0)
	v_cvt_pk_f16_f32 v3, v4, v5
	v_pk_mul_f16 v3, v3, v1
	v_mad_u32_u24 v4, v65, s12, v45
	ds_write_b32 v4, v3
.LBB19_317:
	s_or_b64 exec, exec, s[0:1]
	v_add_u32_e32 v3, 40, v39
	v_lshrrev_b32_e32 v4, 3, v3
	v_add_u32_e32 v4, s9, v4
	v_cmp_le_i32_e32 vcc, s28, v4
	s_or_b64 s[0:1], vcc, s[4:5]
	;; [unrolled: 63-line block ×3, first 2 shown]
	s_and_saveexec_b64 s[4:5], s[0:1]
	s_xor_b64 s[0:1], exec, s[4:5]
; %bb.326:
	s_movk_i32 s4, 0xf0
	v_mad_u32_u24 v2, v3, s4, v45
	v_mov_b32_e32 v3, 0
	ds_write_b32 v2, v3
                                        ; implicit-def: $vgpr4
                                        ; implicit-def: $vgpr2
                                        ; implicit-def: $vgpr3
; %bb.327:
	s_or_saveexec_b64 s[0:1], s[0:1]
	v_and_b32_e32 v77, 0x3ff, v0
	s_xor_b64 exec, exec, s[0:1]
	s_cbranch_execz .LBB19_329
; %bb.328:
	v_mul_lo_u32 v0, v4, s53
	v_mul_lo_u32 v2, v2, s22
	v_add3_u32 v4, v2, v38, v0
	v_ashrrev_i32_e32 v5, 31, v4
	v_lshl_add_u64 v[4:5], v[4:5], 3, s[6:7]
	global_load_dwordx2 v[4:5], v[4:5], off
	s_movk_i32 s4, 0xf0
	v_mad_u32_u24 v2, v3, s4, v45
	s_waitcnt vmcnt(0)
	v_cvt_pk_f16_f32 v0, v4, v5
	v_pk_mul_f16 v0, v0, v1
	ds_write_b32 v2, v0
.LBB19_329:
	s_or_b64 exec, exec, s[0:1]
	v_lshrrev_b32_e32 v0, 4, v77
	v_lshl_add_u32 v66, v49, 2, v0
	v_lshrrev_b32_e32 v2, 3, v66
	v_and_b32_e32 v0, 7, v66
	v_add_u32_e32 v3, s9, v2
	v_or_b32_e32 v2, s11, v0
	v_cmp_le_i32_e64 s[0:1], s28, v3
	v_cmp_le_i32_e64 s[4:5], s33, v2
	v_and_b32_e32 v67, 15, v77
	v_cmp_gt_i32_e32 vcc, s33, v2
	s_or_b64 s[0:1], s[0:1], s[4:5]
	s_and_saveexec_b64 s[4:5], s[0:1]
	s_xor_b64 s[0:1], exec, s[4:5]
; %bb.330:
	v_mul_u32_u24_e32 v2, 0xf0, v66
	v_lshlrev_b32_e32 v3, 2, v67
	v_add3_u32 v2, 0, v2, v3
	v_mov_b32_e32 v3, 0
	ds_write_b32 v2, v3 offset:128
                                        ; implicit-def: $vgpr3
; %bb.331:
	s_or_saveexec_b64 s[0:1], s[0:1]
	v_or_b32_e32 v2, 32, v67
	v_lshl_add_u32 v69, v67, 2, 0
	s_xor_b64 exec, exec, s[0:1]
	s_cbranch_execz .LBB19_333
; %bb.332:
	v_mul_lo_u32 v3, v3, s53
	v_mul_lo_u32 v4, v0, s22
	v_add3_u32 v4, v4, v2, v3
	v_ashrrev_i32_e32 v5, 31, v4
	v_lshl_add_u64 v[4:5], v[4:5], 3, s[6:7]
	global_load_dwordx2 v[4:5], v[4:5], off
	s_movk_i32 s4, 0xf0
	s_waitcnt vmcnt(0)
	v_cvt_pk_f16_f32 v3, v4, v5
	v_pk_mul_f16 v3, v3, v1
	v_mad_u32_u24 v4, v66, s4, v69
	ds_write_b32 v4, v3 offset:128
.LBB19_333:
	s_or_b64 exec, exec, s[0:1]
	v_add_u32_e32 v70, 16, v66
	v_lshrrev_b32_e32 v3, 3, v70
	v_add_u32_e32 v3, s9, v3
	v_cmp_le_i32_e64 s[0:1], s28, v3
	s_xor_b64 s[4:5], vcc, -1
	s_or_b64 s[0:1], s[0:1], s[4:5]
	s_and_saveexec_b64 s[12:13], s[0:1]
	s_xor_b64 s[0:1], exec, s[12:13]
; %bb.334:
	v_mul_u32_u24_e32 v3, 0xf0, v70
	v_lshlrev_b32_e32 v4, 2, v67
	v_add3_u32 v3, 0, v3, v4
	v_mov_b32_e32 v4, 0
	ds_write_b32 v3, v4 offset:128
                                        ; implicit-def: $vgpr3
; %bb.335:
	s_andn2_saveexec_b64 s[0:1], s[0:1]
	s_cbranch_execz .LBB19_337
; %bb.336:
	v_mul_lo_u32 v3, v3, s53
	v_mul_lo_u32 v4, v0, s22
	v_add3_u32 v4, v4, v2, v3
	v_ashrrev_i32_e32 v5, 31, v4
	v_lshl_add_u64 v[4:5], v[4:5], 3, s[6:7]
	global_load_dwordx2 v[4:5], v[4:5], off
	s_movk_i32 s12, 0xf0
	s_waitcnt vmcnt(0)
	v_cvt_pk_f16_f32 v3, v4, v5
	v_pk_mul_f16 v3, v3, v1
	v_mad_u32_u24 v4, v70, s12, v69
	ds_write_b32 v4, v3 offset:128
.LBB19_337:
	s_or_b64 exec, exec, s[0:1]
	v_add_u32_e32 v74, 32, v66
	v_lshrrev_b32_e32 v3, 3, v74
	v_add_u32_e32 v3, s9, v3
	v_cmp_le_i32_e32 vcc, s28, v3
	s_or_b64 s[0:1], vcc, s[4:5]
	s_and_saveexec_b64 s[12:13], s[0:1]
	s_xor_b64 s[0:1], exec, s[12:13]
; %bb.338:
	v_mul_u32_u24_e32 v3, 0xf0, v74
	v_lshlrev_b32_e32 v4, 2, v67
	v_add3_u32 v3, 0, v3, v4
	v_mov_b32_e32 v4, 0
	ds_write_b32 v3, v4 offset:128
                                        ; implicit-def: $vgpr3
; %bb.339:
	s_andn2_saveexec_b64 s[0:1], s[0:1]
	s_cbranch_execz .LBB19_341
; %bb.340:
	v_mul_lo_u32 v3, v3, s53
	v_mul_lo_u32 v4, v0, s22
	v_add3_u32 v4, v4, v2, v3
	v_ashrrev_i32_e32 v5, 31, v4
	v_lshl_add_u64 v[4:5], v[4:5], 3, s[6:7]
	global_load_dwordx2 v[4:5], v[4:5], off
	s_movk_i32 s12, 0xf0
	s_waitcnt vmcnt(0)
	v_cvt_pk_f16_f32 v3, v4, v5
	v_pk_mul_f16 v3, v3, v1
	v_mad_u32_u24 v4, v74, s12, v69
	ds_write_b32 v4, v3 offset:128
.LBB19_341:
	s_or_b64 exec, exec, s[0:1]
	v_add_u32_e32 v75, 48, v66
	v_lshrrev_b32_e32 v3, 3, v75
	v_add_u32_e32 v3, s9, v3
	v_cmp_le_i32_e32 vcc, s28, v3
	s_sub_i32 s12, 0, s8
	s_or_b64 s[0:1], vcc, s[4:5]
	s_and_saveexec_b64 s[4:5], s[0:1]
	s_xor_b64 s[0:1], exec, s[4:5]
; %bb.342:
	v_mul_u32_u24_e32 v0, 0xf0, v75
	v_lshlrev_b32_e32 v2, 2, v67
	v_add3_u32 v0, 0, v0, v2
	v_mov_b32_e32 v2, 0
	ds_write_b32 v0, v2 offset:128
                                        ; implicit-def: $vgpr3
                                        ; implicit-def: $vgpr0
                                        ; implicit-def: $vgpr2
; %bb.343:
	s_or_saveexec_b64 s[0:1], s[0:1]
	s_mul_i32 s12, s12, s10
	s_xor_b64 exec, exec, s[0:1]
	s_cbranch_execz .LBB19_345
; %bb.344:
	v_mul_lo_u32 v3, v3, s53
	v_mul_lo_u32 v0, v0, s22
	v_add3_u32 v2, v0, v2, v3
	v_ashrrev_i32_e32 v3, 31, v2
	v_lshl_add_u64 v[2:3], v[2:3], 3, s[6:7]
	global_load_dwordx2 v[2:3], v[2:3], off
	s_movk_i32 s4, 0xf0
	s_waitcnt vmcnt(0)
	v_cvt_pk_f16_f32 v0, v2, v3
	v_pk_mul_f16 v0, v0, v1
	v_mad_u32_u24 v2, v75, s4, v69
	ds_write_b32 v2, v0 offset:128
.LBB19_345:
	s_or_b64 exec, exec, s[0:1]
	v_lshrrev_b32_e32 v14, 3, v77
	v_and_b32_e32 v0, 7, v14
	v_lshl_add_u32 v72, v49, 3, v14
	v_or_b32_e32 v2, s11, v0
	v_cmp_gt_i32_e32 vcc, s33, v2
	v_cmp_le_i32_e64 s[0:1], s33, v2
	v_lshrrev_b32_e32 v2, 3, v72
	v_add_u32_e32 v2, s9, v2
	v_cmp_le_i32_e64 s[4:5], s28, v2
	s_mul_hi_u32 s12, s10, s12
	v_and_b32_e32 v73, 7, v77
	v_mul_lo_u32 v0, s22, v0
	s_or_b64 s[0:1], s[4:5], s[0:1]
	s_and_saveexec_b64 s[4:5], s[0:1]
	s_xor_b64 s[0:1], exec, s[4:5]
; %bb.346:
	v_mul_u32_u24_e32 v2, 0xf0, v72
	v_lshlrev_b32_e32 v3, 2, v73
	v_add3_u32 v2, 0, v2, v3
	v_mov_b32_e32 v3, 0
	ds_write_b32 v2, v3 offset:192
                                        ; implicit-def: $vgpr2
; %bb.347:
	s_or_saveexec_b64 s[0:1], s[0:1]
	s_abs_i32 s11, s2
	s_add_i32 s10, s10, s12
	v_add3_u32 v0, v0, v73, 48
	v_lshl_add_u32 v76, v73, 2, 0
	s_xor_b64 exec, exec, s[0:1]
	s_cbranch_execz .LBB19_349
; %bb.348:
	v_mad_u64_u32 v[2:3], s[4:5], v2, s53, v[0:1]
	v_ashrrev_i32_e32 v3, 31, v2
	v_lshl_add_u64 v[2:3], v[2:3], 3, s[6:7]
	global_load_dwordx2 v[2:3], v[2:3], off
	s_movk_i32 s4, 0xf0
	s_waitcnt vmcnt(0)
	v_cvt_pk_f16_f32 v2, v2, v3
	v_pk_mul_f16 v2, v2, v1
	v_mad_u32_u24 v3, v72, s4, v76
	ds_write_b32 v3, v2 offset:192
.LBB19_349:
	s_or_b64 exec, exec, s[0:1]
	v_add_u32_e32 v90, 32, v72
	v_lshrrev_b32_e32 v2, 3, v90
	v_add_u32_e32 v2, s9, v2
	v_cmp_le_i32_e64 s[0:1], s28, v2
	s_xor_b64 s[4:5], vcc, -1
	s_mul_hi_u32 s10, s11, s10
	s_or_b64 s[0:1], s[0:1], s[4:5]
	s_and_saveexec_b64 s[4:5], s[0:1]
	s_xor_b64 s[0:1], exec, s[4:5]
; %bb.350:
	v_mul_u32_u24_e32 v0, 0xf0, v90
	v_lshlrev_b32_e32 v1, 2, v73
	v_add3_u32 v0, 0, v0, v1
	v_mov_b32_e32 v1, 0
	ds_write_b32 v0, v1 offset:192
                                        ; implicit-def: $vgpr0
                                        ; implicit-def: $vgpr2
                                        ; implicit-def: $vgpr1
; %bb.351:
	s_or_saveexec_b64 s[0:1], s[0:1]
	s_ashr_i32 s12, s2, 31
	s_xor_b64 exec, exec, s[0:1]
	s_cbranch_execz .LBB19_353
; %bb.352:
	v_mad_u64_u32 v[2:3], s[4:5], v2, s53, v[0:1]
	v_ashrrev_i32_e32 v3, 31, v2
	v_lshl_add_u64 v[2:3], v[2:3], 3, s[6:7]
	global_load_dwordx2 v[2:3], v[2:3], off
	s_movk_i32 s4, 0xf0
	s_waitcnt vmcnt(0)
	v_cvt_pk_f16_f32 v0, v2, v3
	v_pk_mul_f16 v0, v0, v1
	v_mad_u32_u24 v1, v90, s4, v76
	ds_write_b32 v1, v0 offset:192
.LBB19_353:
	s_or_b64 exec, exec, s[0:1]
	s_mul_hi_u32 s0, s36, s2
	s_mul_i32 s1, s36, s12
	s_add_i32 s0, s0, s1
	s_mul_i32 s1, s37, s2
	v_readlane_b32 s4, v250, 5
	s_add_i32 s0, s0, s1
	s_mul_i32 s1, s36, s2
	v_readlane_b32 s5, v250, 6
	s_add_u32 s1, s14, s1
	s_mul_i32 s4, s3, s5
	s_addc_u32 s0, s15, s0
	s_ashr_i32 s5, s4, 31
	s_add_u32 s4, s1, s4
	s_mul_i32 s10, s10, s8
	s_addc_u32 s5, s0, s5
	s_sub_i32 s0, s11, s10
	s_sub_i32 s1, s0, s8
	s_cmp_ge_u32 s0, s8
	s_cselect_b32 s0, s1, s0
	s_sub_i32 s1, s0, s8
	s_cmp_ge_u32 s0, s8
	s_cselect_b32 s0, s1, s0
	s_xor_b32 s0, s0, s12
	s_sub_i32 s0, s0, s12
	s_ashr_i32 s1, s0, 31
	s_mul_i32 s1, s46, s1
	s_mul_hi_u32 s6, s46, s0
	s_add_i32 s1, s6, s1
	s_mul_i32 s6, s47, s0
	s_add_i32 s1, s1, s6
	s_mul_i32 s0, s46, s0
	s_add_u32 s6, s18, s0
	s_addc_u32 s7, s19, s1
	s_mul_hi_u32 s0, s44, s2
	s_mul_i32 s1, s44, s12
	s_add_i32 s0, s0, s1
	s_mul_i32 s1, s45, s2
	s_add_i32 s0, s0, s1
	s_mul_i32 s1, s44, s2
	s_add_u32 s1, s16, s1
	s_mul_i32 s3, s3, s39
	s_addc_u32 s0, s17, s0
	s_ashr_i32 s8, s3, 31
	s_add_u32 s2, s1, s3
	s_addc_u32 s3, s0, s8
	s_movk_i32 s0, 0xf00
	v_and_b32_e32 v1, 0x7e, v14
	v_mad_u32_u24 v0, v49, s0, 0
	v_mul_u32_u24_e32 v97, 0xf0, v67
	v_lshlrev_b32_e32 v78, 2, v1
	v_add3_u32 v13, v0, v97, v78
	s_waitcnt lgkmcnt(0)
	s_barrier
	ds_read2_b64 v[8:11], v13 offset1:4
	ds_read2_b64 v[4:7], v13 offset0:8 offset1:12
	ds_read2_b64 v[0:3], v13 offset0:16 offset1:20
	ds_read_b64 v[24:25], v13 offset:192
	v_add_u32_e32 v104, -1, v12
	v_add_u32_e32 v12, s9, v39
	v_mul_hi_u32 v13, s42, v12
	v_add_u32_e32 v13, v12, v13
	v_lshrrev_b32_e32 v13, s43, v13
	v_cmp_lt_i32_e32 vcc, s72, v104
	v_mul_lo_u32 v13, v13, s28
	s_movk_i32 s0, 0xf0
	v_sub_u32_e32 v15, v12, v13
	s_waitcnt lgkmcnt(0)
	s_barrier
	s_cbranch_vccnz .LBB19_355
; %bb.354:
	v_lshlrev_b32_e32 v12, 1, v77
	v_lshlrev_b32_e32 v79, 4, v49
	v_lshrrev_b32_e32 v96, 2, v77
	v_and_b32_e32 v30, 62, v12
	v_lshrrev_b32_e32 v12, 1, v77
	v_add_u32_e32 v93, v79, v96
	v_mul_lo_u32 v32, s34, v72
	v_mov_b32_e32 v31, 0
	s_ashr_i32 s35, s34, 31
	v_lshl_add_u32 v94, v49, 5, v12
	v_mul_lo_u32 v26, s34, v93
	v_lshlrev_b32_e32 v102, 2, v77
	v_mov_b32_e32 v12, 0x1e00
	v_lshl_add_u32 v34, s34, 5, v32
	v_mad_i64_i32 v[36:37], s[8:9], v15, s40, 0
	v_mul_u32_u24_e32 v99, 0xf0, v93
	v_ashrrev_i32_e32 v27, 31, v26
	v_and_or_b32 v20, v102, 12, 32
	v_mov_b32_e32 v21, v31
	v_mul_u32_u24_e32 v100, 0xf0, v72
	v_and_b32_e32 v28, 28, v102
	v_mov_b32_e32 v29, v31
	v_ashrrev_i32_e32 v33, 31, v32
	v_mad_u32_u24 v101, v72, s0, v12
	v_ashrrev_i32_e32 v35, 31, v34
	s_mov_b64 s[0:1], 0
	v_mov_b64_e32 v[12:13], s[34:35]
	s_branch .LBB19_356
.LBB19_355:
	s_mov_b64 s[0:1], -1
                                        ; implicit-def: $vgpr30
                                        ; implicit-def: $vgpr36_vgpr37
                                        ; implicit-def: $vgpr12_vgpr13
                                        ; implicit-def: $vgpr94
                                        ; implicit-def: $vgpr79
                                        ; implicit-def: $vgpr96
                                        ; implicit-def: $vgpr93
                                        ; implicit-def: $vgpr99
                                        ; implicit-def: $vgpr26_vgpr27
                                        ; implicit-def: $vgpr102
                                        ; implicit-def: $vgpr20
                                        ; implicit-def: $vgpr100
                                        ; implicit-def: $vgpr28
                                        ; implicit-def: $vgpr32_vgpr33
                                        ; implicit-def: $vgpr101
                                        ; implicit-def: $vgpr34_vgpr35
.LBB19_356:
	v_mul_lo_u32 v22, s30, v72
	v_mul_u32_u24_e32 v103, 0x90, v39
	s_andn2_b64 vcc, exec, s[0:1]
	v_lshl_or_b32 v98, v14, 2, 4
	v_lshlrev_b32_e32 v92, 1, v14
	v_ashrrev_i32_e32 v23, 31, v22
	v_lshlrev_b32_e32 v91, 1, v67
	s_cbranch_vccnz .LBB19_364
; %bb.357:
	v_lshlrev_b32_e32 v12, 1, v77
	v_and_b32_e32 v30, 62, v12
	v_mad_i64_i32 v[36:37], s[0:1], v15, s40, 0
	v_lshlrev_b32_e32 v79, 4, v49
	v_lshrrev_b32_e32 v96, 2, v77
	v_lshlrev_b32_e32 v102, 2, v77
	v_mov_b32_e32 v41, 0
	v_lshlrev_b32_e32 v40, 1, v30
	v_lshl_add_u64 v[12:13], v[36:37], 1, s[6:7]
	v_add_u32_e32 v93, v79, v96
	s_movk_i32 s8, 0xf0
	v_and_b32_e32 v14, 12, v102
	v_lshl_add_u64 v[42:43], v[12:13], 0, v[40:41]
	v_mad_u32_u24 v13, v93, s8, 0
	v_lshlrev_b32_e32 v15, 2, v14
	s_movk_i32 s9, 0x80
	v_and_b32_e32 v28, 28, v102
	v_lshrrev_b32_e32 v12, 1, v77
	v_add3_u32 v106, v13, v15, s9
	v_mul_u32_u24_e32 v100, 0xf0, v72
	v_lshlrev_b32_e32 v13, 2, v28
	v_lshl_add_u32 v94, v49, 5, v12
	v_add3_u32 v107, 0, v100, v13
	v_mov_b32_e32 v13, 0x1e00
	v_and_b32_e32 v44, 4, v102
	v_mad_u32_u24 v101, v72, s8, v13
	v_mad_u32_u24 v13, v94, s8, 0
	v_lshlrev_b32_e32 v15, 2, v44
	s_movk_i32 s8, 0xc0
	v_add3_u32 v110, v13, v15, s8
	v_and_or_b32 v13, v77, 8, v79
	v_lshrrev_b32_e32 v13, 3, v13
	s_movk_i32 s8, 0x90
	v_mad_u32_u24 v13, v13, s8, 0
	v_and_b32_e32 v12, 0x1f8, v12
	v_add_u32_e32 v111, v13, v12
	v_mbcnt_hi_u32_b32 v12, -1, v71
	v_and_b32_e32 v17, 64, v12
	v_add_u32_e32 v17, 64, v17
	v_xor_b32_e32 v18, 32, v12
	v_cmp_lt_i32_e32 vcc, v18, v17
	v_mul_lo_u32 v32, s34, v72
	v_mul_lo_u32 v26, s34, v93
	v_cndmask_b32_e32 v18, v12, v18, vcc
	v_lshlrev_b32_e32 v113, 2, v18
	v_xor_b32_e32 v18, 16, v12
	v_cmp_lt_i32_e32 vcc, v18, v17
	v_or_b32_e32 v17, 2, v92
	v_lshl_add_u32 v34, s34, 5, v32
	v_cndmask_b32_e32 v12, v12, v18, vcc
	v_lshlrev_b32_e32 v114, 2, v12
	v_or_b32_e32 v12, 3, v92
	v_and_b32_e32 v18, 0xfc, v92
	v_mul_lo_u32 v46, s34, v94
	v_add_u32_e32 v112, v13, v98
	v_add_u32_e32 v13, 32, v111
	;; [unrolled: 1-line block ×4, first 2 shown]
	v_mul_lo_u32 v48, s30, v94
	v_mul_u32_u24_e32 v12, 0xf0, v12
	v_mul_u32_u24_e32 v17, 0xf0, v17
	;; [unrolled: 1-line block ×3, first 2 shown]
	v_mul_lo_u32 v50, s30, v90
	v_mul_lo_u32 v52, s30, v93
	v_readlane_b32 s22, v250, 1
	v_mov_b32_e32 v31, v41
	v_add3_u32 v105, 0, v103, v40
	s_ashr_i32 s35, s34, 31
	v_cmp_gt_u32_e64 s[0:1], 64, v94
	v_mul_u32_u24_e32 v99, 0xf0, v93
	v_ashrrev_i32_e32 v27, 31, v26
	v_or_b32_e32 v20, 32, v14
	v_mov_b32_e32 v21, v41
	v_mov_b32_e32 v29, v41
	v_ashrrev_i32_e32 v33, 31, v32
	v_add_u32_e32 v108, 0x1e00, v107
	v_ashrrev_i32_e32 v35, 31, v34
	v_add3_u32 v109, 0, v97, v78
	v_ashrrev_i32_e32 v47, 31, v46
	v_ashrrev_i32_e32 v49, 31, v48
	;; [unrolled: 1-line block ×4, first 2 shown]
	v_add3_u32 v115, 0, v18, v91
	v_add3_u32 v116, 0, v17, v91
	;; [unrolled: 1-line block ×3, first 2 shown]
	s_lshl_b32 s8, s72, 6
	v_mov_b32_e32 v12, 0xfeffffff
	v_lshlrev_b32_e32 v40, 2, v14
	v_lshlrev_b32_e32 v54, 2, v28
	v_add_u32_e32 v118, 0x3c00, v13
	v_add_u32_e32 v119, 0x3c00, v15
	;; [unrolled: 1-line block ×3, first 2 shown]
	s_mov_b32 s10, 0x3fb8aa3b
	s_mov_b32 s11, 0xc2ce8ed0
	;; [unrolled: 1-line block ×5, first 2 shown]
	v_mov_b32_e32 v121, 0x7f800000
	v_mov_b32_e32 v122, v41
	;; [unrolled: 1-line block ×16, first 2 shown]
	v_readlane_b32 s19, v250, 3
	v_readlane_b32 s23, v250, 2
	;; [unrolled: 1-line block ×3, first 2 shown]
.LBB19_358:                             ; =>This Inner Loop Header: Depth=1
	s_ashr_i32 s9, s8, 31
	v_lshl_add_u64 v[14:15], s[8:9], 1, v[42:43]
	global_load_dword v13, v[14:15], off
	s_mul_hi_i32 s13, s8, s34
	s_mul_i32 s12, s8, s34
	s_lshl_b64 s[12:13], s[12:13], 2
	s_add_u32 s12, s4, s12
	s_addc_u32 s13, s5, s13
	s_waitcnt vmcnt(0)
	ds_write_b32 v105, v13 offset:15360
	s_and_saveexec_b64 s[14:15], s[0:1]
	s_cbranch_execz .LBB19_360
; %bb.359:                              ;   in Loop: Header=BB19_358 Depth=1
	v_lshl_add_u64 v[14:15], v[46:47], 2, s[12:13]
	v_lshlrev_b32_e32 v16, 2, v44
	v_mov_b32_e32 v17, v41
	v_lshl_add_u64 v[14:15], v[14:15], 0, v[16:17]
	global_load_dwordx4 v[14:17], v[14:15], off offset:192
	s_waitcnt vmcnt(0)
	ds_write_b128 v110, v[14:17]
.LBB19_360:                             ;   in Loop: Header=BB19_358 Depth=1
	s_or_b64 exec, exec, s[14:15]
	v_lshl_add_u64 v[14:15], v[26:27], 2, s[12:13]
	v_lshl_add_u64 v[58:59], v[14:15], 0, v[40:41]
	;; [unrolled: 1-line block ×3, first 2 shown]
	v_mov_b32_e32 v55, v41
	v_lshl_add_u64 v[62:63], v[14:15], 0, v[54:55]
	v_lshl_add_u64 v[14:15], v[34:35], 2, s[12:13]
	;; [unrolled: 1-line block ×3, first 2 shown]
	global_load_dwordx4 v[14:17], v[58:59], off offset:128
	global_load_dwordx4 v[124:127], v[62:63], off
                                        ; kill: killed $vgpr62_vgpr63
                                        ; kill: killed $vgpr58_vgpr59
	s_nop 0
	global_load_dwordx4 v[128:131], v[128:129], off
	v_add_u32_e32 v13, 0x800, v109
	v_add_u32_e32 v57, 0x1800, v109
	;; [unrolled: 1-line block ×3, first 2 shown]
	s_mul_hi_i32 s13, s8, s30
	s_mul_i32 s12, s8, s30
	s_lshl_b64 s[12:13], s[12:13], 2
	s_add_u32 s12, s2, s12
	s_addc_u32 s13, s3, s13
	s_waitcnt vmcnt(2)
	ds_write_b128 v106, v[14:17]
	s_waitcnt vmcnt(1)
	ds_write_b128 v107, v[124:127]
	;; [unrolled: 2-line block ×3, first 2 shown]
	s_waitcnt lgkmcnt(0)
	s_barrier
	ds_read2_b64 v[14:17], v109 offset1:4
	ds_read2_b64 v[128:131], v13 offset0:224 offset1:228
	ds_read2_b64 v[136:139], v57 offset0:192 offset1:196
	;; [unrolled: 1-line block ×3, first 2 shown]
	s_waitcnt lgkmcnt(3)
	v_mfma_f32_16x16x16_f16 v[124:127], v[14:15], v[8:9], 0
	s_waitcnt lgkmcnt(2)
	v_mfma_f32_16x16x16_f16 v[132:135], v[128:129], v[8:9], 0
	;; [unrolled: 2-line block ×4, first 2 shown]
	v_mfma_f32_16x16x16_f16 v[14:17], v[16:17], v[10:11], v[124:127]
	v_mfma_f32_16x16x16_f16 v[124:127], v[130:131], v[10:11], v[132:135]
	;; [unrolled: 1-line block ×3, first 2 shown]
	ds_read2_b64 v[136:139], v109 offset0:8 offset1:12
	v_mfma_f32_16x16x16_f16 v[132:135], v[146:147], v[10:11], v[148:151]
	s_nop 0
	ds_read2_b64 v[140:143], v13 offset0:232 offset1:236
	ds_read2_b64 v[144:147], v57 offset0:200 offset1:204
	;; [unrolled: 1-line block ×3, first 2 shown]
	s_waitcnt lgkmcnt(3)
	v_mfma_f32_16x16x16_f16 v[14:17], v[136:137], v[4:5], v[14:17]
	s_waitcnt lgkmcnt(2)
	v_mfma_f32_16x16x16_f16 v[124:127], v[140:141], v[4:5], v[124:127]
	;; [unrolled: 2-line block ×4, first 2 shown]
	v_mfma_f32_16x16x16_f16 v[14:17], v[138:139], v[6:7], v[14:17]
	ds_read2_b64 v[136:139], v109 offset0:16 offset1:20
	v_mfma_f32_16x16x16_f16 v[124:127], v[142:143], v[6:7], v[124:127]
	ds_read2_b64 v[140:143], v13 offset0:240 offset1:244
	;; [unrolled: 2-line block ×4, first 2 shown]
	s_waitcnt lgkmcnt(3)
	v_mfma_f32_16x16x16_f16 v[14:17], v[136:137], v[0:1], v[14:17]
	s_waitcnt lgkmcnt(2)
	v_mfma_f32_16x16x16_f16 v[124:127], v[140:141], v[0:1], v[124:127]
	;; [unrolled: 2-line block ×3, first 2 shown]
	ds_read_b64 v[58:59], v109 offset:192
	ds_read_b64 v[62:63], v109 offset:4032
	;; [unrolled: 1-line block ×4, first 2 shown]
	s_waitcnt lgkmcnt(0)
	s_barrier
	v_mfma_f32_16x16x16_f16 v[132:135], v[148:149], v[0:1], v[132:135]
	v_mfma_f32_16x16x16_f16 v[14:17], v[138:139], v[2:3], v[14:17]
	;; [unrolled: 1-line block ×3, first 2 shown]
	ds_read_b32 v13, v111 offset:15360
	ds_read_b32 v57, v112 offset:15360
	ds_read2_b32 v[136:137], v118 offset1:1
	ds_read2_b32 v[142:143], v119 offset1:1
	;; [unrolled: 1-line block ×3, first 2 shown]
	s_waitcnt lgkmcnt(4)
	v_cvt_f32_f16_e32 v61, v13
	v_cvt_f32_f16_sdwa v13, v13 dst_sel:DWORD dst_unused:UNUSED_PAD src0_sel:WORD_1
	v_mfma_f32_16x16x16_f16 v[128:131], v[146:147], v[2:3], v[128:131]
	s_waitcnt lgkmcnt(3)
	v_cvt_f32_f16_e32 v95, v57
	v_cvt_f32_f16_sdwa v57, v57 dst_sel:DWORD dst_unused:UNUSED_PAD src0_sel:WORD_1
	s_waitcnt lgkmcnt(2)
	v_cvt_f32_f16_e32 v146, v136
	v_mfma_f32_16x16x16_f16 v[132:135], v[150:151], v[2:3], v[132:135]
	v_cvt_f32_f16_sdwa v147, v136 dst_sel:DWORD dst_unused:UNUSED_PAD src0_sel:WORD_1
	v_cvt_f32_f16_e32 v150, v137
	s_waitcnt lgkmcnt(1)
	v_cvt_f32_f16_e32 v151, v143
	v_mfma_f32_16x16x16_f16 v[14:17], v[58:59], v[24:25], v[14:17]
	v_cvt_f32_f16_e32 v59, v142
	v_cvt_f32_f16_sdwa v58, v137 dst_sel:DWORD dst_unused:UNUSED_PAD src0_sel:WORD_1
	v_cvt_f32_f16_sdwa v142, v142 dst_sel:DWORD dst_unused:UNUSED_PAD src0_sel:WORD_1
	v_mfma_f32_16x16x16_f16 v[128:131], v[140:141], v[24:25], v[128:131]
	v_cvt_f32_f16_sdwa v143, v143 dst_sel:DWORD dst_unused:UNUSED_PAD src0_sel:WORD_1
	s_waitcnt lgkmcnt(0)
	v_cvt_f32_f16_e32 v152, v148
	v_cvt_f32_f16_sdwa v140, v148 dst_sel:DWORD dst_unused:UNUSED_PAD src0_sel:WORD_1
	v_mfma_f32_16x16x16_f16 v[136:139], v[62:63], v[24:25], v[124:127]
	v_cvt_f32_f16_e32 v141, v149
	v_add_f32_e32 v123, v15, v13
	v_cvt_f32_f16_sdwa v148, v149 dst_sel:DWORD dst_unused:UNUSED_PAD src0_sel:WORD_1
	v_mfma_f32_16x16x16_f16 v[132:135], v[144:145], v[24:25], v[132:135]
	v_add_f32_e32 v127, v14, v61
	v_add_f32_e32 v124, v16, v95
	;; [unrolled: 1-line block ×13, first 2 shown]
	v_max3_f32 v95, v12, v95, v128
	v_add_f32_e32 v62, v138, v150
	v_add_f32_e32 v17, v131, v143
	;; [unrolled: 1-line block ×5, first 2 shown]
	v_max3_f32 v95, v95, v129, v130
	v_add_f32_e32 v15, v133, v140
	v_add_f32_e32 v14, v134, v141
	;; [unrolled: 1-line block ×4, first 2 shown]
	v_max3_f32 v95, v95, v131, v132
	v_add_f32_e32 v13, v135, v148
	v_add_f32_e32 v135, 0x40051340, v59
	;; [unrolled: 1-line block ×3, first 2 shown]
	v_max3_f32 v95, v95, v133, v134
	v_add_f32_e32 v137, 0x40051340, v57
	v_add_f32_e32 v138, 0x40051340, v17
	v_max3_f32 v95, v95, v135, v136
	v_add_f32_e32 v139, 0x40051340, v16
	v_add_f32_e32 v140, 0x40051340, v15
	;; [unrolled: 3-line block ×3, first 2 shown]
	v_max3_f32 v95, v95, v139, v140
	v_max3_f32 v95, v95, v141, v142
	ds_bpermute_b32 v128, v113, v95
	s_waitcnt lgkmcnt(0)
	v_max_f32_e32 v128, v128, v128
	v_max_f32_e32 v95, v95, v128
	ds_bpermute_b32 v128, v114, v95
	s_and_saveexec_b64 s[14:15], s[0:1]
	s_cbranch_execz .LBB19_362
; %bb.361:                              ;   in Loop: Header=BB19_358 Depth=1
	v_lshl_add_u64 v[130:131], v[48:49], 2, s[12:13]
	v_lshlrev_b32_e32 v132, 2, v44
	v_mov_b32_e32 v133, v41
	v_lshl_add_u64 v[130:131], v[130:131], 0, v[132:133]
	global_load_dwordx4 v[130:133], v[130:131], off offset:192
	s_waitcnt vmcnt(0)
	ds_write_b128 v110, v[130:133]
.LBB19_362:                             ;   in Loop: Header=BB19_358 Depth=1
	s_or_b64 exec, exec, s[14:15]
	s_waitcnt lgkmcnt(0)
	v_max_f32_e32 v128, v128, v128
	v_max_f32_e32 v95, v95, v95
	;; [unrolled: 1-line block ×3, first 2 shown]
	v_sub_f32_e32 v127, v127, v95
	v_mul_f32_e32 v128, 0x3fb8aa3b, v127
	v_fma_f32 v129, v127, s10, -v128
	v_rndne_f32_e32 v130, v128
	v_fmac_f32_e32 v129, 0x32a5705f, v127
	v_sub_f32_e32 v128, v128, v130
	v_add_f32_e32 v128, v128, v129
	v_exp_f32_e32 v128, v128
	v_cvt_i32_f32_e32 v129, v130
	v_cmp_ngt_f32_e32 vcc, s11, v127
	v_sub_f32_e32 v63, v63, v95
	v_sub_f32_e32 v62, v62, v95
	v_ldexp_f32 v128, v128, v129
	v_sub_f32_e32 v129, v123, v95
	v_mul_f32_e32 v123, 0x3fb8aa3b, v129
	v_fma_f32 v130, v129, s10, -v123
	v_rndne_f32_e32 v131, v123
	v_fmac_f32_e32 v130, 0x32a5705f, v129
	v_sub_f32_e32 v123, v123, v131
	v_add_f32_e32 v123, v123, v130
	v_exp_f32_e32 v130, v123
	v_cvt_i32_f32_e32 v131, v131
	v_cndmask_b32_e32 v123, 0, v128, vcc
	v_sub_f32_e32 v128, v124, v95
	v_mul_f32_e32 v124, 0x3fb8aa3b, v128
	v_cmp_nlt_f32_e32 vcc, s16, v127
	v_ldexp_f32 v127, v130, v131
	v_fma_f32 v130, v128, s10, -v124
	v_rndne_f32_e32 v131, v124
	v_fmac_f32_e32 v130, 0x32a5705f, v128
	v_sub_f32_e32 v124, v124, v131
	v_add_f32_e32 v124, v124, v130
	v_exp_f32_e32 v130, v124
	v_cvt_i32_f32_e32 v131, v131
	v_cndmask_b32_e32 v123, v121, v123, vcc
	v_cmp_ngt_f32_e32 vcc, s11, v129
	v_sub_f32_e32 v61, v61, v95
	v_sub_f32_e32 v59, v59, v95
	v_cndmask_b32_e32 v124, 0, v127, vcc
	v_cmp_nlt_f32_e32 vcc, s16, v129
	v_sub_f32_e32 v129, v125, v95
	v_mul_f32_e32 v125, 0x3fb8aa3b, v129
	v_ldexp_f32 v127, v130, v131
	v_fma_f32 v130, v129, s10, -v125
	v_rndne_f32_e32 v131, v125
	v_fmac_f32_e32 v130, 0x32a5705f, v129
	v_sub_f32_e32 v125, v125, v131
	v_add_f32_e32 v125, v125, v130
	v_exp_f32_e32 v130, v125
	v_cvt_i32_f32_e32 v131, v131
	v_cndmask_b32_e32 v124, v121, v124, vcc
	v_cmp_ngt_f32_e32 vcc, s11, v128
	v_sub_f32_e32 v58, v58, v95
	v_sub_f32_e32 v57, v57, v95
	v_cndmask_b32_e32 v125, 0, v127, vcc
	v_cmp_nlt_f32_e32 vcc, s16, v128
	v_sub_f32_e32 v128, v126, v95
	v_mul_f32_e32 v126, 0x3fb8aa3b, v128
	v_ldexp_f32 v127, v130, v131
	v_fma_f32 v130, v128, s10, -v126
	v_rndne_f32_e32 v131, v126
	v_fmac_f32_e32 v130, 0x32a5705f, v128
	v_sub_f32_e32 v126, v126, v131
	v_add_f32_e32 v126, v126, v130
	v_exp_f32_e32 v130, v126
	v_cvt_i32_f32_e32 v131, v131
	v_cndmask_b32_e32 v125, v121, v125, vcc
	v_cmp_ngt_f32_e32 vcc, s11, v129
	v_sub_f32_e32 v17, v17, v95
	v_sub_f32_e32 v16, v16, v95
	v_cndmask_b32_e32 v126, 0, v127, vcc
	v_cmp_nlt_f32_e32 vcc, s16, v129
	v_mul_f32_e32 v129, 0x3fb8aa3b, v63
	v_ldexp_f32 v127, v130, v131
	v_fma_f32 v130, v63, s10, -v129
	v_rndne_f32_e32 v131, v129
	v_fmac_f32_e32 v130, 0x32a5705f, v63
	v_sub_f32_e32 v129, v129, v131
	v_add_f32_e32 v129, v129, v130
	v_exp_f32_e32 v129, v129
	v_cvt_i32_f32_e32 v130, v131
	v_cndmask_b32_e32 v126, v121, v126, vcc
	v_cmp_ngt_f32_e32 vcc, s11, v128
	v_sub_f32_e32 v15, v15, v95
	v_sub_f32_e32 v14, v14, v95
	v_cndmask_b32_e32 v127, 0, v127, vcc
	v_cmp_nlt_f32_e32 vcc, s16, v128
	v_ldexp_f32 v128, v129, v130
	v_mul_f32_e32 v129, 0x3fb8aa3b, v62
	v_fma_f32 v130, v62, s10, -v129
	v_rndne_f32_e32 v131, v129
	v_fmac_f32_e32 v130, 0x32a5705f, v62
	v_sub_f32_e32 v129, v129, v131
	v_add_f32_e32 v129, v129, v130
	v_exp_f32_e32 v129, v129
	v_cvt_i32_f32_e32 v130, v131
	v_cndmask_b32_e32 v127, v121, v127, vcc
	v_cmp_ngt_f32_e32 vcc, s11, v63
	v_sub_f32_e32 v12, v12, v95
	s_add_i32 s72, s72, 1
	v_cndmask_b32_e32 v128, 0, v128, vcc
	v_cmp_nlt_f32_e32 vcc, s16, v63
	v_ldexp_f32 v63, v129, v130
	v_mul_f32_e32 v129, 0x3fb8aa3b, v61
	v_fma_f32 v130, v61, s10, -v129
	v_rndne_f32_e32 v131, v129
	v_fmac_f32_e32 v130, 0x32a5705f, v61
	v_sub_f32_e32 v129, v129, v131
	v_add_f32_e32 v129, v129, v130
	v_exp_f32_e32 v130, v129
	v_cvt_i32_f32_e32 v131, v131
	v_cndmask_b32_e32 v128, v121, v128, vcc
	v_cmp_ngt_f32_e32 vcc, s11, v62
	s_add_i32 s8, s8, 64
	s_nop 0
	v_cndmask_b32_e32 v63, 0, v63, vcc
	v_cmp_nlt_f32_e32 vcc, s16, v62
	v_ldexp_f32 v62, v130, v131
	s_nop 0
	v_cndmask_b32_e32 v129, v121, v63, vcc
	v_mul_f32_e32 v63, 0x3fb8aa3b, v59
	v_fma_f32 v130, v59, s10, -v63
	v_rndne_f32_e32 v131, v63
	v_fmac_f32_e32 v130, 0x32a5705f, v59
	v_sub_f32_e32 v63, v63, v131
	v_add_f32_e32 v63, v63, v130
	v_exp_f32_e32 v63, v63
	v_cvt_i32_f32_e32 v131, v131
	v_cmp_ngt_f32_e32 vcc, s11, v61
	s_nop 1
	v_cndmask_b32_e32 v62, 0, v62, vcc
	v_cmp_nlt_f32_e32 vcc, s16, v61
	v_ldexp_f32 v61, v63, v131
	s_nop 0
	v_cndmask_b32_e32 v130, v121, v62, vcc
	v_mul_f32_e32 v62, 0x3fb8aa3b, v58
	v_fma_f32 v63, v58, s10, -v62
	v_rndne_f32_e32 v131, v62
	v_fmac_f32_e32 v63, 0x32a5705f, v58
	v_sub_f32_e32 v62, v62, v131
	v_add_f32_e32 v62, v62, v63
	v_exp_f32_e32 v62, v62
	v_cvt_i32_f32_e32 v63, v131
	v_cmp_ngt_f32_e32 vcc, s11, v59
	;; [unrolled: 15-line block ×3, first 2 shown]
	s_nop 1
	v_cndmask_b32_e32 v59, 0, v59, vcc
	v_cmp_nlt_f32_e32 vcc, s16, v58
	v_ldexp_f32 v58, v61, v62
	v_lshl_add_u64 v[62:63], v[22:23], 2, s[12:13]
	v_cndmask_b32_e32 v132, v121, v59, vcc
	v_cmp_ngt_f32_e32 vcc, s11, v57
	v_lshl_add_u64 v[62:63], v[62:63], 0, v[54:55]
	s_nop 0
	v_cndmask_b32_e32 v58, 0, v58, vcc
	v_cmp_nlt_f32_e32 vcc, s16, v57
	v_mul_f32_e32 v57, 0x3fb8aa3b, v17
	v_rndne_f32_e32 v59, v57
	v_cndmask_b32_e32 v133, v121, v58, vcc
	v_fma_f32 v58, v17, s10, -v57
	v_fmac_f32_e32 v58, 0x32a5705f, v17
	v_sub_f32_e32 v57, v57, v59
	v_add_f32_e32 v57, v57, v58
	v_cvt_i32_f32_e32 v61, v59
	v_lshl_add_u64 v[58:59], v[52:53], 2, s[12:13]
	v_lshl_add_u64 v[58:59], v[58:59], 0, v[40:41]
	global_load_dwordx4 v[140:143], v[58:59], off offset:128
	global_load_dwordx4 v[144:147], v[62:63], off
	v_lshl_add_u64 v[58:59], v[50:51], 2, s[12:13]
	v_lshl_add_u64 v[58:59], v[58:59], 0, v[54:55]
	global_load_dwordx4 v[148:151], v[58:59], off
	v_exp_f32_e32 v57, v57
	v_cmp_ngt_f32_e32 vcc, s11, v17
	s_waitcnt vmcnt(2)
	ds_write_b128 v106, v[140:143]
	s_waitcnt vmcnt(1)
	ds_write_b128 v107, v[144:147]
	s_waitcnt vmcnt(0)
	ds_write_b128 v108, v[148:151]
	v_ldexp_f32 v55, v57, v61
	v_mul_f32_e32 v57, 0x3fb8aa3b, v16
	v_fma_f32 v58, v16, s10, -v57
	v_rndne_f32_e32 v59, v57
	v_fmac_f32_e32 v58, 0x32a5705f, v16
	v_sub_f32_e32 v57, v57, v59
	v_add_f32_e32 v57, v57, v58
	v_exp_f32_e32 v57, v57
	v_cvt_i32_f32_e32 v58, v59
	v_cndmask_b32_e32 v55, 0, v55, vcc
	v_cmp_nlt_f32_e32 vcc, s16, v17
	s_waitcnt lgkmcnt(0)
	v_ldexp_f32 v17, v57, v58
	v_mul_f32_e32 v57, 0x3fb8aa3b, v15
	v_fma_f32 v58, v15, s10, -v57
	v_rndne_f32_e32 v59, v57
	v_fmac_f32_e32 v58, 0x32a5705f, v15
	v_sub_f32_e32 v57, v57, v59
	v_add_f32_e32 v57, v57, v58
	v_exp_f32_e32 v57, v57
	v_cvt_i32_f32_e32 v58, v59
	v_cndmask_b32_e32 v55, v121, v55, vcc
	v_cmp_ngt_f32_e32 vcc, s11, v16
	s_barrier
	s_nop 0
	v_cndmask_b32_e32 v17, 0, v17, vcc
	v_cmp_nlt_f32_e32 vcc, s16, v16
	v_ldexp_f32 v16, v57, v58
	s_nop 0
	v_cndmask_b32_e32 v134, v121, v17, vcc
	v_mul_f32_e32 v17, 0x3fb8aa3b, v14
	v_fma_f32 v57, v14, s10, -v17
	v_rndne_f32_e32 v58, v17
	v_fmac_f32_e32 v57, 0x32a5705f, v14
	v_sub_f32_e32 v17, v17, v58
	v_add_f32_e32 v17, v17, v57
	v_exp_f32_e32 v17, v17
	v_cvt_i32_f32_e32 v57, v58
	v_mul_f32_e32 v58, 0x3fb8aa3b, v12
	v_fma_f32 v59, v12, s10, -v58
	v_rndne_f32_e32 v61, v58
	v_fmac_f32_e32 v59, 0x32a5705f, v12
	v_sub_f32_e32 v58, v58, v61
	v_cmp_ngt_f32_e32 vcc, s11, v15
	v_add_f32_e32 v58, v58, v59
	v_exp_f32_e32 v58, v58
	v_cndmask_b32_e32 v16, 0, v16, vcc
	v_cmp_nlt_f32_e32 vcc, s16, v15
	v_ldexp_f32 v15, v17, v57
	v_sub_f32_e32 v17, v13, v95
	v_cvt_i32_f32_e32 v59, v61
	v_mul_f32_e32 v13, 0x3fb8aa3b, v17
	v_cndmask_b32_e32 v135, v121, v16, vcc
	v_fma_f32 v16, v17, s10, -v13
	v_rndne_f32_e32 v57, v13
	v_cmp_ngt_f32_e32 vcc, s11, v14
	v_fmac_f32_e32 v16, 0x32a5705f, v17
	v_sub_f32_e32 v13, v13, v57
	v_cndmask_b32_e32 v15, 0, v15, vcc
	v_add_f32_e32 v13, v13, v16
	v_cvt_i32_f32_e32 v16, v57
	v_ldexp_f32 v57, v58, v59
	v_cmp_ngt_f32_e32 vcc, s11, v12
	v_exp_f32_e32 v13, v13
	s_nop 0
	v_cndmask_b32_e32 v57, 0, v57, vcc
	v_cmp_nlt_f32_e32 vcc, s16, v12
	s_nop 1
	v_cndmask_b32_e32 v57, v121, v57, vcc
	v_cmp_le_f32_e32 vcc, s17, v12
	s_nop 1
	v_cndmask_b32_e32 v136, 0, v57, vcc
	v_cvt_f16_f32_e32 v12, v136
	v_cmp_nlt_f32_e32 vcc, s16, v14
	v_ldexp_f32 v57, v13, v16
	v_mul_u32_u24_e32 v138, 0x10001, v12
	v_cndmask_b32_e32 v137, v121, v15, vcc
	v_pk_mul_f16 v13, v56, v138
	v_pk_mul_f16 v15, v19, v138
	ds_read_u16 v56, v116
	ds_read_u16 v16, v116 offset:32
	ds_read_u16 v19, v116 offset:3840
	;; [unrolled: 1-line block ×7, first 2 shown]
	ds_read_u16 v58, v117
	ds_read_u16 v141, v117 offset:32
	ds_read_u16 v146, v117 offset:64
	;; [unrolled: 1-line block ×4, first 2 shown]
	s_waitcnt lgkmcnt(4)
	v_perm_b32 v59, v58, v56, s18
	ds_read_u16 v56, v115 offset:240
	ds_read_u16 v58, v115
	ds_read_u16 v148, v115 offset:32
	ds_read_u16 v153, v115 offset:64
	;; [unrolled: 1-line block ×6, first 2 shown]
	s_waitcnt lgkmcnt(6)
	v_perm_b32 v58, v56, v58, s18
	v_cvt_f32_f16_e32 v12, v13
	v_cvt_f32_f16_sdwa v13, v13 dst_sel:DWORD dst_unused:UNUSED_PAD src0_sel:WORD_1
	v_cvt_f32_f16_e32 v14, v15
	v_cvt_f32_f16_sdwa v15, v15 dst_sel:DWORD dst_unused:UNUSED_PAD src0_sel:WORD_1
	v_cmp_ngt_f32_e32 vcc, s11, v17
	v_cvt_pk_f16_f32 v56, v123, v124
	v_pk_mul_f16 v18, v18, v138
	v_cndmask_b32_e32 v61, 0, v57, vcc
	v_cvt_pk_f16_f32 v57, v125, v126
	v_cmp_nlt_f32_e32 vcc, s16, v17
	v_cvt_f32_f16_e32 v144, v18
	v_mfma_f32_16x16x16_f16 v[12:15], v[58:59], v[56:57], v[12:15]
	ds_read_u16 v58, v115 offset:4080
	ds_read_u16 v59, v117 offset:3840
	;; [unrolled: 1-line block ×7, first 2 shown]
	s_waitcnt lgkmcnt(5)
	v_perm_b32 v63, v59, v19, s18
	v_cvt_f16_f32_e32 v12, v12
	v_cvt_f16_f32_e32 v13, v13
	v_cvt_f16_f32_e32 v14, v14
	v_cvt_f16_f32_e32 v15, v15
	ds_read_u16 v19, v115 offset:3840
	ds_read_u16 v163, v115 offset:272
	;; [unrolled: 1-line block ×11, first 2 shown]
	s_waitcnt lgkmcnt(10)
	v_perm_b32 v62, v58, v19, s18
	v_cvt_f32_f16_e32 v12, v12
	v_cvt_f32_f16_e32 v13, v13
	;; [unrolled: 1-line block ×4, first 2 shown]
	v_cvt_pk_f16_f32 v59, v129, v130
	v_cvt_pk_f16_f32 v58, v127, v128
	ds_read_u16 v17, v116 offset:7680
	ds_read_u16 v174, v116 offset:7712
	;; [unrolled: 1-line block ×10, first 2 shown]
	v_mfma_f32_16x16x16_f16 v[12:15], v[62:63], v[58:59], v[12:15]
	s_waitcnt lgkmcnt(6)
	v_perm_b32 v63, v19, v17, s18
	ds_read_u16 v17, v115 offset:7680
	ds_read_u16 v182, v115 offset:7712
	;; [unrolled: 1-line block ×11, first 2 shown]
	s_waitcnt lgkmcnt(5)
	v_perm_b32 v62, v19, v17, s18
	v_cvt_f16_f32_e32 v12, v12
	v_cvt_f16_f32_e32 v13, v13
	;; [unrolled: 1-line block ×4, first 2 shown]
	v_cvt_f32_f16_e32 v12, v12
	v_cvt_f32_f16_e32 v13, v13
	;; [unrolled: 1-line block ×4, first 2 shown]
	v_cndmask_b32_e32 v173, v121, v61, vcc
	v_pk_mul_f16 v17, v60, v138
	v_cvt_pk_f16_f32 v61, v133, v55
	v_cvt_pk_f16_f32 v60, v131, v132
	v_cvt_f32_f16_sdwa v145, v18 dst_sel:DWORD dst_unused:UNUSED_PAD src0_sel:WORD_1
	v_pk_mul_f16 v89, v89, v138
	v_mfma_f32_16x16x16_f16 v[12:15], v[62:63], v[60:61], v[12:15]
	ds_read_u16 v19, v116 offset:11520
	ds_read_u16 v191, v116 offset:11552
	;; [unrolled: 1-line block ×12, first 2 shown]
	s_waitcnt lgkmcnt(7)
	v_perm_b32 v143, v62, v19, s18
	ds_read_u16 v19, v115 offset:11520
	ds_read_u16 v201, v115 offset:11552
	;; [unrolled: 1-line block ×15, first 2 shown]
	v_cvt_f16_f32_e32 v12, v12
	v_cvt_f16_f32_e32 v13, v13
	;; [unrolled: 1-line block ×4, first 2 shown]
	s_waitcnt lgkmcnt(7)
	v_perm_b32 v142, v62, v19, s18
	v_cvt_f32_f16_e32 v12, v12
	v_cvt_f32_f16_e32 v13, v13
	;; [unrolled: 1-line block ×4, first 2 shown]
	v_cvt_pk_f16_f32 v63, v137, v173
	v_cvt_pk_f16_f32 v62, v134, v135
	v_pk_mul_f16 v88, v88, v138
	v_pk_mul_f16 v87, v87, v138
	v_mfma_f32_16x16x16_f16 v[12:15], v[142:143], v[62:63], v[12:15]
	v_cvt_f32_f16_e32 v142, v17
	v_cvt_f32_f16_sdwa v143, v17 dst_sel:DWORD dst_unused:UNUSED_PAD src0_sel:WORD_1
	v_perm_b32 v17, v141, v16, s18
	v_perm_b32 v16, v163, v148, s18
	ds_read_u16 v141, v116 offset:3872
	ds_read_u16 v148, v116 offset:3904
	;; [unrolled: 1-line block ×5, first 2 shown]
	v_mfma_f32_16x16x16_f16 v[16:19], v[16:17], v[56:57], v[142:145]
	s_waitcnt lgkmcnt(4)
	s_nop 1
	v_perm_b32 v143, v158, v141, s18
	v_perm_b32 v142, v170, v164, s18
	v_cvt_f32_f16_e32 v144, v88
	s_nop 1
	v_cvt_f16_f32_e32 v16, v16
	v_cvt_f16_f32_e32 v17, v17
	;; [unrolled: 1-line block ×4, first 2 shown]
	v_cvt_f32_f16_e32 v16, v16
	v_cvt_f32_f16_e32 v17, v17
	;; [unrolled: 1-line block ×4, first 2 shown]
	v_cvt_f32_f16_sdwa v145, v88 dst_sel:DWORD dst_unused:UNUSED_PAD src0_sel:WORD_1
	v_perm_b32 v88, v165, v153, s18
	v_mfma_f32_16x16x16_f16 v[16:19], v[142:143], v[58:59], v[16:19]
	v_perm_b32 v143, v176, v174, s18
	v_perm_b32 v142, v186, v182, s18
	v_pk_mul_f16 v85, v85, v138
	v_pk_mul_f16 v170, v84, v138
	s_nop 3
	v_cvt_f16_f32_e32 v16, v16
	v_cvt_f16_f32_e32 v17, v17
	;; [unrolled: 1-line block ×4, first 2 shown]
	v_cvt_f32_f16_e32 v16, v16
	v_cvt_f32_f16_e32 v17, v17
	;; [unrolled: 1-line block ×4, first 2 shown]
	v_perm_b32 v84, v167, v155, s18
	v_pk_mul_f16 v83, v83, v138
	v_mfma_f32_16x16x16_f16 v[16:19], v[142:143], v[60:61], v[16:19]
	v_perm_b32 v143, v194, v191, s18
	v_perm_b32 v142, v207, v201, s18
	v_add_f32_e32 v123, v123, v124
	v_add_f32_e32 v123, v125, v123
	s_nop 3
	v_cvt_f16_f32_e32 v16, v16
	v_cvt_f16_f32_e32 v17, v17
	;; [unrolled: 1-line block ×4, first 2 shown]
	v_cvt_f32_f16_e32 v16, v16
	v_cvt_f32_f16_e32 v17, v17
	;; [unrolled: 1-line block ×4, first 2 shown]
	v_perm_b32 v124, v211, v205, s18
	v_add_f32_e32 v123, v126, v123
	v_mfma_f32_16x16x16_f16 v[16:19], v[142:143], v[62:63], v[16:19]
	v_cvt_f32_f16_e32 v142, v89
	v_cvt_f32_f16_sdwa v143, v89 dst_sel:DWORD dst_unused:UNUSED_PAD src0_sel:WORD_1
	v_perm_b32 v89, v146, v139, s18
	ds_read_u16 v139, v115 offset:3904
	ds_read_u16 v146, v115 offset:3936
	;; [unrolled: 1-line block ×4, first 2 shown]
	v_mfma_f32_16x16x16_f16 v[142:145], v[88:89], v[56:57], v[142:145]
	v_pk_mul_f16 v81, v81, v138
	v_add_f32_e32 v123, v127, v123
	v_pk_mul_f16 v127, v80, v138
	s_nop 4
	v_cvt_f16_f32_e32 v88, v142
	v_cvt_f16_f32_e32 v89, v143
	;; [unrolled: 1-line block ×4, first 2 shown]
	v_cvt_f32_f16_e32 v142, v88
	v_cvt_f32_f16_e32 v143, v89
	s_waitcnt lgkmcnt(7)
	v_perm_b32 v89, v159, v148, s18
	s_waitcnt lgkmcnt(3)
	v_perm_b32 v88, v171, v139, s18
	v_cvt_f32_f16_e32 v144, v141
	v_cvt_f32_f16_e32 v145, v145
	ds_read_u16 v139, v116 offset:7744
	ds_read_u16 v148, v116 offset:7776
	;; [unrolled: 1-line block ×4, first 2 shown]
	v_mfma_f32_16x16x16_f16 v[142:145], v[88:89], v[58:59], v[142:145]
	v_perm_b32 v80, v169, v157, s18
	v_cvt_f32_f16_e32 v126, v127
	v_cvt_f32_f16_sdwa v127, v127 dst_sel:DWORD dst_unused:UNUSED_PAD src0_sel:WORD_1
	s_nop 4
	v_cvt_f16_f32_e32 v88, v142
	v_cvt_f16_f32_e32 v89, v143
	v_cvt_f16_f32_e32 v141, v144
	v_cvt_f16_f32_e32 v145, v145
	v_cvt_f32_f16_e32 v142, v88
	v_cvt_f32_f16_e32 v143, v89
	s_waitcnt lgkmcnt(3)
	v_perm_b32 v89, v177, v139, s18
	v_perm_b32 v88, v187, v183, s18
	v_cvt_f32_f16_e32 v144, v141
	v_cvt_f32_f16_e32 v145, v145
	v_add_f32_e32 v123, v128, v123
	v_add_f32_e32 v123, v129, v123
	v_mfma_f32_16x16x16_f16 v[142:145], v[88:89], v[60:61], v[142:145]
	v_add_f32_e32 v123, v130, v123
	v_cmp_lt_i32_e32 vcc, s72, v104
	v_cvt_pk_f16_f32 v18, v18, v19
	v_cvt_pk_f16_f32 v19, v14, v15
	s_nop 3
	v_cvt_f16_f32_e32 v88, v142
	v_cvt_f16_f32_e32 v89, v143
	;; [unrolled: 1-line block ×4, first 2 shown]
	v_cvt_f32_f16_e32 v142, v88
	v_cvt_f32_f16_e32 v143, v89
	v_perm_b32 v89, v195, v192, s18
	v_perm_b32 v88, v208, v202, s18
	v_cvt_f32_f16_e32 v144, v139
	v_cvt_f32_f16_e32 v145, v141
	v_pk_mul_f16 v139, v86, v138
	v_perm_b32 v141, v147, v140, s18
	v_perm_b32 v140, v166, v154, s18
	v_mfma_f32_16x16x16_f16 v[142:145], v[88:89], v[62:63], v[142:145]
	v_cvt_f32_f16_e32 v86, v87
	v_cvt_f32_f16_sdwa v87, v87 dst_sel:DWORD dst_unused:UNUSED_PAD src0_sel:WORD_1
	v_cvt_f32_f16_e32 v88, v139
	v_cvt_f32_f16_sdwa v89, v139 dst_sel:DWORD dst_unused:UNUSED_PAD src0_sel:WORD_1
	ds_read_u16 v139, v115 offset:4176
	ds_read_u16 v154, v115 offset:4208
	;; [unrolled: 1-line block ×3, first 2 shown]
	v_mfma_f32_16x16x16_f16 v[86:89], v[140:141], v[56:57], v[86:89]
	v_perm_b32 v141, v160, v163, s18
	s_waitcnt lgkmcnt(2)
	v_perm_b32 v140, v139, v146, s18
	ds_read_u16 v139, v116 offset:11616
	ds_read_u16 v160, v116 offset:11648
	;; [unrolled: 1-line block ×3, first 2 shown]
	s_nop 1
	v_cvt_f16_f32_e32 v86, v86
	v_cvt_f16_f32_e32 v87, v87
	;; [unrolled: 1-line block ×4, first 2 shown]
	v_cvt_f32_f16_e32 v86, v86
	v_cvt_f32_f16_e32 v87, v87
	;; [unrolled: 1-line block ×5, first 2 shown]
	v_cvt_f32_f16_sdwa v147, v85 dst_sel:DWORD dst_unused:UNUSED_PAD src0_sel:WORD_1
	v_mfma_f32_16x16x16_f16 v[86:89], v[140:141], v[58:59], v[86:89]
	v_perm_b32 v141, v178, v148, s18
	v_perm_b32 v140, v188, v184, s18
	v_cvt_f32_f16_e32 v148, v170
	s_waitcnt lgkmcnt(0)
	v_perm_b32 v125, v198, v163, s18
	s_nop 2
	v_cvt_f16_f32_e32 v86, v86
	v_cvt_f16_f32_e32 v87, v87
	;; [unrolled: 1-line block ×4, first 2 shown]
	v_cvt_f32_f16_e32 v86, v86
	v_cvt_f32_f16_e32 v87, v87
	;; [unrolled: 1-line block ×4, first 2 shown]
	s_and_b64 vcc, exec, vcc
	s_nop 0
	v_mfma_f32_16x16x16_f16 v[86:89], v[140:141], v[60:61], v[86:89]
	v_perm_b32 v141, v196, v139, s18
	ds_read_u16 v139, v117 offset:128
	ds_read_u16 v166, v117 offset:160
	v_perm_b32 v140, v209, v203, s18
	s_nop 3
	v_cvt_f16_f32_e32 v86, v86
	v_cvt_f16_f32_e32 v87, v87
	s_waitcnt lgkmcnt(1)
	v_perm_b32 v85, v139, v149, s18
	v_cvt_f32_f16_sdwa v149, v170 dst_sel:DWORD dst_unused:UNUSED_PAD src0_sel:WORD_1
	v_cvt_f16_f32_e32 v88, v88
	v_cvt_f16_f32_e32 v89, v89
	v_mfma_f32_16x16x16_f16 v[146:149], v[84:85], v[56:57], v[146:149]
	v_cvt_f32_f16_e32 v86, v86
	v_cvt_f32_f16_e32 v87, v87
	;; [unrolled: 1-line block ×4, first 2 shown]
	s_nop 3
	v_cvt_f16_f32_e32 v84, v146
	v_cvt_f16_f32_e32 v85, v147
	v_mfma_f32_16x16x16_f16 v[86:89], v[140:141], v[62:63], v[86:89]
	v_cvt_f16_f32_e32 v139, v148
	v_cvt_f16_f32_e32 v140, v149
	v_cvt_f32_f16_e32 v146, v84
	v_cvt_f32_f16_e32 v147, v85
	v_perm_b32 v85, v161, v214, s18
	v_perm_b32 v84, v154, v153, s18
	v_cvt_f32_f16_e32 v148, v139
	v_cvt_f32_f16_e32 v149, v140
	ds_read_u16 v139, v115 offset:7808
	ds_read_u16 v153, v115 offset:7840
	v_mfma_f32_16x16x16_f16 v[146:149], v[84:85], v[58:59], v[146:149]
	v_cvt_pk_f16_f32 v87, v86, v87
	v_cvt_pk_f16_f32 v86, v88, v89
	;; [unrolled: 1-line block ×3, first 2 shown]
	s_nop 4
	v_cvt_f16_f32_e32 v84, v146
	v_cvt_f16_f32_e32 v85, v147
	;; [unrolled: 1-line block ×4, first 2 shown]
	v_cvt_f32_f16_e32 v146, v84
	v_cvt_f32_f16_e32 v147, v85
	v_perm_b32 v85, v179, v159, s18
	s_waitcnt lgkmcnt(1)
	v_perm_b32 v84, v189, v139, s18
	v_cvt_f32_f16_e32 v148, v140
	v_cvt_f32_f16_e32 v149, v141
	v_perm_b32 v141, v166, v150, s18
	v_cvt_pk_f16_f32 v88, v144, v145
	v_mfma_f32_16x16x16_f16 v[146:149], v[84:85], v[60:61], v[146:149]
	s_nop 7
	v_cvt_f16_f32_e32 v84, v146
	v_cvt_f16_f32_e32 v85, v147
	;; [unrolled: 1-line block ×4, first 2 shown]
	v_cvt_f32_f16_e32 v146, v84
	v_cvt_f32_f16_e32 v147, v85
	v_perm_b32 v85, v197, v160, s18
	v_perm_b32 v84, v210, v204, s18
	v_cvt_f32_f16_e32 v148, v139
	v_cvt_f32_f16_e32 v149, v140
	v_pk_mul_f16 v139, v82, v138
	v_perm_b32 v140, v168, v156, s18
	v_mfma_f32_16x16x16_f16 v[146:149], v[84:85], v[62:63], v[146:149]
	v_cvt_f32_f16_e32 v82, v83
	v_cvt_f32_f16_sdwa v83, v83 dst_sel:DWORD dst_unused:UNUSED_PAD src0_sel:WORD_1
	v_cvt_f32_f16_e32 v84, v139
	v_cvt_f32_f16_sdwa v85, v139 dst_sel:DWORD dst_unused:UNUSED_PAD src0_sel:WORD_1
	ds_read_u16 v139, v117 offset:4000
	s_nop 0
	v_mfma_f32_16x16x16_f16 v[82:85], v[140:141], v[56:57], v[82:85]
	v_perm_b32 v140, v165, v158, s18
	s_waitcnt lgkmcnt(0)
	v_perm_b32 v141, v139, v215, s18
	ds_read_u16 v139, v115 offset:8080
	s_waitcnt lgkmcnt(0)
	s_nop 2
	v_cvt_f16_f32_e32 v82, v82
	v_cvt_f16_f32_e32 v83, v83
	;; [unrolled: 1-line block ×4, first 2 shown]
	v_cvt_f32_f16_e32 v82, v82
	v_cvt_f32_f16_e32 v83, v83
	;; [unrolled: 1-line block ×4, first 2 shown]
	s_barrier
	s_nop 0
	v_mfma_f32_16x16x16_f16 v[82:85], v[140:141], v[58:59], v[82:85]
	v_perm_b32 v141, v180, v164, s18
	v_perm_b32 v140, v139, v153, s18
	s_nop 5
	v_cvt_f16_f32_e32 v82, v82
	v_cvt_f16_f32_e32 v83, v83
	;; [unrolled: 1-line block ×4, first 2 shown]
	v_cvt_f32_f16_e32 v82, v82
	v_cvt_f32_f16_e32 v83, v83
	;; [unrolled: 1-line block ×4, first 2 shown]
	s_nop 1
	v_mfma_f32_16x16x16_f16 v[82:85], v[140:141], v[60:61], v[82:85]
	s_nop 7
	v_cvt_f16_f32_e32 v82, v82
	v_cvt_f16_f32_e32 v83, v83
	;; [unrolled: 1-line block ×4, first 2 shown]
	v_cvt_f32_f16_e32 v82, v82
	v_cvt_f32_f16_e32 v83, v83
	;; [unrolled: 1-line block ×4, first 2 shown]
	s_nop 1
	v_mfma_f32_16x16x16_f16 v[82:85], v[124:125], v[62:63], v[82:85]
	v_cvt_f32_f16_e32 v124, v81
	v_cvt_f32_f16_sdwa v125, v81 dst_sel:DWORD dst_unused:UNUSED_PAD src0_sel:WORD_1
	v_perm_b32 v81, v162, v151, s18
	s_nop 1
	v_mfma_f32_16x16x16_f16 v[124:127], v[80:81], v[56:57], v[124:127]
	s_nop 1
	v_cvt_pk_f16_f32 v83, v82, v83
	v_cvt_pk_f16_f32 v82, v84, v85
	;; [unrolled: 1-line block ×3, first 2 shown]
	s_nop 2
	v_cvt_f16_f32_e32 v56, v124
	v_cvt_f16_f32_e32 v57, v125
	;; [unrolled: 1-line block ×4, first 2 shown]
	v_cvt_f32_f16_e32 v124, v56
	v_cvt_f32_f16_e32 v125, v57
	v_perm_b32 v57, v181, v175, s18
	v_perm_b32 v56, v185, v172, s18
	v_cvt_f32_f16_e32 v126, v80
	v_cvt_f32_f16_e32 v127, v81
	v_add_f32_e32 v80, v131, v123
	v_add_f32_e32 v80, v132, v80
	v_mfma_f32_16x16x16_f16 v[56:59], v[56:57], v[58:59], v[124:127]
	v_add_f32_e32 v123, v133, v80
	v_perm_b32 v81, v200, v193, s18
	v_perm_b32 v80, v206, v190, s18
	v_add_f32_e32 v55, v55, v123
	s_nop 3
	v_cvt_f16_f32_e32 v56, v56
	v_cvt_f16_f32_e32 v57, v57
	;; [unrolled: 1-line block ×4, first 2 shown]
	v_cvt_f32_f16_e32 v56, v56
	v_cvt_f32_f16_e32 v57, v57
	;; [unrolled: 1-line block ×4, first 2 shown]
	v_add_f32_e32 v55, v134, v55
	v_add_f32_e32 v55, v135, v55
	v_mfma_f32_16x16x16_f16 v[56:59], v[80:81], v[60:61], v[56:59]
	v_perm_b32 v61, v199, v152, s18
	v_perm_b32 v60, v212, v213, s18
	v_add_f32_e32 v55, v137, v55
	v_add_f32_e32 v55, v173, v55
	s_nop 3
	v_cvt_f16_f32_e32 v56, v56
	v_cvt_f16_f32_e32 v57, v57
	;; [unrolled: 1-line block ×4, first 2 shown]
	v_cvt_f32_f16_e32 v56, v56
	v_cvt_f32_f16_e32 v57, v57
	;; [unrolled: 1-line block ×4, first 2 shown]
	v_fmac_f32_e32 v55, v122, v136
	v_cvt_pk_f16_f32 v84, v148, v149
	v_mfma_f32_16x16x16_f16 v[122:125], v[60:61], v[62:63], v[56:59]
	v_cvt_pk_f16_f32 v60, v16, v17
	s_nop 1
	v_cvt_pk_f16_f32 v56, v12, v13
	s_nop 3
	v_cvt_pk_f16_f32 v81, v122, v123
	v_cvt_pk_f16_f32 v80, v124, v125
	s_cbranch_vccz .LBB19_365
; %bb.363:                              ;   in Loop: Header=BB19_358 Depth=1
	v_mov_b32_e32 v122, v55
	v_mov_b32_e32 v12, v95
	s_branch .LBB19_358
.LBB19_364:
	v_readlane_b32 s22, v250, 1
	v_mov_b32_e32 v95, 0xfeffffff
	v_mov_b32_e32 v55, 0
	;; [unrolled: 1-line block ×16, first 2 shown]
	v_readlane_b32 s19, v250, 3
	v_readlane_b32 s23, v250, 2
	;; [unrolled: 1-line block ×3, first 2 shown]
	s_branch .LBB19_366
.LBB19_365:
	v_mov_b64_e32 v[12:13], s[34:35]
.LBB19_366:
	s_lshl_b32 s8, s72, 6
	s_ashr_i32 s9, s8, 31
	s_lshl_b64 s[0:1], s[8:9], 1
	s_add_u32 s0, s6, s0
	s_addc_u32 s1, s7, s1
	v_lshl_add_u64 v[14:15], v[36:37], 1, s[0:1]
	v_lshl_add_u64 v[14:15], v[30:31], 1, v[14:15]
	global_load_dword v16, v[14:15], off
	v_lshlrev_b32_e32 v14, 1, v30
	v_add3_u32 v17, 0, v103, v14
	v_mul_hi_u32 v15, v12, s8
	v_mul_lo_u32 v14, v12, s8
	v_mul_lo_u32 v12, v12, s9
	;; [unrolled: 1-line block ×3, first 2 shown]
	v_add_u32_e32 v12, v15, v12
	v_add_u32_e32 v15, v12, v13
	v_cmp_gt_u32_e32 vcc, 64, v94
	v_lshlrev_b64 v[12:13], 2, v[14:15]
	v_cmp_lt_u32_e64 s[0:1], 63, v94
                                        ; implicit-def: $vgpr30
                                        ; implicit-def: $vgpr14
	s_waitcnt vmcnt(0)
	ds_write_b32 v17, v16 offset:15360
	s_and_saveexec_b64 s[6:7], s[0:1]
	s_xor_b64 s[0:1], exec, s[6:7]
; %bb.367:
	v_mul_i32_i24_e32 v30, 0xf0, v94
	v_and_or_b32 v14, v102, 4, 48
	v_mov_b32_e32 v15, 0
                                        ; implicit-def: $vgpr102
; %bb.368:
	s_or_saveexec_b64 s[0:1], s[0:1]
	v_lshl_add_u64 v[16:17], s[4:5], 0, v[12:13]
	s_xor_b64 exec, exec, s[0:1]
	s_cbranch_execz .LBB19_370
; %bb.369:
	v_mul_lo_u32 v12, v94, s34
	v_ashrrev_i32_e32 v13, 31, v12
	v_and_b32_e32 v14, 4, v102
	v_mov_b32_e32 v15, 0
	v_lshl_add_u64 v[12:13], v[12:13], 2, v[16:17]
	v_lshlrev_b32_e32 v36, 2, v14
	v_mov_b32_e32 v37, v15
	v_lshl_add_u64 v[12:13], v[12:13], 0, v[36:37]
	global_load_dwordx4 v[40:43], v[12:13], off offset:192
	v_mul_i32_i24_e32 v30, 0xf0, v94
	v_or_b32_e32 v14, 48, v14
	v_add3_u32 v12, 0, v30, v36
	s_waitcnt vmcnt(0)
	ds_write_b128 v12, v[40:43] offset:192
.LBB19_370:
	s_or_b64 exec, exec, s[0:1]
	v_lshl_add_u64 v[12:13], v[26:27], 2, v[16:17]
	v_lshl_add_u64 v[26:27], v[20:21], 2, v[12:13]
	;; [unrolled: 1-line block ×3, first 2 shown]
	v_lshlrev_b64 v[12:13], 2, v[28:29]
	v_lshl_add_u64 v[16:17], v[34:35], 2, v[16:17]
	v_lshl_add_u64 v[36:37], v[32:33], 0, v[12:13]
	;; [unrolled: 1-line block ×3, first 2 shown]
	global_load_dwordx4 v[32:35], v[26:27], off
	global_load_dwordx4 v[40:43], v[36:37], off
	;; [unrolled: 1-line block ×3, first 2 shown]
	v_lshlrev_b32_e32 v16, 2, v20
	v_add3_u32 v27, 0, v97, v78
	v_lshlrev_b32_e32 v26, 2, v28
	v_add3_u32 v16, 0, v99, v16
	v_add_u32_e32 v28, 0x800, v27
	v_add3_u32 v17, 0, v100, v26
	v_add3_u32 v26, 0, v101, v26
	v_add_u32_e32 v29, 0x1800, v27
	v_add_u32_e32 v31, 0x2800, v27
	v_and_or_b32 v36, v77, 8, v79
	s_movk_i32 s0, 0x90
	v_lshrrev_b32_e32 v36, 3, v36
	s_waitcnt vmcnt(2)
	ds_write_b128 v16, v[32:35]
	s_waitcnt vmcnt(1)
	ds_write_b128 v17, v[40:43]
	;; [unrolled: 2-line block ×3, first 2 shown]
	s_waitcnt lgkmcnt(0)
	s_barrier
	ds_read2_b64 v[32:35], v27 offset1:4
	ds_read2_b64 v[46:49], v28 offset0:224 offset1:228
	ds_read2_b64 v[100:103], v29 offset0:192 offset1:196
	;; [unrolled: 1-line block ×3, first 2 shown]
	s_waitcnt lgkmcnt(3)
	v_mfma_f32_16x16x16_f16 v[40:43], v[32:33], v[8:9], 0
	s_waitcnt lgkmcnt(2)
	v_mfma_f32_16x16x16_f16 v[50:53], v[46:47], v[8:9], 0
	;; [unrolled: 2-line block ×4, first 2 shown]
	v_mfma_f32_16x16x16_f16 v[32:35], v[34:35], v[10:11], v[40:43]
	v_mfma_f32_16x16x16_f16 v[40:43], v[48:49], v[10:11], v[50:53]
	s_nop 2
	ds_read2_b64 v[50:53], v27 offset0:8 offset1:12
	v_mfma_f32_16x16x16_f16 v[46:49], v[102:103], v[10:11], v[104:107]
	ds_read2_b64 v[100:103], v28 offset0:232 offset1:236
	v_mfma_f32_16x16x16_f16 v[8:11], v[110:111], v[10:11], v[112:115]
	s_nop 0
	ds_read2_b64 v[104:107], v29 offset0:200 offset1:204
	ds_read2_b64 v[108:111], v31 offset0:168 offset1:172
	s_waitcnt lgkmcnt(3)
	v_mfma_f32_16x16x16_f16 v[32:35], v[50:51], v[4:5], v[32:35]
	s_waitcnt lgkmcnt(2)
	v_mfma_f32_16x16x16_f16 v[40:43], v[100:101], v[4:5], v[40:43]
	;; [unrolled: 2-line block ×4, first 2 shown]
	v_mfma_f32_16x16x16_f16 v[32:35], v[52:53], v[6:7], v[32:35]
	ds_read2_b64 v[50:53], v27 offset0:16 offset1:20
	v_mfma_f32_16x16x16_f16 v[40:43], v[102:103], v[6:7], v[40:43]
	ds_read2_b64 v[100:103], v28 offset0:240 offset1:244
	v_lshlrev_b32_e32 v28, 1, v96
	v_and_b32_e32 v28, 0x1f8, v28
	v_mfma_f32_16x16x16_f16 v[46:49], v[106:107], v[6:7], v[46:49]
	ds_read2_b64 v[104:107], v31 offset0:176 offset1:180
	v_mfma_f32_16x16x16_f16 v[4:7], v[110:111], v[6:7], v[8:11]
	s_nop 2
	ds_read2_b64 v[8:11], v29 offset0:208 offset1:212
	s_waitcnt lgkmcnt(3)
	v_mfma_f32_16x16x16_f16 v[32:35], v[50:51], v[0:1], v[32:35]
	v_mul_lo_u32 v29, v36, s0
	v_add_u32_e32 v29, 0, v29
	v_add_u32_e32 v31, v29, v28
	s_waitcnt lgkmcnt(2)
	v_mfma_f32_16x16x16_f16 v[40:43], v[100:101], v[0:1], v[40:43]
	v_add_u32_e32 v44, v29, v98
	v_add_u32_e32 v54, 0x3c60, v31
	ds_read_b64 v[28:29], v27 offset:192
	ds_read_b64 v[36:37], v27 offset:4032
	;; [unrolled: 1-line block ×4, first 2 shown]
	s_waitcnt lgkmcnt(4)
	v_mfma_f32_16x16x16_f16 v[46:49], v[8:9], v[0:1], v[46:49]
	v_add_u32_e32 v8, 0x3c20, v31
	v_add_u32_e32 v9, 0x3c40, v31
	s_waitcnt lgkmcnt(0)
	v_mfma_f32_16x16x16_f16 v[4:7], v[104:105], v[0:1], v[4:7]
	s_barrier
	v_mfma_f32_16x16x16_f16 v[32:35], v[52:53], v[2:3], v[32:35]
	ds_read_b32 v0, v31 offset:15360
	ds_read_b32 v1, v44 offset:15360
	ds_read2_b32 v[52:53], v8 offset1:1
	ds_read2_b32 v[62:63], v9 offset1:1
	;; [unrolled: 1-line block ×3, first 2 shown]
	s_waitcnt lgkmcnt(4)
	v_cvt_f32_f16_e32 v27, v0
	v_cvt_f32_f16_sdwa v44, v0 dst_sel:DWORD dst_unused:UNUSED_PAD src0_sel:WORD_1
	v_mfma_f32_16x16x16_f16 v[40:43], v[102:103], v[2:3], v[40:43]
	s_waitcnt lgkmcnt(3)
	v_cvt_f32_f16_e32 v54, v1
	v_cvt_f32_f16_sdwa v57, v1 dst_sel:DWORD dst_unused:UNUSED_PAD src0_sel:WORD_1
	s_waitcnt lgkmcnt(2)
	v_cvt_f32_f16_e32 v61, v52
	v_mfma_f32_16x16x16_f16 v[8:11], v[10:11], v[2:3], v[46:49]
	v_cvt_f32_f16_sdwa v52, v52 dst_sel:DWORD dst_unused:UNUSED_PAD src0_sel:WORD_1
	v_cvt_f32_f16_e32 v98, v53
	v_mfma_f32_16x16x16_f16 v[0:3], v[106:107], v[2:3], v[4:7]
	v_mfma_f32_16x16x16_f16 v[4:7], v[28:29], v[24:25], v[32:35]
	v_cvt_f32_f16_sdwa v28, v53 dst_sel:DWORD dst_unused:UNUSED_PAD src0_sel:WORD_1
	s_waitcnt lgkmcnt(1)
	v_cvt_f32_f16_e32 v29, v62
	v_cvt_f32_f16_sdwa v53, v62 dst_sel:DWORD dst_unused:UNUSED_PAD src0_sel:WORD_1
	v_mfma_f32_16x16x16_f16 v[32:35], v[36:37], v[24:25], v[40:43]
	v_cvt_f32_f16_e32 v36, v63
	s_nop 1
	v_add_f32_e32 v31, v4, v27
	v_add_f32_e32 v4, v5, v44
	v_mfma_f32_16x16x16_f16 v[40:43], v[50:51], v[24:25], v[8:11]
	v_cvt_f32_f16_sdwa v37, v63 dst_sel:DWORD dst_unused:UNUSED_PAD src0_sel:WORD_1
	v_add_f32_e32 v27, v6, v54
	s_waitcnt lgkmcnt(0)
	v_cvt_f32_f16_e32 v62, v96
	v_mfma_f32_16x16x16_f16 v[46:49], v[58:59], v[24:25], v[0:3]
	v_add_f32_e32 v25, v7, v57
	v_add_f32_e32 v9, v35, v28
	s_nop 0
	v_add_f32_e32 v8, v40, v29
	v_add_f32_e32 v28, 0x40051340, v31
	;; [unrolled: 1-line block ×3, first 2 shown]
	v_cvt_f32_f16_sdwa v50, v96 dst_sel:DWORD dst_unused:UNUSED_PAD src0_sel:WORD_1
	v_add_f32_e32 v24, v32, v61
	v_add_f32_e32 v11, v33, v52
	v_max3_f32 v28, v95, v28, v29
	v_add_f32_e32 v29, 0x40051340, v27
	v_add_f32_e32 v32, 0x40051340, v25
	v_cvt_f32_f16_e32 v51, v97
	v_cvt_f32_f16_sdwa v63, v97 dst_sel:DWORD dst_unused:UNUSED_PAD src0_sel:WORD_1
	v_add_f32_e32 v10, v34, v98
	v_max3_f32 v28, v28, v29, v32
	v_add_f32_e32 v29, 0x40051340, v24
	v_add_f32_e32 v32, 0x40051340, v11
	v_add_f32_e32 v7, v41, v53
	v_max3_f32 v28, v28, v29, v32
	v_add_f32_e32 v29, 0x40051340, v10
	v_add_f32_e32 v32, 0x40051340, v9
	v_add_f32_e32 v6, v42, v36
	v_add_f32_e32 v5, v43, v37
	v_max3_f32 v28, v28, v29, v32
	v_add_f32_e32 v29, 0x40051340, v8
	;; [unrolled: 5-line block ×4, first 2 shown]
	v_add_f32_e32 v32, 0x40051340, v2
	v_max3_f32 v28, v28, v29, v32
	v_add_f32_e32 v29, 0x40051340, v1
	v_add_f32_e32 v32, 0x40051340, v0
	v_max3_f32 v28, v28, v29, v32
	v_mbcnt_hi_u32_b32 v32, -1, v71
	v_and_b32_e32 v29, 64, v32
	v_add_u32_e32 v33, 64, v29
	v_xor_b32_e32 v29, 32, v32
	v_cmp_lt_i32_e64 s[0:1], v29, v33
	s_nop 1
	v_cndmask_b32_e64 v29, v32, v29, s[0:1]
	v_lshlrev_b32_e32 v29, 2, v29
	ds_bpermute_b32 v34, v29, v28
	s_waitcnt lgkmcnt(0)
	v_max_f32_e32 v34, v34, v34
	v_max_f32_e32 v28, v28, v34
	v_xor_b32_e32 v34, 16, v32
	v_cmp_lt_i32_e64 s[0:1], v34, v33
	s_nop 1
	v_cndmask_b32_e64 v32, v32, v34, s[0:1]
	v_lshlrev_b32_e32 v34, 2, v32
	ds_bpermute_b32 v32, v34, v28
	s_mul_hi_i32 s1, s8, s30
	s_mul_i32 s0, s8, s30
	s_lshl_b64 s[0:1], s[0:1], 2
	s_add_u32 s0, s2, s0
	s_addc_u32 s1, s3, s1
	s_and_saveexec_b64 s[4:5], vcc
	s_cbranch_execz .LBB19_372
; %bb.371:
	v_mul_lo_u32 v36, v94, s30
	v_ashrrev_i32_e32 v37, 31, v36
	v_lshl_add_u64 v[36:37], v[36:37], 2, s[0:1]
	v_lshl_add_u64 v[36:37], v[14:15], 2, v[36:37]
	global_load_dwordx4 v[40:43], v[36:37], off
	v_lshlrev_b32_e32 v14, 2, v14
	v_add3_u32 v14, 0, v30, v14
	s_waitcnt vmcnt(0)
	ds_write_b128 v14, v[40:43]
.LBB19_372:
	s_or_b64 exec, exec, s[4:5]
	s_waitcnt lgkmcnt(0)
	v_max_f32_e32 v14, v32, v32
	v_max_f32_e32 v15, v28, v28
	;; [unrolled: 1-line block ×3, first 2 shown]
	v_sub_f32_e32 v14, v31, v28
	s_mov_b32 s4, 0x3fb8aa3b
	v_mul_f32_e32 v15, 0x3fb8aa3b, v14
	v_fma_f32 v30, v14, s4, -v15
	v_rndne_f32_e32 v31, v15
	v_fmac_f32_e32 v30, 0x32a5705f, v14
	v_sub_f32_e32 v15, v15, v31
	v_add_f32_e32 v15, v15, v30
	v_exp_f32_e32 v15, v15
	v_cvt_i32_f32_e32 v30, v31
	s_mov_b32 s3, 0xc2ce8ed0
	v_cmp_ngt_f32_e32 vcc, s3, v14
	s_mov_b32 s2, 0x42b17218
	v_ldexp_f32 v15, v15, v30
	v_sub_f32_e32 v30, v4, v28
	v_mul_f32_e32 v4, 0x3fb8aa3b, v30
	v_fma_f32 v31, v30, s4, -v4
	v_rndne_f32_e32 v32, v4
	v_fmac_f32_e32 v31, 0x32a5705f, v30
	v_sub_f32_e32 v4, v4, v32
	v_add_f32_e32 v4, v4, v31
	v_exp_f32_e32 v31, v4
	v_cvt_i32_f32_e32 v32, v32
	v_cndmask_b32_e32 v15, 0, v15, vcc
	v_mov_b32_e32 v4, 0x7f800000
	v_cmp_nlt_f32_e32 vcc, s2, v14
	v_ldexp_f32 v14, v31, v32
	v_sub_f32_e32 v25, v25, v28
	v_cndmask_b32_e32 v35, v4, v15, vcc
	v_sub_f32_e32 v15, v27, v28
	v_mul_f32_e32 v27, 0x3fb8aa3b, v15
	v_fma_f32 v31, v15, s4, -v27
	v_rndne_f32_e32 v32, v27
	v_fmac_f32_e32 v31, 0x32a5705f, v15
	v_sub_f32_e32 v27, v27, v32
	v_add_f32_e32 v27, v27, v31
	v_exp_f32_e32 v27, v27
	v_cvt_i32_f32_e32 v31, v32
	v_cmp_ngt_f32_e32 vcc, s3, v30
	v_sub_f32_e32 v11, v11, v28
	v_sub_f32_e32 v10, v10, v28
	v_cndmask_b32_e32 v14, 0, v14, vcc
	v_cmp_nlt_f32_e32 vcc, s2, v30
	v_sub_f32_e32 v9, v9, v28
	v_sub_f32_e32 v8, v8, v28
	v_cndmask_b32_e32 v36, v4, v14, vcc
	v_ldexp_f32 v14, v27, v31
	v_mul_f32_e32 v27, 0x3fb8aa3b, v25
	v_fma_f32 v30, v25, s4, -v27
	v_rndne_f32_e32 v31, v27
	v_fmac_f32_e32 v30, 0x32a5705f, v25
	v_sub_f32_e32 v27, v27, v31
	v_add_f32_e32 v27, v27, v30
	v_exp_f32_e32 v27, v27
	v_cvt_i32_f32_e32 v30, v31
	v_cmp_ngt_f32_e32 vcc, s3, v15
	v_sub_f32_e32 v7, v7, v28
	v_sub_f32_e32 v6, v6, v28
	v_cndmask_b32_e32 v14, 0, v14, vcc
	v_cmp_nlt_f32_e32 vcc, s2, v15
	v_sub_f32_e32 v15, v24, v28
	v_mul_f32_e32 v24, 0x3fb8aa3b, v15
	v_cndmask_b32_e32 v37, v4, v14, vcc
	v_ldexp_f32 v14, v27, v30
	v_fma_f32 v27, v15, s4, -v24
	v_rndne_f32_e32 v30, v24
	v_fmac_f32_e32 v27, 0x32a5705f, v15
	v_sub_f32_e32 v24, v24, v30
	v_add_f32_e32 v24, v24, v27
	v_exp_f32_e32 v24, v24
	v_cvt_i32_f32_e32 v27, v30
	v_cmp_ngt_f32_e32 vcc, s3, v25
	v_sub_f32_e32 v5, v5, v28
	v_sub_f32_e32 v3, v3, v28
	v_cndmask_b32_e32 v14, 0, v14, vcc
	v_cmp_nlt_f32_e32 vcc, s2, v25
	v_sub_f32_e32 v2, v2, v28
	v_sub_f32_e32 v1, v1, v28
	v_cndmask_b32_e32 v40, v4, v14, vcc
	v_ldexp_f32 v14, v24, v27
	v_mul_f32_e32 v24, 0x3fb8aa3b, v11
	v_fma_f32 v25, v11, s4, -v24
	v_rndne_f32_e32 v27, v24
	v_fmac_f32_e32 v25, 0x32a5705f, v11
	v_sub_f32_e32 v24, v24, v27
	v_add_f32_e32 v24, v24, v25
	v_exp_f32_e32 v24, v24
	v_cvt_i32_f32_e32 v25, v27
	v_cmp_ngt_f32_e32 vcc, s3, v15
	s_nop 1
	v_cndmask_b32_e32 v14, 0, v14, vcc
	v_cmp_nlt_f32_e32 vcc, s2, v15
	v_mul_f32_e32 v15, 0x3fb8aa3b, v10
	s_nop 0
	v_cndmask_b32_e32 v41, v4, v14, vcc
	v_ldexp_f32 v14, v24, v25
	v_fma_f32 v24, v10, s4, -v15
	v_rndne_f32_e32 v25, v15
	v_fmac_f32_e32 v24, 0x32a5705f, v10
	v_sub_f32_e32 v15, v15, v25
	v_add_f32_e32 v15, v15, v24
	v_exp_f32_e32 v15, v15
	v_cvt_i32_f32_e32 v24, v25
	v_cmp_ngt_f32_e32 vcc, s3, v11
	s_nop 1
	v_cndmask_b32_e32 v14, 0, v14, vcc
	v_cmp_nlt_f32_e32 vcc, s2, v11
	v_ldexp_f32 v11, v15, v24
	s_nop 0
	v_cndmask_b32_e32 v42, v4, v14, vcc
	v_mul_f32_e32 v14, 0x3fb8aa3b, v9
	v_fma_f32 v15, v9, s4, -v14
	v_rndne_f32_e32 v24, v14
	v_fmac_f32_e32 v15, 0x32a5705f, v9
	v_sub_f32_e32 v14, v14, v24
	v_add_f32_e32 v14, v14, v15
	v_exp_f32_e32 v14, v14
	v_cvt_i32_f32_e32 v15, v24
	v_cmp_ngt_f32_e32 vcc, s3, v10
	s_nop 1
	v_cndmask_b32_e32 v11, 0, v11, vcc
	v_cmp_nlt_f32_e32 vcc, s2, v10
	v_ldexp_f32 v10, v14, v15
	s_nop 0
	v_cndmask_b32_e32 v43, v4, v11, vcc
	v_mul_f32_e32 v11, 0x3fb8aa3b, v8
	v_fma_f32 v14, v8, s4, -v11
	v_rndne_f32_e32 v15, v11
	v_fmac_f32_e32 v14, 0x32a5705f, v8
	v_sub_f32_e32 v11, v11, v15
	v_add_f32_e32 v11, v11, v14
	v_exp_f32_e32 v11, v11
	v_cvt_i32_f32_e32 v14, v15
	v_cmp_ngt_f32_e32 vcc, s3, v9
	s_nop 1
	v_cndmask_b32_e32 v10, 0, v10, vcc
	v_cmp_nlt_f32_e32 vcc, s2, v9
	v_ldexp_f32 v9, v11, v14
	s_nop 0
	v_cndmask_b32_e32 v44, v4, v10, vcc
	v_mul_f32_e32 v10, 0x3fb8aa3b, v7
	v_fma_f32 v11, v7, s4, -v10
	v_rndne_f32_e32 v14, v10
	v_fmac_f32_e32 v11, 0x32a5705f, v7
	v_sub_f32_e32 v10, v10, v14
	v_add_f32_e32 v10, v10, v11
	v_exp_f32_e32 v10, v10
	v_cvt_i32_f32_e32 v11, v14
	v_cmp_ngt_f32_e32 vcc, s3, v8
	s_nop 1
	v_cndmask_b32_e32 v9, 0, v9, vcc
	v_cmp_nlt_f32_e32 vcc, s2, v8
	v_ldexp_f32 v8, v10, v11
	s_nop 0
	v_cndmask_b32_e32 v46, v4, v9, vcc
	v_mul_f32_e32 v9, 0x3fb8aa3b, v6
	v_fma_f32 v10, v6, s4, -v9
	v_rndne_f32_e32 v11, v9
	v_fmac_f32_e32 v10, 0x32a5705f, v6
	v_sub_f32_e32 v9, v9, v11
	v_add_f32_e32 v9, v9, v10
	v_exp_f32_e32 v9, v9
	v_cvt_i32_f32_e32 v10, v11
	v_cmp_ngt_f32_e32 vcc, s3, v7
	s_nop 1
	v_cndmask_b32_e32 v8, 0, v8, vcc
	v_cmp_nlt_f32_e32 vcc, s2, v7
	v_ldexp_f32 v7, v9, v10
	s_nop 0
	v_cndmask_b32_e32 v47, v4, v8, vcc
	v_mul_f32_e32 v8, 0x3fb8aa3b, v5
	v_fma_f32 v9, v5, s4, -v8
	v_rndne_f32_e32 v10, v8
	v_fmac_f32_e32 v9, 0x32a5705f, v5
	v_sub_f32_e32 v8, v8, v10
	v_add_f32_e32 v8, v8, v9
	v_exp_f32_e32 v8, v8
	v_cvt_i32_f32_e32 v9, v10
	v_cmp_ngt_f32_e32 vcc, s3, v6
	v_ldexp_f32 v27, v8, v9
	s_nop 0
	v_cndmask_b32_e32 v7, 0, v7, vcc
	v_cmp_nlt_f32_e32 vcc, s2, v6
	v_mul_f32_e32 v6, 0x3fb8aa3b, v3
	v_mul_lo_u32 v8, v93, s30
	v_rndne_f32_e32 v31, v6
	v_ashrrev_i32_e32 v9, 31, v8
	v_fma_f32 v30, v3, s4, -v6
	v_sub_f32_e32 v32, v6, v31
	v_mul_lo_u32 v6, v90, s30
	v_lshl_add_u64 v[8:9], v[8:9], 2, s[0:1]
	v_cndmask_b32_e32 v48, v4, v7, vcc
	v_ashrrev_i32_e32 v7, 31, v6
	v_lshl_add_u64 v[14:15], v[20:21], 2, v[8:9]
	v_lshl_add_u64 v[8:9], v[22:23], 2, s[0:1]
	;; [unrolled: 1-line block ×3, first 2 shown]
	global_load_dwordx4 v[8:11], v[14:15], off
	global_load_dwordx4 v[22:25], v[20:21], off
	v_lshl_add_u64 v[6:7], v[6:7], 2, s[0:1]
	v_lshl_add_u64 v[6:7], v[6:7], 0, v[12:13]
	global_load_dwordx4 v[12:15], v[6:7], off
	v_fmac_f32_e32 v30, 0x32a5705f, v3
	v_add_f32_e32 v6, v32, v30
	v_exp_f32_e32 v6, v6
	v_cvt_i32_f32_e32 v7, v31
	v_cmp_ngt_f32_e32 vcc, s3, v5
	s_mov_b32 s0, 0xc1a00000
	s_waitcnt vmcnt(2)
	ds_write_b128 v16, v[8:11]
	s_waitcnt vmcnt(1)
	ds_write_b128 v17, v[22:25]
	;; [unrolled: 2-line block ×3, first 2 shown]
	v_cndmask_b32_e32 v20, 0, v27, vcc
	v_cmp_nlt_f32_e32 vcc, s2, v5
	v_ldexp_f32 v5, v6, v7
	v_mul_f32_e32 v6, 0x3fb8aa3b, v2
	v_cndmask_b32_e32 v49, v4, v20, vcc
	v_fma_f32 v7, v2, s4, -v6
	v_rndne_f32_e32 v20, v6
	v_fmac_f32_e32 v7, 0x32a5705f, v2
	v_sub_f32_e32 v6, v6, v20
	v_add_f32_e32 v6, v6, v7
	v_exp_f32_e32 v6, v6
	v_cvt_i32_f32_e32 v7, v20
	v_cmp_ngt_f32_e32 vcc, s3, v3
	s_waitcnt lgkmcnt(0)
	s_barrier
	v_cndmask_b32_e32 v5, 0, v5, vcc
	v_cmp_nlt_f32_e32 vcc, s2, v3
	v_ldexp_f32 v3, v6, v7
	s_nop 0
	v_cndmask_b32_e32 v50, v4, v5, vcc
	v_mul_f32_e32 v5, 0x3fb8aa3b, v1
	v_fma_f32 v6, v1, s4, -v5
	v_rndne_f32_e32 v7, v5
	v_fmac_f32_e32 v6, 0x32a5705f, v1
	v_sub_f32_e32 v5, v5, v7
	v_add_f32_e32 v5, v5, v6
	v_cvt_i32_f32_e32 v6, v7
	v_sub_f32_e32 v7, v95, v28
	v_exp_f32_e32 v5, v5
	v_mul_f32_e32 v20, 0x3fb8aa3b, v7
	v_fma_f32 v21, v7, s4, -v20
	v_rndne_f32_e32 v27, v20
	v_fmac_f32_e32 v21, 0x32a5705f, v7
	v_sub_f32_e32 v20, v20, v27
	v_cmp_ngt_f32_e32 vcc, s3, v2
	v_add_f32_e32 v20, v20, v21
	v_exp_f32_e32 v20, v20
	v_cndmask_b32_e32 v3, 0, v3, vcc
	v_cmp_nlt_f32_e32 vcc, s2, v2
	v_ldexp_f32 v2, v5, v6
	v_sub_f32_e32 v6, v0, v28
	v_cvt_i32_f32_e32 v21, v27
	v_mul_f32_e32 v0, 0x3fb8aa3b, v6
	v_cndmask_b32_e32 v51, v4, v3, vcc
	v_fma_f32 v3, v6, s4, -v0
	v_rndne_f32_e32 v5, v0
	v_cmp_ngt_f32_e32 vcc, s3, v1
	v_fmac_f32_e32 v3, 0x32a5705f, v6
	v_sub_f32_e32 v0, v0, v5
	v_cndmask_b32_e32 v2, 0, v2, vcc
	v_add_f32_e32 v0, v0, v3
	v_cvt_i32_f32_e32 v3, v5
	v_ldexp_f32 v5, v20, v21
	v_cmp_ngt_f32_e32 vcc, s3, v7
	v_exp_f32_e32 v0, v0
	v_cvt_pk_f16_f32 v25, v37, v40
	v_cndmask_b32_e32 v5, 0, v5, vcc
	v_cmp_nlt_f32_e32 vcc, s2, v7
	v_cvt_pk_f16_f32 v24, v35, v36
	v_cvt_pk_f16_f32 v27, v43, v44
	v_cndmask_b32_e32 v5, v4, v5, vcc
	v_cmp_le_f32_e32 vcc, s0, v7
	v_ldexp_f32 v7, v0, v3
	v_or_b32_e32 v0, 3, v92
	v_cndmask_b32_e32 v52, 0, v5, vcc
	v_cvt_f16_f32_e32 v5, v52
	v_cmp_nlt_f32_e32 vcc, s2, v1
	v_mul_u32_u24_e32 v0, 0xf0, v0
	v_add3_u32 v22, 0, v0, v91
	v_cndmask_b32_e32 v53, v4, v2, vcc
	v_or_b32_e32 v2, 2, v92
	v_mul_u32_u24_e32 v20, 0x10001, v5
	v_mul_u32_u24_e32 v2, 0xf0, v2
	v_and_b32_e32 v5, 0xfc, v92
	v_mul_u32_u24_e32 v5, 0xf0, v5
	v_add3_u32 v12, 0, v2, v91
	v_pk_mul_f16 v1, v56, v20
	v_pk_mul_f16 v3, v19, v20
	v_add3_u32 v21, 0, v5, v91
	s_mov_b32 s0, 0x5040100
	ds_read_u16 v10, v12
	ds_read_u16 v5, v12 offset:32
	ds_read_u16 v8, v12 offset:3840
	;; [unrolled: 1-line block ×7, first 2 shown]
	ds_read_u16 v11, v22
	ds_read_u16 v19, v22 offset:32
	ds_read_u16 v56, v22 offset:64
	;; [unrolled: 1-line block ×4, first 2 shown]
	s_waitcnt lgkmcnt(4)
	v_perm_b32 v11, v11, v10, s0
	ds_read_u16 v10, v21 offset:240
	ds_read_u16 v14, v21
	ds_read_u16 v58, v21 offset:32
	ds_read_u16 v59, v21 offset:64
	;; [unrolled: 1-line block ×6, first 2 shown]
	s_waitcnt lgkmcnt(6)
	v_perm_b32 v10, v10, v14, s0
	v_cvt_f32_f16_e32 v0, v1
	v_cvt_f32_f16_sdwa v1, v1 dst_sel:DWORD dst_unused:UNUSED_PAD src0_sel:WORD_1
	v_cvt_f32_f16_e32 v2, v3
	v_cvt_f32_f16_sdwa v3, v3 dst_sel:DWORD dst_unused:UNUSED_PAD src0_sel:WORD_1
	v_cvt_pk_f16_f32 v26, v41, v42
	v_cmp_ngt_f32_e32 vcc, s3, v6
	v_mfma_f32_16x16x16_f16 v[0:3], v[10:11], v[24:25], v[0:3]
	ds_read_u16 v10, v21 offset:4080
	ds_read_u16 v11, v22 offset:3840
	;; [unrolled: 1-line block ×7, first 2 shown]
	s_waitcnt lgkmcnt(5)
	v_perm_b32 v11, v11, v8, s0
	v_cvt_f16_f32_e32 v0, v0
	v_cvt_f16_f32_e32 v1, v1
	;; [unrolled: 1-line block ×4, first 2 shown]
	ds_read_u16 v8, v21 offset:3840
	ds_read_u16 v97, v21 offset:272
	;; [unrolled: 1-line block ×11, first 2 shown]
	s_waitcnt lgkmcnt(10)
	v_perm_b32 v10, v10, v8, s0
	v_cvt_f32_f16_e32 v0, v0
	v_cvt_f32_f16_e32 v1, v1
	;; [unrolled: 1-line block ×4, first 2 shown]
	v_cndmask_b32_e32 v7, 0, v7, vcc
	v_cmp_nlt_f32_e32 vcc, s2, v6
	v_mfma_f32_16x16x16_f16 v[0:3], v[10:11], v[26:27], v[0:3]
	s_nop 0
	v_cndmask_b32_e32 v107, v4, v7, vcc
	ds_read_u16 v4, v12 offset:7680
	ds_read_u16 v8, v12 offset:7712
	;; [unrolled: 1-line block ×10, first 2 shown]
	s_waitcnt lgkmcnt(6)
	v_perm_b32 v7, v6, v4, s0
	v_cvt_f16_f32_e32 v0, v0
	v_cvt_f16_f32_e32 v1, v1
	;; [unrolled: 1-line block ×4, first 2 shown]
	ds_read_u16 v4, v21 offset:7680
	ds_read_u16 v115, v21 offset:7712
	ds_read_u16 v116, v21 offset:7744
	ds_read_u16 v117, v21 offset:7776
	ds_read_u16 v118, v21 offset:4272
	ds_read_u16 v6, v21 offset:7920
	ds_read_u16 v119, v21 offset:7952
	ds_read_u16 v120, v21 offset:7984
	ds_read_u16 v121, v21 offset:8016
	ds_read_u16 v122, v21 offset:8048
	ds_read_u16 v123, v21 offset:7872
	s_waitcnt lgkmcnt(5)
	v_perm_b32 v6, v6, v4, s0
	v_cvt_f32_f16_e32 v0, v0
	v_cvt_f32_f16_e32 v1, v1
	;; [unrolled: 1-line block ×4, first 2 shown]
	v_cvt_pk_f16_f32 v31, v48, v49
	v_cvt_pk_f16_f32 v30, v46, v47
	v_pk_mul_f16 v4, v60, v20
	v_perm_b32 v5, v19, v5, s0
	v_mfma_f32_16x16x16_f16 v[0:3], v[6:7], v[30:31], v[0:3]
	ds_read_u16 v6, v12 offset:11520
	ds_read_u16 v60, v12 offset:11552
	ds_read_u16 v124, v12 offset:11584
	ds_read_u16 v125, v12 offset:7872
	ds_read_u16 v7, v22 offset:11520
	ds_read_u16 v126, v22 offset:11552
	ds_read_u16 v127, v22 offset:11584
	ds_read_u16 v128, v22 offset:11616
	ds_read_u16 v129, v22 offset:11648
	ds_read_u16 v130, v22 offset:11680
	ds_read_u16 v131, v22 offset:11712
	ds_read_u16 v132, v22 offset:7872
	s_waitcnt lgkmcnt(7)
	v_perm_b32 v7, v7, v6, s0
	ds_read_u16 v6, v21 offset:11520
	ds_read_u16 v133, v21 offset:11552
	;; [unrolled: 1-line block ×15, first 2 shown]
	v_cvt_f16_f32_e32 v0, v0
	v_cvt_f16_f32_e32 v1, v1
	;; [unrolled: 1-line block ×4, first 2 shown]
	s_waitcnt lgkmcnt(7)
	v_perm_b32 v6, v10, v6, s0
	v_pk_mul_f16 v10, v18, v20
	v_cvt_f32_f16_e32 v14, v4
	v_cvt_f32_f16_sdwa v15, v4 dst_sel:DWORD dst_unused:UNUSED_PAD src0_sel:WORD_1
	v_perm_b32 v4, v97, v58, s0
	v_cvt_f32_f16_e32 v0, v0
	v_cvt_f32_f16_e32 v1, v1
	;; [unrolled: 1-line block ×5, first 2 shown]
	v_cvt_f32_f16_sdwa v17, v10 dst_sel:DWORD dst_unused:UNUSED_PAD src0_sel:WORD_1
	v_cvt_pk_f16_f32 v33, v53, v107
	v_cvt_pk_f16_f32 v32, v50, v51
	ds_read_u16 v10, v12 offset:3872
	ds_read_u16 v18, v12 offset:3904
	;; [unrolled: 1-line block ×5, first 2 shown]
	v_mfma_f32_16x16x16_f16 v[0:3], v[6:7], v[32:33], v[0:3]
	s_waitcnt lgkmcnt(4)
	v_perm_b32 v11, v92, v10, s0
	v_perm_b32 v10, v104, v98, s0
	;; [unrolled: 1-line block ×3, first 2 shown]
	v_mfma_f32_16x16x16_f16 v[4:7], v[4:5], v[24:25], v[14:17]
	v_pk_mul_f16 v84, v84, v20
	v_add_f32_e32 v35, v35, v36
	v_add_f32_e32 v35, v37, v35
	v_pk_mul_f16 v17, v88, v20
	s_mov_b32 s1, 0
	s_nop 2
	v_cvt_f16_f32_e32 v4, v4
	v_cvt_f16_f32_e32 v5, v5
	;; [unrolled: 1-line block ×4, first 2 shown]
	v_cvt_f32_f16_e32 v4, v4
	v_cvt_f32_f16_e32 v5, v5
	;; [unrolled: 1-line block ×5, first 2 shown]
	v_cvt_f32_f16_sdwa v17, v17 dst_sel:DWORD dst_unused:UNUSED_PAD src0_sel:WORD_1
	v_mfma_f32_16x16x16_f16 v[4:7], v[10:11], v[26:27], v[4:7]
	v_perm_b32 v11, v109, v8, s0
	v_perm_b32 v10, v119, v115, s0
	v_pk_mul_f16 v8, v89, v20
	s_movk_i32 s2, 0xf0
	s_nop 3
	v_cvt_f16_f32_e32 v4, v4
	v_cvt_f16_f32_e32 v5, v5
	;; [unrolled: 1-line block ×4, first 2 shown]
	v_cvt_f32_f16_e32 v4, v4
	v_cvt_f32_f16_e32 v5, v5
	;; [unrolled: 1-line block ×5, first 2 shown]
	v_cvt_f32_f16_sdwa v15, v8 dst_sel:DWORD dst_unused:UNUSED_PAD src0_sel:WORD_1
	v_mfma_f32_16x16x16_f16 v[4:7], v[10:11], v[30:31], v[4:7]
	v_perm_b32 v11, v126, v60, s0
	v_perm_b32 v10, v139, v133, s0
	;; [unrolled: 1-line block ×3, first 2 shown]
	ds_read_u16 v19, v21 offset:3904
	ds_read_u16 v56, v21 offset:3936
	ds_read_u16 v59, v21 offset:3968
	ds_read_u16 v88, v21 offset:4000
	s_nop 0
	v_cvt_f16_f32_e32 v4, v4
	v_cvt_f16_f32_e32 v5, v5
	v_cvt_f16_f32_e32 v6, v6
	v_cvt_f16_f32_e32 v7, v7
	v_cvt_f32_f16_e32 v4, v4
	v_cvt_f32_f16_e32 v5, v5
	;; [unrolled: 1-line block ×4, first 2 shown]
	v_cmp_gt_u32_e32 vcc, 16, v77
	s_nop 0
	v_mfma_f32_16x16x16_f16 v[4:7], v[10:11], v[32:33], v[4:7]
	v_mfma_f32_16x16x16_f16 v[8:11], v[8:9], v[24:25], v[14:17]
	s_nop 2
	ds_read_u16 v16, v12 offset:7744
	ds_read_u16 v60, v12 offset:7776
	;; [unrolled: 1-line block ×4, first 2 shown]
	s_waitcnt lgkmcnt(11)
	v_perm_b32 v15, v93, v18, s0
	s_waitcnt lgkmcnt(7)
	v_perm_b32 v14, v105, v19, s0
	v_cvt_f16_f32_e32 v8, v8
	v_cvt_f16_f32_e32 v9, v9
	;; [unrolled: 1-line block ×4, first 2 shown]
	v_cvt_f32_f16_e32 v8, v8
	v_cvt_f32_f16_e32 v9, v9
	;; [unrolled: 1-line block ×4, first 2 shown]
	v_pk_mul_f16 v17, v86, v20
	v_perm_b32 v19, v57, v13, s0
	v_mfma_f32_16x16x16_f16 v[8:11], v[14:15], v[26:27], v[8:11]
	s_waitcnt lgkmcnt(3)
	v_perm_b32 v15, v110, v16, s0
	v_perm_b32 v14, v120, v116, s0
	v_pk_mul_f16 v16, v87, v20
	v_perm_b32 v18, v100, v61, s0
	s_nop 2
	v_cvt_f16_f32_e32 v8, v8
	v_cvt_f16_f32_e32 v9, v9
	;; [unrolled: 1-line block ×4, first 2 shown]
	v_cvt_f32_f16_e32 v8, v8
	v_cvt_f32_f16_e32 v9, v9
	;; [unrolled: 1-line block ×4, first 2 shown]
	ds_read_u16 v13, v21 offset:4176
	ds_read_u16 v61, v21 offset:4208
	;; [unrolled: 1-line block ×3, first 2 shown]
	v_mfma_f32_16x16x16_f16 v[8:11], v[14:15], v[30:31], v[8:11]
	v_perm_b32 v15, v127, v124, s0
	v_perm_b32 v14, v140, v134, s0
	s_nop 5
	v_cvt_f16_f32_e32 v8, v8
	v_cvt_f16_f32_e32 v9, v9
	;; [unrolled: 1-line block ×4, first 2 shown]
	v_cvt_f32_f16_e32 v8, v8
	v_cvt_f32_f16_e32 v9, v9
	v_cvt_f32_f16_e32 v10, v10
	v_cvt_f32_f16_e32 v11, v11
	s_nop 1
	v_mfma_f32_16x16x16_f16 v[8:11], v[14:15], v[32:33], v[8:11]
	v_cvt_f32_f16_e32 v14, v16
	v_cvt_f32_f16_sdwa v15, v16 dst_sel:DWORD dst_unused:UNUSED_PAD src0_sel:WORD_1
	v_cvt_f32_f16_e32 v16, v17
	v_cvt_f32_f16_sdwa v17, v17 dst_sel:DWORD dst_unused:UNUSED_PAD src0_sel:WORD_1
	s_nop 1
	v_mfma_f32_16x16x16_f16 v[14:17], v[18:19], v[24:25], v[14:17]
	v_perm_b32 v19, v94, v58, s0
	s_waitcnt lgkmcnt(2)
	v_perm_b32 v18, v13, v56, s0
	ds_read_u16 v56, v12 offset:11616
	ds_read_u16 v58, v12 offset:11648
	;; [unrolled: 1-line block ×3, first 2 shown]
	s_nop 1
	v_cvt_f16_f32_e32 v14, v14
	v_cvt_f16_f32_e32 v15, v15
	;; [unrolled: 1-line block ×4, first 2 shown]
	v_cvt_f32_f16_e32 v14, v14
	v_cvt_f32_f16_e32 v15, v15
	;; [unrolled: 1-line block ×4, first 2 shown]
	s_nop 1
	v_mfma_f32_16x16x16_f16 v[14:17], v[18:19], v[26:27], v[14:17]
	v_perm_b32 v19, v111, v60, s0
	v_perm_b32 v18, v121, v117, s0
	s_nop 5
	v_cvt_f16_f32_e32 v13, v14
	v_cvt_f16_f32_e32 v15, v15
	v_cvt_f16_f32_e32 v16, v16
	v_cvt_f16_f32_e32 v17, v17
	v_cvt_f32_f16_e32 v14, v13
	v_cvt_f32_f16_e32 v15, v15
	;; [unrolled: 1-line block ×4, first 2 shown]
	s_nop 1
	v_mfma_f32_16x16x16_f16 v[12:15], v[18:19], v[30:31], v[14:17]
	ds_read_u16 v19, v22 offset:128
	ds_read_u16 v60, v22 offset:160
	s_waitcnt lgkmcnt(4)
	v_perm_b32 v17, v128, v56, s0
	v_perm_b32 v16, v141, v135, s0
	s_nop 2
	v_cvt_f16_f32_e32 v12, v12
	v_cvt_f16_f32_e32 v13, v13
	;; [unrolled: 1-line block ×4, first 2 shown]
	v_cvt_f32_f16_e32 v12, v12
	v_cvt_f32_f16_e32 v13, v13
	;; [unrolled: 1-line block ×4, first 2 shown]
	v_pk_mul_f16 v18, v85, v20
	s_waitcnt lgkmcnt(1)
	v_perm_b32 v57, v19, v23, s0
	v_perm_b32 v56, v101, v71, s0
	v_mfma_f32_16x16x16_f16 v[12:15], v[16:17], v[32:33], v[12:15]
	v_cvt_f32_f16_e32 v16, v18
	v_cvt_f32_f16_sdwa v17, v18 dst_sel:DWORD dst_unused:UNUSED_PAD src0_sel:WORD_1
	v_cvt_f32_f16_e32 v18, v84
	v_cvt_f32_f16_sdwa v19, v84 dst_sel:DWORD dst_unused:UNUSED_PAD src0_sel:WORD_1
	ds_read_u16 v23, v21 offset:7808
	ds_read_u16 v71, v21 offset:7840
	v_mfma_f32_16x16x16_f16 v[16:19], v[56:57], v[24:25], v[16:19]
	v_perm_b32 v57, v95, v97, s0
	v_perm_b32 v56, v61, v59, s0
	v_pk_mul_f16 v59, v82, v20
	s_nop 4
	v_cvt_f16_f32_e32 v16, v16
	v_cvt_f16_f32_e32 v17, v17
	;; [unrolled: 1-line block ×4, first 2 shown]
	v_cvt_f32_f16_e32 v16, v16
	v_cvt_f32_f16_e32 v17, v17
	;; [unrolled: 1-line block ×4, first 2 shown]
	s_waitcnt lgkmcnt(2)
	v_perm_b32 v61, v60, v54, s0
	v_perm_b32 v60, v102, v90, s0
	v_mfma_f32_16x16x16_f16 v[16:19], v[56:57], v[26:27], v[16:19]
	v_perm_b32 v57, v112, v89, s0
	s_waitcnt lgkmcnt(1)
	v_perm_b32 v56, v122, v23, s0
	v_pk_mul_f16 v23, v83, v20
	ds_read_u16 v22, v22 offset:4000
	ds_read_u16 v21, v21 offset:8080
	s_nop 1
	v_cvt_f16_f32_e32 v16, v16
	v_cvt_f16_f32_e32 v17, v17
	;; [unrolled: 1-line block ×4, first 2 shown]
	v_cvt_f32_f16_e32 v16, v16
	v_cvt_f32_f16_e32 v17, v17
	;; [unrolled: 1-line block ×4, first 2 shown]
	s_waitcnt lgkmcnt(0)
	s_barrier
	v_mfma_f32_16x16x16_f16 v[16:19], v[56:57], v[30:31], v[16:19]
	v_perm_b32 v57, v129, v58, s0
	v_perm_b32 v56, v142, v136, s0
	v_cvt_f32_f16_e32 v58, v59
	v_cvt_f32_f16_sdwa v59, v59 dst_sel:DWORD dst_unused:UNUSED_PAD src0_sel:WORD_1
	s_nop 3
	v_cvt_f16_f32_e32 v16, v16
	v_cvt_f16_f32_e32 v17, v17
	;; [unrolled: 1-line block ×4, first 2 shown]
	v_cvt_f32_f16_e32 v16, v16
	v_cvt_f32_f16_e32 v17, v17
	v_cvt_f32_f16_e32 v18, v18
	v_cvt_f32_f16_e32 v19, v19
	s_nop 1
	v_mfma_f32_16x16x16_f16 v[16:19], v[56:57], v[32:33], v[16:19]
	v_cvt_f32_f16_e32 v56, v23
	v_cvt_f32_f16_sdwa v57, v23 dst_sel:DWORD dst_unused:UNUSED_PAD src0_sel:WORD_1
	s_barrier
	s_nop 0
	v_mfma_f32_16x16x16_f16 v[56:59], v[60:61], v[24:25], v[56:59]
	s_nop 7
	v_cvt_f16_f32_e32 v23, v56
	v_cvt_f16_f32_e32 v54, v57
	v_cvt_f16_f32_e32 v58, v58
	v_cvt_f16_f32_e32 v59, v59
	v_cvt_f32_f16_e32 v56, v23
	v_perm_b32 v23, v22, v146, s0
	v_perm_b32 v22, v86, v88, s0
	v_cvt_f32_f16_e32 v57, v54
	v_cvt_f32_f16_e32 v58, v58
	;; [unrolled: 1-line block ×3, first 2 shown]
	s_nop 1
	v_mfma_f32_16x16x16_f16 v[56:59], v[22:23], v[26:27], v[56:59]
	s_nop 7
	v_cvt_f16_f32_e32 v22, v56
	v_cvt_f16_f32_e32 v23, v57
	;; [unrolled: 1-line block ×4, first 2 shown]
	v_cvt_f32_f16_e32 v56, v22
	v_cvt_f32_f16_e32 v57, v23
	v_perm_b32 v23, v113, v92, s0
	v_perm_b32 v22, v21, v71, s0
	v_cvt_f32_f16_e32 v58, v36
	v_cvt_f32_f16_e32 v59, v37
	v_add_f32_e32 v21, v40, v35
	v_add_f32_e32 v21, v41, v21
	v_mfma_f32_16x16x16_f16 v[56:59], v[22:23], v[30:31], v[56:59]
	v_add_f32_e32 v21, v42, v21
	v_perm_b32 v37, v96, v62, s0
	s_nop 5
	v_cvt_f16_f32_e32 v36, v59
	v_cvt_f16_f32_e32 v35, v58
	;; [unrolled: 1-line block ×4, first 2 shown]
	v_cvt_f32_f16_e32 v59, v36
	v_pk_mul_f16 v36, v81, v20
	v_cvt_f32_f16_e32 v58, v35
	v_add_f32_e32 v35, v43, v21
	v_pk_mul_f16 v43, v80, v20
	v_cvt_f32_f16_e32 v40, v36
	v_cvt_f32_f16_sdwa v41, v36 dst_sel:DWORD dst_unused:UNUSED_PAD src0_sel:WORD_1
	v_perm_b32 v36, v103, v91, s0
	v_cvt_f32_f16_e32 v42, v43
	v_cvt_f32_f16_sdwa v43, v43 dst_sel:DWORD dst_unused:UNUSED_PAD src0_sel:WORD_1
	v_add_f32_e32 v35, v44, v35
	v_add_f32_e32 v35, v46, v35
	v_mfma_f32_16x16x16_f16 v[40:43], v[36:37], v[24:25], v[40:43]
	v_add_f32_e32 v35, v47, v35
	v_add_f32_e32 v35, v48, v35
	;; [unrolled: 1-line block ×4, first 2 shown]
	s_nop 3
	v_cvt_f16_f32_e32 v24, v40
	v_cvt_f16_f32_e32 v25, v41
	;; [unrolled: 1-line block ×4, first 2 shown]
	v_cvt_f32_f16_e32 v40, v24
	v_cvt_f32_f16_e32 v41, v25
	v_perm_b32 v25, v114, v108, s0
	v_perm_b32 v24, v118, v106, s0
	v_cvt_f32_f16_e32 v42, v36
	v_cvt_f32_f16_e32 v43, v37
	v_perm_b32 v37, v132, v125, s0
	v_perm_b32 v36, v138, v123, s0
	v_mfma_f32_16x16x16_f16 v[24:27], v[24:25], v[26:27], v[40:43]
	v_add_f32_e32 v35, v51, v35
	v_add_f32_e32 v35, v53, v35
	;; [unrolled: 1-line block ×3, first 2 shown]
	v_fmac_f32_e32 v35, v55, v52
	s_nop 3
	v_cvt_f16_f32_e32 v24, v24
	v_cvt_f16_f32_e32 v25, v25
	;; [unrolled: 1-line block ×4, first 2 shown]
	v_cvt_f32_f16_e32 v24, v24
	v_cvt_f32_f16_e32 v25, v25
	;; [unrolled: 1-line block ×4, first 2 shown]
	ds_bpermute_b32 v29, v29, v35
	v_cvt_f32_f16_e32 v56, v22
	v_mfma_f32_16x16x16_f16 v[24:27], v[36:37], v[30:31], v[24:27]
	v_perm_b32 v31, v131, v63, s0
	v_perm_b32 v30, v144, v145, s0
	v_cvt_f32_f16_e32 v57, v23
	v_perm_b32 v23, v130, v87, s0
	s_nop 3
	v_cvt_f16_f32_e32 v24, v24
	v_cvt_f16_f32_e32 v25, v25
	;; [unrolled: 1-line block ×4, first 2 shown]
	v_perm_b32 v22, v143, v137, s0
	v_cvt_f32_f16_e32 v24, v24
	v_cvt_f32_f16_e32 v25, v25
	;; [unrolled: 1-line block ×4, first 2 shown]
	s_waitcnt lgkmcnt(0)
	v_add_f32_e32 v29, v35, v29
	v_mfma_f32_16x16x16_f16 v[20:23], v[22:23], v[32:33], v[56:59]
	v_mfma_f32_16x16x16_f16 v[24:27], v[30:31], v[32:33], v[24:27]
	ds_bpermute_b32 v30, v34, v29
	s_and_saveexec_b64 s[4:5], vcc
	s_cbranch_execz .LBB19_374
; %bb.373:
	s_add_i32 s0, s24, s19
	s_lshl_b32 s0, s0, 6
	s_lshl_b64 s[6:7], s[0:1], 3
	s_add_u32 s6, s26, s6
	s_addc_u32 s7, s27, s7
	v_or_b32_e32 v32, v79, v77
	v_mov_b32_e32 v33, 0
	v_lshl_add_u64 v[32:33], v[32:33], 3, s[6:7]
	s_waitcnt lgkmcnt(0)
	v_add_f32_e32 v29, v29, v30
	global_store_dwordx2 v[32:33], v[28:29], off
.LBB19_374:
	s_or_b64 exec, exec, s[4:5]
	s_load_dword s0, s[22:23], 0x0
	s_load_dword s3, s[22:23], 0x10
	v_cvt_pk_f16_f32 v0, v0, v1
	v_cvt_pk_f16_f32 v1, v6, v7
	;; [unrolled: 1-line block ×3, first 2 shown]
	v_or_b32_e32 v14, v79, v67
	s_waitcnt lgkmcnt(0)
	s_lshr_b32 s3, s3, 16
	s_cmp_lg_u32 s3, 0
	s_cselect_b64 s[4:5], -1, 0
	s_cmp_lg_u64 s[4:5], 0
	s_addc_u32 s0, s0, 0
	v_mul_i32_i24_e32 v14, 0xf0, v14
	s_lshl_b32 s0, s0, 7
	v_cvt_pk_f16_f32 v2, v2, v3
	v_add3_u32 v14, 0, v14, v78
	s_lshl_b64 s[4:5], s[0:1], 3
	v_cvt_pk_f16_f32 v3, v4, v5
	v_cvt_pk_f16_f32 v4, v10, v11
	;; [unrolled: 1-line block ×10, first 2 shown]
	s_add_u32 s3, s26, s4
	s_mul_i32 s0, s19, 0xe00
	ds_write2_b32 v14, v0, v2 offset1:1
	ds_write2_b32 v14, v3, v1 offset0:8 offset1:9
	ds_write2_b32 v14, v5, v4 offset0:16 offset1:17
	;; [unrolled: 1-line block ×6, first 2 shown]
	v_mad_u32_u24 v2, v39, s2, v45
	s_addc_u32 s4, s27, s5
	s_lshl_b64 s[0:1], s[0:1], 3
	v_add_u32_e32 v6, 0x80, v2
	s_add_u32 s0, s3, s0
	s_waitcnt lgkmcnt(0)
	s_barrier
	ds_read2st64_b32 v[0:1], v6 offset0:7 offset1:22
	v_and_b32_e32 v3, 15, v39
	s_movk_i32 s3, 0x1ff0
	v_and_or_b32 v4, v64, s3, v3
	v_and_or_b32 v5, v65, s3, v3
	;; [unrolled: 1-line block ×3, first 2 shown]
	v_and_b32_e32 v8, 15, v66
	s_movk_i32 s3, 0x3ff0
	v_and_or_b32 v9, v70, s3, v8
	v_and_or_b32 v10, v74, s3, v8
	;; [unrolled: 1-line block ×3, first 2 shown]
	v_mad_u32_u24 v3, v3, s2, v45
	v_mad_u32_u24 v7, v66, s2, v69
	;; [unrolled: 1-line block ×7, first 2 shown]
	ds_read_b32 v11, v2
	ds_read_b32 v12, v4
	;; [unrolled: 1-line block ×4, first 2 shown]
	ds_read_b32 v7, v7 offset:128
	ds_read_b32 v9, v9 offset:128
	;; [unrolled: 1-line block ×4, first 2 shown]
	s_waitcnt lgkmcnt(7)
	v_cvt_f32_f16_e32 v2, v11
	v_cvt_f32_f16_sdwa v3, v11 dst_sel:DWORD dst_unused:UNUSED_PAD src0_sel:WORD_1
	v_cvt_f32_f16_e32 v4, v0
	v_cvt_f32_f16_sdwa v5, v0 dst_sel:DWORD dst_unused:UNUSED_PAD src0_sel:WORD_1
	v_mul_u32_u24_e32 v11, 56, v39
	s_addc_u32 s1, s4, s1
	v_pk_add_f32 v[2:3], v[2:3], 0 op_sel_hi:[1,0]
	v_add_lshl_u32 v11, v11, v38, 3
	global_store_dwordx2 v11, v[2:3], s[0:1]
	v_pk_add_f32 v[2:3], v[4:5], 0 op_sel_hi:[1,0]
	global_store_dwordx2 v11, v[2:3], s[0:1] offset:3584
	s_waitcnt lgkmcnt(6)
	v_cvt_f32_f16_e32 v2, v12
	v_cvt_f32_f16_sdwa v3, v12 dst_sel:DWORD dst_unused:UNUSED_PAD src0_sel:WORD_1
	v_add_u32_e32 v4, 0x1c00, v11
	v_cvt_f32_f16_e32 v0, v1
	v_cvt_f32_f16_sdwa v1, v1 dst_sel:DWORD dst_unused:UNUSED_PAD src0_sel:WORD_1
	v_pk_add_f32 v[2:3], v[2:3], 0 op_sel_hi:[1,0]
	global_store_dwordx2 v4, v[2:3], s[0:1]
	ds_read2st64_b32 v[2:3], v6 offset0:37 offset1:52
	v_add_u32_e32 v4, 0x2a00, v11
	v_pk_add_f32 v[0:1], v[0:1], 0 op_sel_hi:[1,0]
	global_store_dwordx2 v4, v[0:1], s[0:1]
	s_waitcnt lgkmcnt(6)
	v_cvt_f32_f16_e32 v0, v13
	v_cvt_f32_f16_sdwa v1, v13 dst_sel:DWORD dst_unused:UNUSED_PAD src0_sel:WORD_1
	s_waitcnt lgkmcnt(0)
	v_cvt_f32_f16_e32 v4, v2
	v_cvt_f32_f16_sdwa v5, v2 dst_sel:DWORD dst_unused:UNUSED_PAD src0_sel:WORD_1
	v_add_u32_e32 v6, 0x3800, v11
	v_pk_add_f32 v[0:1], v[0:1], 0 op_sel_hi:[1,0]
	global_store_dwordx2 v6, v[0:1], s[0:1]
	v_add_u32_e32 v2, 0x4600, v11
	v_pk_add_f32 v[0:1], v[4:5], 0 op_sel_hi:[1,0]
	global_store_dwordx2 v2, v[0:1], s[0:1]
	v_cvt_f32_f16_e32 v0, v14
	v_cvt_f32_f16_sdwa v1, v14 dst_sel:DWORD dst_unused:UNUSED_PAD src0_sel:WORD_1
	v_cvt_f32_f16_e32 v2, v3
	v_cvt_f32_f16_sdwa v3, v3 dst_sel:DWORD dst_unused:UNUSED_PAD src0_sel:WORD_1
	v_add_u32_e32 v4, 0x5400, v11
	v_pk_add_f32 v[0:1], v[0:1], 0 op_sel_hi:[1,0]
	global_store_dwordx2 v4, v[0:1], s[0:1]
	v_add_u32_e32 v4, 0x6200, v11
	v_pk_add_f32 v[0:1], v[2:3], 0 op_sel_hi:[1,0]
	global_store_dwordx2 v4, v[0:1], s[0:1]
	v_cvt_f32_f16_e32 v0, v7
	v_cvt_f32_f16_sdwa v1, v7 dst_sel:DWORD dst_unused:UNUSED_PAD src0_sel:WORD_1
	v_mad_u32_u24 v2, v66, 56, v67
	v_mov_b32_e32 v3, 0
	v_lshl_add_u64 v[4:5], v[2:3], 3, s[0:1]
	v_pk_add_f32 v[0:1], v[0:1], 0 op_sel_hi:[1,0]
	global_store_dwordx2 v[4:5], v[0:1], off offset:256
	v_cvt_f32_f16_e32 v0, v9
	v_cvt_f32_f16_sdwa v1, v9 dst_sel:DWORD dst_unused:UNUSED_PAD src0_sel:WORD_1
	v_add_u32_e32 v4, 0x380, v2
	v_mov_b32_e32 v5, v3
	v_lshl_add_u64 v[4:5], v[4:5], 3, s[0:1]
	v_pk_add_f32 v[0:1], v[0:1], 0 op_sel_hi:[1,0]
	global_store_dwordx2 v[4:5], v[0:1], off offset:256
	v_cvt_f32_f16_e32 v0, v10
	v_cvt_f32_f16_sdwa v1, v10 dst_sel:DWORD dst_unused:UNUSED_PAD src0_sel:WORD_1
	v_add_u32_e32 v4, 0x700, v2
	v_mov_b32_e32 v5, v3
	v_lshl_add_u64 v[4:5], v[4:5], 3, s[0:1]
	v_pk_add_f32 v[0:1], v[0:1], 0 op_sel_hi:[1,0]
	global_store_dwordx2 v[4:5], v[0:1], off offset:256
	v_mad_u32_u24 v4, v72, s2, v76
	v_add_u32_e32 v4, 0xc0, v4
	v_cvt_f32_f16_e32 v0, v8
	v_cvt_f32_f16_sdwa v1, v8 dst_sel:DWORD dst_unused:UNUSED_PAD src0_sel:WORD_1
	ds_read2st64_b32 v[4:5], v4 offset1:30
	v_add_u32_e32 v2, 0xa80, v2
	v_lshl_add_u64 v[6:7], v[2:3], 3, s[0:1]
	v_pk_add_f32 v[0:1], v[0:1], 0 op_sel_hi:[1,0]
	global_store_dwordx2 v[6:7], v[0:1], off offset:256
	s_waitcnt lgkmcnt(0)
	v_cvt_f32_f16_e32 v0, v4
	v_cvt_f32_f16_sdwa v1, v4 dst_sel:DWORD dst_unused:UNUSED_PAD src0_sel:WORD_1
	v_cvt_f32_f16_e32 v4, v5
	v_cvt_f32_f16_sdwa v5, v5 dst_sel:DWORD dst_unused:UNUSED_PAD src0_sel:WORD_1
	v_mul_u32_u24_e32 v2, 56, v72
	v_or_b32_e32 v2, v2, v73
	v_lshl_add_u64 v[6:7], v[2:3], 3, s[0:1]
	v_pk_add_f32 v[0:1], v[0:1], 0 op_sel_hi:[1,0]
	v_add_u32_e32 v2, 0x700, v2
	global_store_dwordx2 v[6:7], v[0:1], off offset:384
	v_lshl_add_u64 v[0:1], v[2:3], 3, s[0:1]
	v_pk_add_f32 v[2:3], v[4:5], 0 op_sel_hi:[1,0]
	global_store_dwordx2 v[0:1], v[2:3], off offset:384
	s_endpgm
	.section	.rodata,"a",@progbits
	.p2align	6, 0x0
	.amdhsa_kernel _ZL18flash_attn_ext_f16ILi112ELi112ELi8ELi8ELb0ELb0EEvPKcS1_S1_S1_S1_PKiPfP15HIP_vector_typeIfLj2EEffffjfiS5_IjLj3EEiiiiiiiiiiiliiliiiiil
		.amdhsa_group_segment_fixed_size 0
		.amdhsa_private_segment_fixed_size 0
		.amdhsa_kernarg_size 464
		.amdhsa_user_sgpr_count 2
		.amdhsa_user_sgpr_dispatch_ptr 0
		.amdhsa_user_sgpr_queue_ptr 0
		.amdhsa_user_sgpr_kernarg_segment_ptr 1
		.amdhsa_user_sgpr_dispatch_id 0
		.amdhsa_user_sgpr_kernarg_preload_length 0
		.amdhsa_user_sgpr_kernarg_preload_offset 0
		.amdhsa_user_sgpr_private_segment_size 0
		.amdhsa_uses_dynamic_stack 0
		.amdhsa_enable_private_segment 0
		.amdhsa_system_sgpr_workgroup_id_x 1
		.amdhsa_system_sgpr_workgroup_id_y 0
		.amdhsa_system_sgpr_workgroup_id_z 0
		.amdhsa_system_sgpr_workgroup_info 0
		.amdhsa_system_vgpr_workitem_id 1
		.amdhsa_next_free_vgpr 251
		.amdhsa_next_free_sgpr 100
		.amdhsa_accum_offset 252
		.amdhsa_reserve_vcc 1
		.amdhsa_float_round_mode_32 0
		.amdhsa_float_round_mode_16_64 0
		.amdhsa_float_denorm_mode_32 3
		.amdhsa_float_denorm_mode_16_64 3
		.amdhsa_dx10_clamp 1
		.amdhsa_ieee_mode 1
		.amdhsa_fp16_overflow 0
		.amdhsa_tg_split 0
		.amdhsa_exception_fp_ieee_invalid_op 0
		.amdhsa_exception_fp_denorm_src 0
		.amdhsa_exception_fp_ieee_div_zero 0
		.amdhsa_exception_fp_ieee_overflow 0
		.amdhsa_exception_fp_ieee_underflow 0
		.amdhsa_exception_fp_ieee_inexact 0
		.amdhsa_exception_int_div_zero 0
	.end_amdhsa_kernel
	.section	.text._ZL18flash_attn_ext_f16ILi112ELi112ELi8ELi8ELb0ELb0EEvPKcS1_S1_S1_S1_PKiPfP15HIP_vector_typeIfLj2EEffffjfiS5_IjLj3EEiiiiiiiiiiiliiliiiiil,"axG",@progbits,_ZL18flash_attn_ext_f16ILi112ELi112ELi8ELi8ELb0ELb0EEvPKcS1_S1_S1_S1_PKiPfP15HIP_vector_typeIfLj2EEffffjfiS5_IjLj3EEiiiiiiiiiiiliiliiiiil,comdat
.Lfunc_end19:
	.size	_ZL18flash_attn_ext_f16ILi112ELi112ELi8ELi8ELb0ELb0EEvPKcS1_S1_S1_S1_PKiPfP15HIP_vector_typeIfLj2EEffffjfiS5_IjLj3EEiiiiiiiiiiiliiliiiiil, .Lfunc_end19-_ZL18flash_attn_ext_f16ILi112ELi112ELi8ELi8ELb0ELb0EEvPKcS1_S1_S1_S1_PKiPfP15HIP_vector_typeIfLj2EEffffjfiS5_IjLj3EEiiiiiiiiiiiliiliiiiil
                                        ; -- End function
	.set _ZL18flash_attn_ext_f16ILi112ELi112ELi8ELi8ELb0ELb0EEvPKcS1_S1_S1_S1_PKiPfP15HIP_vector_typeIfLj2EEffffjfiS5_IjLj3EEiiiiiiiiiiiliiliiiiil.num_vgpr, 251
	.set _ZL18flash_attn_ext_f16ILi112ELi112ELi8ELi8ELb0ELb0EEvPKcS1_S1_S1_S1_PKiPfP15HIP_vector_typeIfLj2EEffffjfiS5_IjLj3EEiiiiiiiiiiiliiliiiiil.num_agpr, 0
	.set _ZL18flash_attn_ext_f16ILi112ELi112ELi8ELi8ELb0ELb0EEvPKcS1_S1_S1_S1_PKiPfP15HIP_vector_typeIfLj2EEffffjfiS5_IjLj3EEiiiiiiiiiiiliiliiiiil.numbered_sgpr, 100
	.set _ZL18flash_attn_ext_f16ILi112ELi112ELi8ELi8ELb0ELb0EEvPKcS1_S1_S1_S1_PKiPfP15HIP_vector_typeIfLj2EEffffjfiS5_IjLj3EEiiiiiiiiiiiliiliiiiil.num_named_barrier, 0
	.set _ZL18flash_attn_ext_f16ILi112ELi112ELi8ELi8ELb0ELb0EEvPKcS1_S1_S1_S1_PKiPfP15HIP_vector_typeIfLj2EEffffjfiS5_IjLj3EEiiiiiiiiiiiliiliiiiil.private_seg_size, 0
	.set _ZL18flash_attn_ext_f16ILi112ELi112ELi8ELi8ELb0ELb0EEvPKcS1_S1_S1_S1_PKiPfP15HIP_vector_typeIfLj2EEffffjfiS5_IjLj3EEiiiiiiiiiiiliiliiiiil.uses_vcc, 1
	.set _ZL18flash_attn_ext_f16ILi112ELi112ELi8ELi8ELb0ELb0EEvPKcS1_S1_S1_S1_PKiPfP15HIP_vector_typeIfLj2EEffffjfiS5_IjLj3EEiiiiiiiiiiiliiliiiiil.uses_flat_scratch, 0
	.set _ZL18flash_attn_ext_f16ILi112ELi112ELi8ELi8ELb0ELb0EEvPKcS1_S1_S1_S1_PKiPfP15HIP_vector_typeIfLj2EEffffjfiS5_IjLj3EEiiiiiiiiiiiliiliiiiil.has_dyn_sized_stack, 0
	.set _ZL18flash_attn_ext_f16ILi112ELi112ELi8ELi8ELb0ELb0EEvPKcS1_S1_S1_S1_PKiPfP15HIP_vector_typeIfLj2EEffffjfiS5_IjLj3EEiiiiiiiiiiiliiliiiiil.has_recursion, 0
	.set _ZL18flash_attn_ext_f16ILi112ELi112ELi8ELi8ELb0ELb0EEvPKcS1_S1_S1_S1_PKiPfP15HIP_vector_typeIfLj2EEffffjfiS5_IjLj3EEiiiiiiiiiiiliiliiiiil.has_indirect_call, 0
	.section	.AMDGPU.csdata,"",@progbits
; Kernel info:
; codeLenInByte = 55680
; TotalNumSgprs: 106
; NumVgprs: 251
; NumAgprs: 0
; TotalNumVgprs: 251
; ScratchSize: 0
; MemoryBound: 0
; FloatMode: 240
; IeeeMode: 1
; LDSByteSize: 0 bytes/workgroup (compile time only)
; SGPRBlocks: 13
; VGPRBlocks: 31
; NumSGPRsForWavesPerEU: 106
; NumVGPRsForWavesPerEU: 251
; AccumOffset: 252
; Occupancy: 2
; WaveLimiterHint : 0
; COMPUTE_PGM_RSRC2:SCRATCH_EN: 0
; COMPUTE_PGM_RSRC2:USER_SGPR: 2
; COMPUTE_PGM_RSRC2:TRAP_HANDLER: 0
; COMPUTE_PGM_RSRC2:TGID_X_EN: 1
; COMPUTE_PGM_RSRC2:TGID_Y_EN: 0
; COMPUTE_PGM_RSRC2:TGID_Z_EN: 0
; COMPUTE_PGM_RSRC2:TIDIG_COMP_CNT: 1
; COMPUTE_PGM_RSRC3_GFX90A:ACCUM_OFFSET: 62
; COMPUTE_PGM_RSRC3_GFX90A:TG_SPLIT: 0
	.section	.text._ZL18flash_attn_ext_f16ILi112ELi112ELi8ELi8ELb1ELb0EEvPKcS1_S1_S1_S1_PKiPfP15HIP_vector_typeIfLj2EEffffjfiS5_IjLj3EEiiiiiiiiiiiliiliiiiil,"axG",@progbits,_ZL18flash_attn_ext_f16ILi112ELi112ELi8ELi8ELb1ELb0EEvPKcS1_S1_S1_S1_PKiPfP15HIP_vector_typeIfLj2EEffffjfiS5_IjLj3EEiiiiiiiiiiiliiliiiiil,comdat
	.globl	_ZL18flash_attn_ext_f16ILi112ELi112ELi8ELi8ELb1ELb0EEvPKcS1_S1_S1_S1_PKiPfP15HIP_vector_typeIfLj2EEffffjfiS5_IjLj3EEiiiiiiiiiiiliiliiiiil ; -- Begin function _ZL18flash_attn_ext_f16ILi112ELi112ELi8ELi8ELb1ELb0EEvPKcS1_S1_S1_S1_PKiPfP15HIP_vector_typeIfLj2EEffffjfiS5_IjLj3EEiiiiiiiiiiiliiliiiiil
	.p2align	8
	.type	_ZL18flash_attn_ext_f16ILi112ELi112ELi8ELi8ELb1ELb0EEvPKcS1_S1_S1_S1_PKiPfP15HIP_vector_typeIfLj2EEffffjfiS5_IjLj3EEiiiiiiiiiiiliiliiiiil,@function
_ZL18flash_attn_ext_f16ILi112ELi112ELi8ELi8ELb1ELb0EEvPKcS1_S1_S1_S1_PKiPfP15HIP_vector_typeIfLj2EEffffjfiS5_IjLj3EEiiiiiiiiiiiliiliiiiil: ; @_ZL18flash_attn_ext_f16ILi112ELi112ELi8ELi8ELb1ELb0EEvPKcS1_S1_S1_S1_PKiPfP15HIP_vector_typeIfLj2EEffffjfiS5_IjLj3EEiiiiiiiiiiiliiliiiiil
; %bb.0:
	s_add_u32 s8, s0, 0xd0
	s_addc_u32 s9, s1, 0
	s_getpc_b64 s[0:1]
	s_add_u32 s0, s0, _ZL14no_device_codePKciS0_iS0_@rel32@lo+4
	s_addc_u32 s1, s1, _ZL14no_device_codePKciS0_iS0_@rel32@hi+12
	v_mov_b32_e32 v0, 0x6cc
	s_mov_b32 s32, 0
	s_swappc_b64 s[30:31], s[0:1]
	.section	.rodata,"a",@progbits
	.p2align	6, 0x0
	.amdhsa_kernel _ZL18flash_attn_ext_f16ILi112ELi112ELi8ELi8ELb1ELb0EEvPKcS1_S1_S1_S1_PKiPfP15HIP_vector_typeIfLj2EEffffjfiS5_IjLj3EEiiiiiiiiiiiliiliiiiil
		.amdhsa_group_segment_fixed_size 0
		.amdhsa_private_segment_fixed_size 16
		.amdhsa_kernarg_size 464
		.amdhsa_user_sgpr_count 2
		.amdhsa_user_sgpr_dispatch_ptr 0
		.amdhsa_user_sgpr_queue_ptr 0
		.amdhsa_user_sgpr_kernarg_segment_ptr 1
		.amdhsa_user_sgpr_dispatch_id 0
		.amdhsa_user_sgpr_kernarg_preload_length 0
		.amdhsa_user_sgpr_kernarg_preload_offset 0
		.amdhsa_user_sgpr_private_segment_size 0
		.amdhsa_uses_dynamic_stack 0
		.amdhsa_enable_private_segment 1
		.amdhsa_system_sgpr_workgroup_id_x 1
		.amdhsa_system_sgpr_workgroup_id_y 0
		.amdhsa_system_sgpr_workgroup_id_z 0
		.amdhsa_system_sgpr_workgroup_info 0
		.amdhsa_system_vgpr_workitem_id 0
		.amdhsa_next_free_vgpr 50
		.amdhsa_next_free_sgpr 34
		.amdhsa_accum_offset 52
		.amdhsa_reserve_vcc 1
		.amdhsa_float_round_mode_32 0
		.amdhsa_float_round_mode_16_64 0
		.amdhsa_float_denorm_mode_32 3
		.amdhsa_float_denorm_mode_16_64 3
		.amdhsa_dx10_clamp 1
		.amdhsa_ieee_mode 1
		.amdhsa_fp16_overflow 0
		.amdhsa_tg_split 0
		.amdhsa_exception_fp_ieee_invalid_op 0
		.amdhsa_exception_fp_denorm_src 0
		.amdhsa_exception_fp_ieee_div_zero 0
		.amdhsa_exception_fp_ieee_overflow 0
		.amdhsa_exception_fp_ieee_underflow 0
		.amdhsa_exception_fp_ieee_inexact 0
		.amdhsa_exception_int_div_zero 0
	.end_amdhsa_kernel
	.section	.text._ZL18flash_attn_ext_f16ILi112ELi112ELi8ELi8ELb1ELb0EEvPKcS1_S1_S1_S1_PKiPfP15HIP_vector_typeIfLj2EEffffjfiS5_IjLj3EEiiiiiiiiiiiliiliiiiil,"axG",@progbits,_ZL18flash_attn_ext_f16ILi112ELi112ELi8ELi8ELb1ELb0EEvPKcS1_S1_S1_S1_PKiPfP15HIP_vector_typeIfLj2EEffffjfiS5_IjLj3EEiiiiiiiiiiiliiliiiiil,comdat
.Lfunc_end20:
	.size	_ZL18flash_attn_ext_f16ILi112ELi112ELi8ELi8ELb1ELb0EEvPKcS1_S1_S1_S1_PKiPfP15HIP_vector_typeIfLj2EEffffjfiS5_IjLj3EEiiiiiiiiiiiliiliiiiil, .Lfunc_end20-_ZL18flash_attn_ext_f16ILi112ELi112ELi8ELi8ELb1ELb0EEvPKcS1_S1_S1_S1_PKiPfP15HIP_vector_typeIfLj2EEffffjfiS5_IjLj3EEiiiiiiiiiiiliiliiiiil
                                        ; -- End function
	.set _ZL18flash_attn_ext_f16ILi112ELi112ELi8ELi8ELb1ELb0EEvPKcS1_S1_S1_S1_PKiPfP15HIP_vector_typeIfLj2EEffffjfiS5_IjLj3EEiiiiiiiiiiiliiliiiiil.num_vgpr, max(1, .L_ZL14no_device_codePKciS0_iS0_.num_vgpr)
	.set _ZL18flash_attn_ext_f16ILi112ELi112ELi8ELi8ELb1ELb0EEvPKcS1_S1_S1_S1_PKiPfP15HIP_vector_typeIfLj2EEffffjfiS5_IjLj3EEiiiiiiiiiiiliiliiiiil.num_agpr, max(0, .L_ZL14no_device_codePKciS0_iS0_.num_agpr)
	.set _ZL18flash_attn_ext_f16ILi112ELi112ELi8ELi8ELb1ELb0EEvPKcS1_S1_S1_S1_PKiPfP15HIP_vector_typeIfLj2EEffffjfiS5_IjLj3EEiiiiiiiiiiiliiliiiiil.numbered_sgpr, max(33, .L_ZL14no_device_codePKciS0_iS0_.numbered_sgpr)
	.set _ZL18flash_attn_ext_f16ILi112ELi112ELi8ELi8ELb1ELb0EEvPKcS1_S1_S1_S1_PKiPfP15HIP_vector_typeIfLj2EEffffjfiS5_IjLj3EEiiiiiiiiiiiliiliiiiil.num_named_barrier, max(0, .L_ZL14no_device_codePKciS0_iS0_.num_named_barrier)
	.set _ZL18flash_attn_ext_f16ILi112ELi112ELi8ELi8ELb1ELb0EEvPKcS1_S1_S1_S1_PKiPfP15HIP_vector_typeIfLj2EEffffjfiS5_IjLj3EEiiiiiiiiiiiliiliiiiil.private_seg_size, 0+max(.L_ZL14no_device_codePKciS0_iS0_.private_seg_size)
	.set _ZL18flash_attn_ext_f16ILi112ELi112ELi8ELi8ELb1ELb0EEvPKcS1_S1_S1_S1_PKiPfP15HIP_vector_typeIfLj2EEffffjfiS5_IjLj3EEiiiiiiiiiiiliiliiiiil.uses_vcc, or(1, .L_ZL14no_device_codePKciS0_iS0_.uses_vcc)
	.set _ZL18flash_attn_ext_f16ILi112ELi112ELi8ELi8ELb1ELb0EEvPKcS1_S1_S1_S1_PKiPfP15HIP_vector_typeIfLj2EEffffjfiS5_IjLj3EEiiiiiiiiiiiliiliiiiil.uses_flat_scratch, or(0, .L_ZL14no_device_codePKciS0_iS0_.uses_flat_scratch)
	.set _ZL18flash_attn_ext_f16ILi112ELi112ELi8ELi8ELb1ELb0EEvPKcS1_S1_S1_S1_PKiPfP15HIP_vector_typeIfLj2EEffffjfiS5_IjLj3EEiiiiiiiiiiiliiliiiiil.has_dyn_sized_stack, or(0, .L_ZL14no_device_codePKciS0_iS0_.has_dyn_sized_stack)
	.set _ZL18flash_attn_ext_f16ILi112ELi112ELi8ELi8ELb1ELb0EEvPKcS1_S1_S1_S1_PKiPfP15HIP_vector_typeIfLj2EEffffjfiS5_IjLj3EEiiiiiiiiiiiliiliiiiil.has_recursion, or(0, .L_ZL14no_device_codePKciS0_iS0_.has_recursion)
	.set _ZL18flash_attn_ext_f16ILi112ELi112ELi8ELi8ELb1ELb0EEvPKcS1_S1_S1_S1_PKiPfP15HIP_vector_typeIfLj2EEffffjfiS5_IjLj3EEiiiiiiiiiiiliiliiiiil.has_indirect_call, or(0, .L_ZL14no_device_codePKciS0_iS0_.has_indirect_call)
	.section	.AMDGPU.csdata,"",@progbits
; Kernel info:
; codeLenInByte = 48
; TotalNumSgprs: 40
; NumVgprs: 50
; NumAgprs: 0
; TotalNumVgprs: 50
; ScratchSize: 16
; MemoryBound: 0
; FloatMode: 240
; IeeeMode: 1
; LDSByteSize: 0 bytes/workgroup (compile time only)
; SGPRBlocks: 4
; VGPRBlocks: 6
; NumSGPRsForWavesPerEU: 40
; NumVGPRsForWavesPerEU: 50
; AccumOffset: 52
; Occupancy: 8
; WaveLimiterHint : 1
; COMPUTE_PGM_RSRC2:SCRATCH_EN: 1
; COMPUTE_PGM_RSRC2:USER_SGPR: 2
; COMPUTE_PGM_RSRC2:TRAP_HANDLER: 0
; COMPUTE_PGM_RSRC2:TGID_X_EN: 1
; COMPUTE_PGM_RSRC2:TGID_Y_EN: 0
; COMPUTE_PGM_RSRC2:TGID_Z_EN: 0
; COMPUTE_PGM_RSRC2:TIDIG_COMP_CNT: 0
; COMPUTE_PGM_RSRC3_GFX90A:ACCUM_OFFSET: 12
; COMPUTE_PGM_RSRC3_GFX90A:TG_SPLIT: 0
	.section	.text._ZL33flash_attn_stream_k_fixup_uniformILi112ELi8ELi8EEvPfPK15HIP_vector_typeIfLj2EEiiiiiiS1_IjLj3EES5_S5_,"axG",@progbits,_ZL33flash_attn_stream_k_fixup_uniformILi112ELi8ELi8EEvPfPK15HIP_vector_typeIfLj2EEiiiiiiS1_IjLj3EES5_S5_,comdat
	.globl	_ZL33flash_attn_stream_k_fixup_uniformILi112ELi8ELi8EEvPfPK15HIP_vector_typeIfLj2EEiiiiiiS1_IjLj3EES5_S5_ ; -- Begin function _ZL33flash_attn_stream_k_fixup_uniformILi112ELi8ELi8EEvPfPK15HIP_vector_typeIfLj2EEiiiiiiS1_IjLj3EES5_S5_
	.p2align	8
	.type	_ZL33flash_attn_stream_k_fixup_uniformILi112ELi8ELi8EEvPfPK15HIP_vector_typeIfLj2EEiiiiiiS1_IjLj3EES5_S5_,@function
_ZL33flash_attn_stream_k_fixup_uniformILi112ELi8ELi8EEvPfPK15HIP_vector_typeIfLj2EEiiiiiiS1_IjLj3EES5_S5_: ; @_ZL33flash_attn_stream_k_fixup_uniformILi112ELi8ELi8EEvPfPK15HIP_vector_typeIfLj2EEiiiiiiS1_IjLj3EES5_S5_
; %bb.0:
	s_load_dwordx8 s[8:15], s[0:1], 0x1c
	s_load_dwordx2 s[6:7], s[0:1], 0x10
	s_load_dwordx4 s[16:19], s[0:1], 0x3c
	s_waitcnt lgkmcnt(0)
	s_mul_hi_u32 s5, s11, s2
	s_add_i32 s5, s2, s5
	s_lshr_b32 s5, s5, s12
	s_mul_i32 s11, s5, s13
	s_sub_i32 s12, s2, s11
	s_mul_hi_u32 s11, s12, s14
	s_add_i32 s11, s12, s11
	s_lshr_b32 s11, s11, s15
	s_mul_i32 s13, s11, s16
	s_sub_i32 s12, s12, s13
	s_mul_hi_u32 s13, s12, s17
	s_add_i32 s13, s12, s13
	s_lshr_b32 s13, s13, s18
	s_mul_i32 s14, s13, s19
	s_sub_i32 s16, s12, s14
	s_lshl_b32 s12, s16, 3
	s_lshl_b32 s17, s13, 3
	s_add_i32 s12, s12, s3
	s_cmp_lt_i32 s12, s6
	s_cselect_b64 s[12:13], -1, 0
	s_add_i32 s17, s17, s4
	s_cmp_lt_i32 s17, s9
	s_cselect_b64 s[14:15], -1, 0
	s_and_b64 s[12:13], s[12:13], s[14:15]
	s_andn2_b64 vcc, exec, s[12:13]
	s_cbranch_vccnz .LBB21_6
; %bb.1:
	s_load_dwordx4 s[12:15], s[0:1], 0x0
	s_mul_i32 s0, s5, s6
	s_mul_i32 s11, s11, s9
	s_add_i32 s0, s0, s3
	s_mul_i32 s0, s0, s7
	s_add_i32 s5, s17, s11
	;; [unrolled: 2-line block ×3, first 2 shown]
	s_mulk_i32 s1, 0x380
	s_mulk_i32 s0, 0x70
	s_add_i32 s0, s0, s1
	v_add_u32_e32 v4, s0, v0
	s_waitcnt lgkmcnt(0)
	v_mov_b32_e32 v2, s12
	v_mov_b32_e32 v3, s13
	v_ashrrev_i32_e32 v5, 31, v4
	v_lshl_add_u64 v[2:3], v[4:5], 2, v[2:3]
	global_load_dword v5, v[2:3], off
	s_mul_i32 s5, s10, s2
	s_lshl_b32 s11, s3, 3
	s_add_i32 s9, s5, s10
	s_add_i32 s0, s11, s4
	s_lshl_b32 s1, s9, 6
	s_add_i32 s0, s0, s1
	s_sub_i32 s0, s0, 64
	s_ashr_i32 s1, s0, 31
	s_lshl_b64 s[0:1], s[0:1], 3
	s_add_u32 s0, s14, s0
	s_addc_u32 s1, s15, s1
	s_load_dword s12, s[0:1], 0x4
	s_add_i32 s6, s9, -2
	s_cmp_lt_i32 s6, s5
	s_cbranch_scc1 .LBB21_4
; %bb.2:
	s_lshl_b32 s6, s8, 8
	s_ashr_i32 s7, s6, 31
	s_lshl_b64 s[6:7], s[6:7], 2
	s_add_u32 s6, s14, s6
	s_addc_u32 s7, s15, s7
	s_add_i32 s2, s2, 1
	s_load_dword s0, s[0:1], 0x0
	s_mul_i32 s1, s10, s2
	s_lshl_b32 s2, s1, 6
	s_add_i32 s2, s4, s2
	s_mulk_i32 s3, 0x380
	s_mulk_i32 s4, 0x70
	s_lshl_b32 s8, s8, 6
	s_mulk_i32 s1, 0x1c00
	s_add_i32 s3, s4, s3
	s_add_i32 s2, s2, s8
	;; [unrolled: 1-line block ×4, first 2 shown]
	v_add_u32_e32 v0, s3, v0
	s_add_i32 s9, s9, -1
	s_addk_i32 s2, 0xff80
	v_add_u32_e32 v0, 0xffffc800, v0
	s_waitcnt lgkmcnt(0)
	v_mov_b32_e32 v7, s0
	v_mov_b32_e32 v4, s12
	s_mov_b32 s4, 0x3fb8aa3b
	s_mov_b32 s8, 0xc2ce8ed0
	;; [unrolled: 1-line block ×3, first 2 shown]
	v_mov_b32_e32 v6, 0x7f800000
	s_mov_b32 s11, 0xc1a00000
.LBB21_3:                               ; =>This Inner Loop Header: Depth=1
	v_ashrrev_i32_e32 v1, 31, v0
	v_lshl_add_u64 v[8:9], v[0:1], 2, s[6:7]
	global_load_dword v9, v[8:9], off
	s_ashr_i32 s3, s2, 31
	s_lshl_b64 s[0:1], s[2:3], 3
	s_add_u32 s0, s14, s0
	s_addc_u32 s1, s15, s1
	s_load_dwordx2 s[0:1], s[0:1], 0x0
	v_max_f32_e32 v1, v7, v7
	s_add_i32 s9, s9, -1
	s_sub_i32 s2, s2, 64
	v_add_u32_e32 v0, 0xffffe400, v0
	s_waitcnt lgkmcnt(0)
	v_max_f32_e64 v10, s0, s0
	v_max_f32_e32 v1, v1, v10
	v_sub_f32_e32 v11, s0, v1
	v_sub_f32_e32 v10, v7, v1
	v_mul_f32_e32 v12, 0x3fb8aa3b, v11
	v_mov_b32_e32 v7, v1
	v_mul_f32_e32 v1, 0x3fb8aa3b, v10
	v_fma_f32 v15, v11, s4, -v12
	v_rndne_f32_e32 v16, v12
	v_fma_f32 v13, v10, s4, -v1
	v_rndne_f32_e32 v14, v1
	v_fmac_f32_e32 v15, 0x32a5705f, v11
	v_sub_f32_e32 v12, v12, v16
	v_fmac_f32_e32 v13, 0x32a5705f, v10
	v_sub_f32_e32 v1, v1, v14
	v_add_f32_e32 v12, v12, v15
	v_cvt_i32_f32_e32 v16, v16
	v_add_f32_e32 v1, v1, v13
	v_exp_f32_e32 v12, v12
	v_cvt_i32_f32_e32 v14, v14
	v_exp_f32_e32 v1, v1
	v_cmp_ngt_f32_e32 vcc, s8, v11
	v_ldexp_f32 v12, v12, v16
	v_mov_b32_e32 v8, s1
	v_ldexp_f32 v1, v1, v14
	v_cmp_ngt_f32_e64 s[0:1], s8, v10
	v_cndmask_b32_e32 v12, 0, v12, vcc
	v_cmp_nlt_f32_e32 vcc, s10, v11
	v_cndmask_b32_e64 v1, 0, v1, s[0:1]
	v_cmp_nlt_f32_e64 s[0:1], s10, v10
	v_cndmask_b32_e32 v12, v6, v12, vcc
	v_cmp_le_f32_e32 vcc, s11, v11
	v_cndmask_b32_e64 v1, v6, v1, s[0:1]
	v_cmp_le_f32_e64 s[0:1], s11, v10
	v_cndmask_b32_e32 v12, 0, v12, vcc
	s_cmp_le_i32 s9, s5
	v_cndmask_b32_e64 v10, 0, v1, s[0:1]
	s_waitcnt vmcnt(0)
	v_pk_mul_f32 v[8:9], v[8:9], v[12:13] op_sel_hi:[1,0]
	s_nop 0
	v_pk_fma_f32 v[4:5], v[4:5], v[10:11], v[8:9] op_sel_hi:[1,0,1]
	s_cbranch_scc0 .LBB21_3
	s_branch .LBB21_5
.LBB21_4:
	s_waitcnt lgkmcnt(0)
	v_mov_b32_e32 v4, s12
.LBB21_5:
	s_waitcnt vmcnt(0)
	v_div_scale_f32 v0, s[0:1], v4, v4, v5
	v_rcp_f32_e32 v1, v0
	v_div_scale_f32 v6, vcc, v5, v4, v5
	v_fma_f32 v7, -v0, v1, 1.0
	v_fmac_f32_e32 v1, v7, v1
	v_mul_f32_e32 v7, v6, v1
	v_fma_f32 v8, -v0, v7, v6
	v_fmac_f32_e32 v7, v8, v1
	v_fma_f32 v0, -v0, v7, v6
	v_div_fmas_f32 v0, v0, v1, v7
	v_div_fixup_f32 v0, v0, v4, v5
	global_store_dword v[2:3], v0, off
.LBB21_6:
	s_endpgm
	.section	.rodata,"a",@progbits
	.p2align	6, 0x0
	.amdhsa_kernel _ZL33flash_attn_stream_k_fixup_uniformILi112ELi8ELi8EEvPfPK15HIP_vector_typeIfLj2EEiiiiiiS1_IjLj3EES5_S5_
		.amdhsa_group_segment_fixed_size 0
		.amdhsa_private_segment_fixed_size 0
		.amdhsa_kernarg_size 76
		.amdhsa_user_sgpr_count 2
		.amdhsa_user_sgpr_dispatch_ptr 0
		.amdhsa_user_sgpr_queue_ptr 0
		.amdhsa_user_sgpr_kernarg_segment_ptr 1
		.amdhsa_user_sgpr_dispatch_id 0
		.amdhsa_user_sgpr_kernarg_preload_length 0
		.amdhsa_user_sgpr_kernarg_preload_offset 0
		.amdhsa_user_sgpr_private_segment_size 0
		.amdhsa_uses_dynamic_stack 0
		.amdhsa_enable_private_segment 0
		.amdhsa_system_sgpr_workgroup_id_x 1
		.amdhsa_system_sgpr_workgroup_id_y 1
		.amdhsa_system_sgpr_workgroup_id_z 1
		.amdhsa_system_sgpr_workgroup_info 0
		.amdhsa_system_vgpr_workitem_id 0
		.amdhsa_next_free_vgpr 17
		.amdhsa_next_free_sgpr 20
		.amdhsa_accum_offset 20
		.amdhsa_reserve_vcc 1
		.amdhsa_float_round_mode_32 0
		.amdhsa_float_round_mode_16_64 0
		.amdhsa_float_denorm_mode_32 3
		.amdhsa_float_denorm_mode_16_64 3
		.amdhsa_dx10_clamp 1
		.amdhsa_ieee_mode 1
		.amdhsa_fp16_overflow 0
		.amdhsa_tg_split 0
		.amdhsa_exception_fp_ieee_invalid_op 0
		.amdhsa_exception_fp_denorm_src 0
		.amdhsa_exception_fp_ieee_div_zero 0
		.amdhsa_exception_fp_ieee_overflow 0
		.amdhsa_exception_fp_ieee_underflow 0
		.amdhsa_exception_fp_ieee_inexact 0
		.amdhsa_exception_int_div_zero 0
	.end_amdhsa_kernel
	.section	.text._ZL33flash_attn_stream_k_fixup_uniformILi112ELi8ELi8EEvPfPK15HIP_vector_typeIfLj2EEiiiiiiS1_IjLj3EES5_S5_,"axG",@progbits,_ZL33flash_attn_stream_k_fixup_uniformILi112ELi8ELi8EEvPfPK15HIP_vector_typeIfLj2EEiiiiiiS1_IjLj3EES5_S5_,comdat
.Lfunc_end21:
	.size	_ZL33flash_attn_stream_k_fixup_uniformILi112ELi8ELi8EEvPfPK15HIP_vector_typeIfLj2EEiiiiiiS1_IjLj3EES5_S5_, .Lfunc_end21-_ZL33flash_attn_stream_k_fixup_uniformILi112ELi8ELi8EEvPfPK15HIP_vector_typeIfLj2EEiiiiiiS1_IjLj3EES5_S5_
                                        ; -- End function
	.set _ZL33flash_attn_stream_k_fixup_uniformILi112ELi8ELi8EEvPfPK15HIP_vector_typeIfLj2EEiiiiiiS1_IjLj3EES5_S5_.num_vgpr, 17
	.set _ZL33flash_attn_stream_k_fixup_uniformILi112ELi8ELi8EEvPfPK15HIP_vector_typeIfLj2EEiiiiiiS1_IjLj3EES5_S5_.num_agpr, 0
	.set _ZL33flash_attn_stream_k_fixup_uniformILi112ELi8ELi8EEvPfPK15HIP_vector_typeIfLj2EEiiiiiiS1_IjLj3EES5_S5_.numbered_sgpr, 20
	.set _ZL33flash_attn_stream_k_fixup_uniformILi112ELi8ELi8EEvPfPK15HIP_vector_typeIfLj2EEiiiiiiS1_IjLj3EES5_S5_.num_named_barrier, 0
	.set _ZL33flash_attn_stream_k_fixup_uniformILi112ELi8ELi8EEvPfPK15HIP_vector_typeIfLj2EEiiiiiiS1_IjLj3EES5_S5_.private_seg_size, 0
	.set _ZL33flash_attn_stream_k_fixup_uniformILi112ELi8ELi8EEvPfPK15HIP_vector_typeIfLj2EEiiiiiiS1_IjLj3EES5_S5_.uses_vcc, 1
	.set _ZL33flash_attn_stream_k_fixup_uniformILi112ELi8ELi8EEvPfPK15HIP_vector_typeIfLj2EEiiiiiiS1_IjLj3EES5_S5_.uses_flat_scratch, 0
	.set _ZL33flash_attn_stream_k_fixup_uniformILi112ELi8ELi8EEvPfPK15HIP_vector_typeIfLj2EEiiiiiiS1_IjLj3EES5_S5_.has_dyn_sized_stack, 0
	.set _ZL33flash_attn_stream_k_fixup_uniformILi112ELi8ELi8EEvPfPK15HIP_vector_typeIfLj2EEiiiiiiS1_IjLj3EES5_S5_.has_recursion, 0
	.set _ZL33flash_attn_stream_k_fixup_uniformILi112ELi8ELi8EEvPfPK15HIP_vector_typeIfLj2EEiiiiiiS1_IjLj3EES5_S5_.has_indirect_call, 0
	.section	.AMDGPU.csdata,"",@progbits
; Kernel info:
; codeLenInByte = 832
; TotalNumSgprs: 26
; NumVgprs: 17
; NumAgprs: 0
; TotalNumVgprs: 17
; ScratchSize: 0
; MemoryBound: 0
; FloatMode: 240
; IeeeMode: 1
; LDSByteSize: 0 bytes/workgroup (compile time only)
; SGPRBlocks: 3
; VGPRBlocks: 2
; NumSGPRsForWavesPerEU: 26
; NumVGPRsForWavesPerEU: 17
; AccumOffset: 20
; Occupancy: 8
; WaveLimiterHint : 0
; COMPUTE_PGM_RSRC2:SCRATCH_EN: 0
; COMPUTE_PGM_RSRC2:USER_SGPR: 2
; COMPUTE_PGM_RSRC2:TRAP_HANDLER: 0
; COMPUTE_PGM_RSRC2:TGID_X_EN: 1
; COMPUTE_PGM_RSRC2:TGID_Y_EN: 1
; COMPUTE_PGM_RSRC2:TGID_Z_EN: 1
; COMPUTE_PGM_RSRC2:TIDIG_COMP_CNT: 0
; COMPUTE_PGM_RSRC3_GFX90A:ACCUM_OFFSET: 4
; COMPUTE_PGM_RSRC3_GFX90A:TG_SPLIT: 0
	.section	.text._ZL33flash_attn_stream_k_fixup_generalILi112ELi8ELi8EEvPfPK15HIP_vector_typeIfLj2EEiiiiS1_IjLj3EES5_S5_S5_,"axG",@progbits,_ZL33flash_attn_stream_k_fixup_generalILi112ELi8ELi8EEvPfPK15HIP_vector_typeIfLj2EEiiiiS1_IjLj3EES5_S5_S5_,comdat
	.globl	_ZL33flash_attn_stream_k_fixup_generalILi112ELi8ELi8EEvPfPK15HIP_vector_typeIfLj2EEiiiiS1_IjLj3EES5_S5_S5_ ; -- Begin function _ZL33flash_attn_stream_k_fixup_generalILi112ELi8ELi8EEvPfPK15HIP_vector_typeIfLj2EEiiiiS1_IjLj3EES5_S5_S5_
	.p2align	8
	.type	_ZL33flash_attn_stream_k_fixup_generalILi112ELi8ELi8EEvPfPK15HIP_vector_typeIfLj2EEiiiiS1_IjLj3EES5_S5_S5_,@function
_ZL33flash_attn_stream_k_fixup_generalILi112ELi8ELi8EEvPfPK15HIP_vector_typeIfLj2EEiiiiS1_IjLj3EES5_S5_S5_: ; @_ZL33flash_attn_stream_k_fixup_generalILi112ELi8ELi8EEvPfPK15HIP_vector_typeIfLj2EEiiiiS1_IjLj3EES5_S5_S5_
; %bb.0:
	s_load_dwordx4 s[8:11], s[0:1], 0x10
	s_load_dword s22, s[0:1], 0x50
	s_mov_b32 s12, 0
	s_waitcnt lgkmcnt(0)
	s_mul_hi_i32 s13, s11, s2
	s_cmp_lg_u64 s[12:13], 0
	s_mul_i32 s5, s11, s2
	s_cbranch_scc0 .LBB22_20
; %bb.1:
	s_add_u32 s6, s22, 0
	s_addc_u32 s7, 0, 0
	s_xor_b64 s[6:7], s[6:7], 0
	v_cvt_f32_u32_e32 v1, s6
	v_cvt_f32_u32_e32 v2, s7
	s_sub_u32 s12, 0, s6
	s_subb_u32 s18, 0, s7
	v_fmamk_f32 v1, v2, 0x4f800000, v1
	v_rcp_f32_e32 v1, v1
	s_nop 0
	v_mul_f32_e32 v1, 0x5f7ffffc, v1
	v_mul_f32_e32 v2, 0x2f800000, v1
	v_trunc_f32_e32 v2, v2
	v_fmamk_f32 v1, v2, 0xcf800000, v1
	v_cvt_u32_f32_e32 v2, v2
	v_cvt_u32_f32_e32 v1, v1
	v_readfirstlane_b32 s19, v2
	v_readfirstlane_b32 s14, v1
	s_mul_i32 s15, s12, s19
	s_mul_hi_u32 s21, s12, s14
	s_mul_i32 s20, s18, s14
	s_add_i32 s15, s21, s15
	s_add_i32 s15, s15, s20
	s_mul_i32 s23, s12, s14
	s_mul_i32 s21, s14, s15
	s_mul_hi_u32 s24, s14, s23
	s_mul_hi_u32 s20, s14, s15
	s_add_u32 s21, s24, s21
	s_addc_u32 s20, 0, s20
	s_mul_hi_u32 s25, s19, s23
	s_mul_i32 s23, s19, s23
	s_add_u32 s21, s21, s23
	s_mul_hi_u32 s24, s19, s15
	s_addc_u32 s20, s20, s25
	s_addc_u32 s21, s24, 0
	s_mul_i32 s15, s19, s15
	s_add_u32 s15, s20, s15
	s_addc_u32 s20, 0, s21
	s_add_u32 s21, s14, s15
	s_cselect_b64 s[14:15], -1, 0
	s_cmp_lg_u64 s[14:15], 0
	s_addc_u32 s19, s19, s20
	s_mul_i32 s14, s12, s19
	s_mul_hi_u32 s15, s12, s21
	s_add_i32 s14, s15, s14
	s_mul_i32 s18, s18, s21
	s_add_i32 s14, s14, s18
	s_mul_i32 s12, s12, s21
	s_mul_hi_u32 s18, s19, s12
	s_mul_i32 s20, s19, s12
	s_mul_i32 s24, s21, s14
	s_mul_hi_u32 s12, s21, s12
	s_mul_hi_u32 s23, s21, s14
	s_add_u32 s12, s12, s24
	s_addc_u32 s23, 0, s23
	s_add_u32 s12, s12, s20
	s_mul_hi_u32 s15, s19, s14
	s_addc_u32 s12, s23, s18
	s_addc_u32 s15, s15, 0
	s_mul_i32 s14, s19, s14
	s_add_u32 s12, s12, s14
	s_addc_u32 s18, 0, s15
	s_add_u32 s20, s21, s12
	s_cselect_b64 s[14:15], -1, 0
	s_cmp_lg_u64 s[14:15], 0
	s_addc_u32 s18, s19, s18
	s_ashr_i32 s14, s13, 31
	s_add_u32 s12, s5, s14
	s_mov_b32 s15, s14
	s_addc_u32 s13, s13, s14
	s_xor_b64 s[12:13], s[12:13], s[14:15]
	s_mul_i32 s21, s12, s18
	s_mul_hi_u32 s23, s12, s20
	s_mul_hi_u32 s19, s12, s18
	s_add_u32 s21, s23, s21
	s_addc_u32 s19, 0, s19
	s_mul_hi_u32 s24, s13, s20
	s_mul_i32 s20, s13, s20
	s_add_u32 s20, s21, s20
	s_mul_hi_u32 s23, s13, s18
	s_addc_u32 s19, s19, s24
	s_addc_u32 s20, s23, 0
	s_mul_i32 s18, s13, s18
	s_add_u32 s23, s19, s18
	s_addc_u32 s24, 0, s20
	s_mul_i32 s18, s6, s24
	s_mul_hi_u32 s19, s6, s23
	s_add_i32 s18, s19, s18
	s_mul_i32 s19, s7, s23
	s_add_i32 s25, s18, s19
	s_sub_i32 s20, s13, s25
	s_mul_i32 s18, s6, s23
	s_sub_u32 s12, s12, s18
	s_cselect_b64 s[18:19], -1, 0
	s_cmp_lg_u64 s[18:19], 0
	s_subb_u32 s26, s20, s7
	s_sub_u32 s27, s12, s6
	s_cselect_b64 s[20:21], -1, 0
	s_cmp_lg_u64 s[20:21], 0
	s_subb_u32 s20, s26, 0
	s_cmp_ge_u32 s20, s7
	s_cselect_b32 s21, -1, 0
	s_cmp_ge_u32 s27, s6
	s_cselect_b32 s26, -1, 0
	s_cmp_eq_u32 s20, s7
	s_cselect_b32 s20, s26, s21
	s_add_u32 s21, s23, 1
	s_addc_u32 s26, s24, 0
	s_add_u32 s27, s23, 2
	s_addc_u32 s28, s24, 0
	s_cmp_lg_u32 s20, 0
	s_cselect_b32 s20, s27, s21
	s_cselect_b32 s21, s28, s26
	s_cmp_lg_u64 s[18:19], 0
	s_subb_u32 s13, s13, s25
	s_cmp_ge_u32 s13, s7
	s_cselect_b32 s18, -1, 0
	s_cmp_ge_u32 s12, s6
	s_cselect_b32 s6, -1, 0
	s_cmp_eq_u32 s13, s7
	s_cselect_b32 s6, s6, s18
	s_cmp_lg_u32 s6, 0
	s_cselect_b32 s7, s21, s24
	s_cselect_b32 s6, s20, s23
	s_xor_b64 s[12:13], s[14:15], 0
	s_xor_b64 s[6:7], s[6:7], s[12:13]
	s_sub_u32 s6, s6, s12
	s_load_dwordx4 s[12:15], s[0:1], 0x44
	s_cbranch_execnz .LBB22_3
.LBB22_2:
	v_cvt_f32_u32_e32 v1, s22
	s_sub_i32 s6, 0, s22
	v_rcp_iflag_f32_e32 v1, v1
	s_nop 0
	v_mul_f32_e32 v1, 0x4f7ffffe, v1
	v_cvt_u32_f32_e32 v1, v1
	s_nop 0
	v_readfirstlane_b32 s7, v1
	s_mul_i32 s6, s6, s7
	s_mul_hi_u32 s6, s7, s6
	s_add_i32 s7, s7, s6
	s_mul_hi_u32 s6, s5, s7
	s_waitcnt lgkmcnt(0)
	s_mul_i32 s15, s6, s22
	s_sub_i32 s5, s5, s15
	s_add_i32 s7, s6, 1
	s_sub_i32 s15, s5, s22
	s_cmp_ge_u32 s5, s22
	s_cselect_b32 s6, s7, s6
	s_cselect_b32 s5, s15, s5
	s_add_i32 s7, s6, 1
	s_cmp_ge_u32 s5, s22
	s_cselect_b32 s6, s7, s6
.LBB22_3:
	s_add_i32 s5, s2, 1
	s_mul_hi_i32 s21, s11, s5
	s_mov_b32 s20, 0
	s_cmp_lg_u64 s[20:21], 0
	s_mul_i32 s5, s11, s5
	s_cbranch_scc0 .LBB22_21
; %bb.4:
	s_add_u32 s16, s22, 0
	s_addc_u32 s17, 0, 0
	s_xor_b64 s[18:19], s[16:17], 0
	v_cvt_f32_u32_e32 v1, s18
	v_cvt_f32_u32_e32 v2, s19
	s_sub_u32 s7, 0, s18
	s_waitcnt lgkmcnt(0)
	s_subb_u32 s15, 0, s19
	v_fmamk_f32 v1, v2, 0x4f800000, v1
	v_rcp_f32_e32 v1, v1
	s_nop 0
	v_mul_f32_e32 v1, 0x5f7ffffc, v1
	v_mul_f32_e32 v2, 0x2f800000, v1
	v_trunc_f32_e32 v2, v2
	v_fmamk_f32 v1, v2, 0xcf800000, v1
	v_cvt_u32_f32_e32 v2, v2
	v_cvt_u32_f32_e32 v1, v1
	v_readfirstlane_b32 s20, v2
	v_readfirstlane_b32 s23, v1
	s_mul_i32 s24, s7, s20
	s_mul_hi_u32 s26, s7, s23
	s_mul_i32 s25, s15, s23
	s_add_i32 s24, s26, s24
	s_add_i32 s24, s24, s25
	s_mul_i32 s27, s7, s23
	s_mul_i32 s26, s23, s24
	s_mul_hi_u32 s28, s23, s27
	s_mul_hi_u32 s25, s23, s24
	s_add_u32 s26, s28, s26
	s_addc_u32 s25, 0, s25
	s_mul_hi_u32 s29, s20, s27
	s_mul_i32 s27, s20, s27
	s_add_u32 s26, s26, s27
	s_mul_hi_u32 s28, s20, s24
	s_addc_u32 s25, s25, s29
	s_addc_u32 s26, s28, 0
	s_mul_i32 s24, s20, s24
	s_add_u32 s24, s25, s24
	s_addc_u32 s26, 0, s26
	s_add_u32 s23, s23, s24
	s_cselect_b64 s[24:25], -1, 0
	s_cmp_lg_u64 s[24:25], 0
	s_addc_u32 s20, s20, s26
	s_mul_i32 s24, s7, s20
	s_mul_hi_u32 s25, s7, s23
	s_add_i32 s24, s25, s24
	s_mul_i32 s15, s15, s23
	s_add_i32 s24, s24, s15
	s_mul_i32 s7, s7, s23
	s_mul_hi_u32 s25, s20, s7
	s_mul_i32 s26, s20, s7
	s_mul_i32 s28, s23, s24
	s_mul_hi_u32 s7, s23, s7
	s_mul_hi_u32 s27, s23, s24
	s_add_u32 s7, s7, s28
	s_addc_u32 s27, 0, s27
	s_add_u32 s7, s7, s26
	s_mul_hi_u32 s15, s20, s24
	s_addc_u32 s7, s27, s25
	s_addc_u32 s15, s15, 0
	s_mul_i32 s24, s20, s24
	s_add_u32 s7, s7, s24
	s_addc_u32 s15, 0, s15
	s_add_u32 s7, s23, s7
	s_cselect_b64 s[24:25], -1, 0
	s_cmp_lg_u64 s[24:25], 0
	s_addc_u32 s15, s20, s15
	s_ashr_i32 s24, s21, 31
	s_add_u32 s20, s5, s24
	s_mov_b32 s25, s24
	s_addc_u32 s21, s21, s24
	s_xor_b64 s[20:21], s[20:21], s[24:25]
	s_mul_i32 s26, s20, s15
	s_mul_hi_u32 s27, s20, s7
	s_mul_hi_u32 s23, s20, s15
	s_add_u32 s26, s27, s26
	s_addc_u32 s23, 0, s23
	s_mul_hi_u32 s28, s21, s7
	s_mul_i32 s7, s21, s7
	s_add_u32 s7, s26, s7
	s_mul_hi_u32 s27, s21, s15
	s_addc_u32 s7, s23, s28
	s_addc_u32 s23, s27, 0
	s_mul_i32 s15, s21, s15
	s_add_u32 s7, s7, s15
	s_addc_u32 s15, 0, s23
	s_mul_i32 s23, s18, s15
	s_mul_hi_u32 s26, s18, s7
	s_add_i32 s23, s26, s23
	s_mul_i32 s26, s19, s7
	s_add_i32 s23, s23, s26
	s_sub_i32 s28, s21, s23
	s_mul_i32 s26, s18, s7
	s_sub_u32 s20, s20, s26
	s_cselect_b64 s[26:27], -1, 0
	s_cmp_lg_u64 s[26:27], 0
	s_subb_u32 s30, s28, s19
	s_sub_u32 s31, s20, s18
	s_cselect_b64 s[28:29], -1, 0
	s_cmp_lg_u64 s[28:29], 0
	s_subb_u32 s28, s30, 0
	s_cmp_ge_u32 s28, s19
	s_cselect_b32 s29, -1, 0
	s_cmp_ge_u32 s31, s18
	s_cselect_b32 s30, -1, 0
	s_cmp_eq_u32 s28, s19
	s_cselect_b32 s28, s30, s29
	s_add_u32 s29, s7, 1
	s_addc_u32 s30, s15, 0
	s_add_u32 s31, s7, 2
	s_addc_u32 s33, s15, 0
	s_cmp_lg_u32 s28, 0
	s_cselect_b32 s28, s31, s29
	s_cselect_b32 s29, s33, s30
	s_cmp_lg_u64 s[26:27], 0
	s_subb_u32 s21, s21, s23
	s_cmp_ge_u32 s21, s19
	s_cselect_b32 s23, -1, 0
	s_cmp_ge_u32 s20, s18
	s_cselect_b32 s18, -1, 0
	s_cmp_eq_u32 s21, s19
	s_cselect_b32 s18, s18, s23
	s_cmp_lg_u32 s18, 0
	s_cselect_b32 s19, s29, s15
	s_cselect_b32 s18, s28, s7
	s_xor_b64 s[20:21], s[24:25], 0
	s_xor_b64 s[18:19], s[18:19], s[20:21]
	s_sub_u32 s18, s18, s20
	s_cbranch_execnz .LBB22_6
.LBB22_5:
	v_cvt_f32_u32_e32 v1, s22
	s_sub_i32 s7, 0, s22
	v_rcp_iflag_f32_e32 v1, v1
	s_nop 0
	v_mul_f32_e32 v1, 0x4f7ffffe, v1
	v_cvt_u32_f32_e32 v1, v1
	s_waitcnt lgkmcnt(0)
	v_readfirstlane_b32 s15, v1
	s_mul_i32 s7, s7, s15
	s_mul_hi_u32 s7, s15, s7
	s_add_i32 s15, s15, s7
	s_mul_hi_u32 s7, s5, s15
	s_mul_i32 s16, s7, s22
	s_sub_i32 s5, s5, s16
	s_add_i32 s15, s7, 1
	s_sub_i32 s16, s5, s22
	s_cmp_ge_u32 s5, s22
	s_cselect_b32 s7, s15, s7
	s_cselect_b32 s5, s16, s5
	s_add_i32 s15, s7, 1
	s_cmp_ge_u32 s5, s22
	s_cselect_b32 s18, s15, s7
.LBB22_6:
	s_cmp_eq_u32 s6, s18
	s_waitcnt lgkmcnt(0)
	s_mul_hi_u32 s5, s6, s12
	s_cselect_b64 s[16:17], -1, 0
	s_add_i32 s5, s5, s6
	s_lshr_b32 s7, s5, s13
	s_mul_i32 s5, s7, s14
	s_cmp_eq_u32 s5, s6
	s_mul_hi_u32 s5, s18, s12
	s_cselect_b64 s[20:21], -1, 0
	s_add_i32 s5, s5, s18
	s_lshr_b32 s5, s5, s13
	s_cmp_eq_u32 s7, s5
	s_mul_i32 s5, s5, s14
	s_cselect_b64 s[24:25], -1, 0
	s_cmp_lg_u32 s5, s18
	s_cselect_b64 s[18:19], -1, 0
	s_and_b64 s[18:19], s[24:25], s[18:19]
	s_or_b64 s[16:17], s[16:17], s[20:21]
	s_or_b64 s[16:17], s[16:17], s[18:19]
	s_and_b64 vcc, exec, s[16:17]
	s_cbranch_vccnz .LBB22_23
; %bb.7:
	s_load_dwordx8 s[24:31], s[0:1], 0x20
	s_load_dword s5, s[0:1], 0x40
	s_waitcnt lgkmcnt(0)
	s_mul_hi_u32 s15, s6, s24
	s_add_i32 s15, s15, s6
	s_lshr_b32 s20, s15, s25
	s_mul_i32 s15, s20, s26
	s_sub_i32 s15, s6, s15
	s_mul_hi_u32 s16, s15, s27
	s_add_i32 s16, s15, s16
	s_lshr_b32 s21, s16, s28
	s_mul_i32 s16, s21, s29
	s_sub_i32 s15, s15, s16
	;; [unrolled: 5-line block ×3, first 2 shown]
	s_mul_hi_u32 s15, s5, s12
	s_add_i32 s5, s5, s15
	s_lshr_b32 s23, s5, s13
	s_lshl_b32 s5, s23, 3
	s_lshl_b32 s24, s16, 3
	s_add_i32 s5, s5, s3
	s_cmp_lt_i32 s5, s8
	s_cselect_b64 s[16:17], -1, 0
	s_add_i32 s24, s24, s4
	s_cmp_lt_i32 s24, s10
	s_cselect_b64 s[18:19], -1, 0
	s_and_b64 s[16:17], s[16:17], s[18:19]
	s_andn2_b64 vcc, exec, s[16:17]
	s_cbranch_vccnz .LBB22_23
; %bb.8:
	s_load_dwordx4 s[16:19], s[0:1], 0x0
	s_mov_b32 s0, 0
	s_lshl_b32 s15, s3, 3
	s_lshl_b32 s26, s22, 8
	s_mov_b32 s27, s0
	s_add_i32 s15, s15, s4
	s_lshl_b64 s[4:5], s[26:27], 2
	s_waitcnt lgkmcnt(0)
	s_add_u32 s4, s18, s4
	s_mul_i32 s1, s20, s8
	s_addc_u32 s5, s19, s5
	s_mul_i32 s21, s21, s10
	s_add_i32 s1, s1, s3
	s_mul_i32 s1, s1, s9
	s_add_i32 s3, s24, s21
	;; [unrolled: 2-line block ×3, first 2 shown]
	s_mulk_i32 s8, 0x380
	s_mulk_i32 s1, 0x70
	s_add_i32 s8, s8, s1
	v_add_u32_e32 v4, s8, v0
	v_mov_b32_e32 v2, s16
	v_mov_b32_e32 v3, s17
	v_ashrrev_i32_e32 v5, 31, v4
	v_lshl_add_u64 v[2:3], v[4:5], 2, v[2:3]
	global_load_dword v1, v[2:3], off
	v_cvt_f32_u32_e32 v4, s22
	s_lshl_b32 s1, s2, 6
	s_add_i32 s8, s15, s1
	s_ashr_i32 s9, s8, 31
	s_lshl_b64 s[8:9], s[8:9], 3
	v_rcp_iflag_f32_e32 v4, v4
	s_add_u32 s8, s18, s8
	s_addc_u32 s9, s19, s9
	s_load_dwordx2 s[8:9], s[8:9], 0x0
	v_mul_f32_e32 v4, 0x4f7ffffe, v4
	v_cvt_u32_f32_e32 v7, v4
	s_mul_i32 s1, s15, 0x70
	s_add_i32 s21, s2, -1
	v_add_u32_e32 v6, s1, v0
	s_waitcnt lgkmcnt(0)
	v_mov_b32_e32 v0, s9
	v_mov_b32_e32 v9, s8
	s_mov_b32 s10, 0x3fb8aa3b
	s_mov_b32 s20, 0xc2ce8ed0
	;; [unrolled: 1-line block ×4, first 2 shown]
	v_mov_b32_e32 v8, 0x7f800000
	s_mul_hi_i32 s1, s21, s11
	s_cmp_lg_u64 s[0:1], 0
	s_mul_i32 s16, s21, s11
	s_cbranch_scc0 .LBB22_19
.LBB22_9:
	s_add_u32 s2, s22, 0
	s_addc_u32 s3, 0, 0
	s_xor_b64 s[2:3], s[2:3], 0
	v_cvt_f32_u32_e32 v4, s2
	v_cvt_f32_u32_e32 v5, s3
	s_sub_u32 s17, 0, s2
	s_subb_u32 s25, 0, s3
	v_fmac_f32_e32 v4, 0x4f800000, v5
	v_rcp_f32_e32 v4, v4
	s_nop 0
	v_mul_f32_e32 v4, 0x5f7ffffc, v4
	v_mul_f32_e32 v5, 0x2f800000, v4
	v_trunc_f32_e32 v5, v5
	v_fmac_f32_e32 v4, 0xcf800000, v5
	v_cvt_u32_f32_e32 v5, v5
	v_cvt_u32_f32_e32 v4, v4
	v_readfirstlane_b32 s26, v5
	v_readfirstlane_b32 s8, v4
	s_mul_i32 s9, s17, s26
	s_mul_hi_u32 s28, s17, s8
	s_mul_i32 s27, s25, s8
	s_add_i32 s9, s28, s9
	s_mul_i32 s29, s17, s8
	s_add_i32 s9, s9, s27
	s_mul_i32 s28, s8, s9
	s_mul_hi_u32 s30, s8, s29
	s_mul_hi_u32 s27, s8, s9
	s_add_u32 s28, s30, s28
	s_addc_u32 s27, 0, s27
	s_mul_hi_u32 s31, s26, s29
	s_mul_i32 s29, s26, s29
	s_add_u32 s28, s28, s29
	s_mul_hi_u32 s30, s26, s9
	s_addc_u32 s27, s27, s31
	s_addc_u32 s28, s30, 0
	s_mul_i32 s9, s26, s9
	s_add_u32 s9, s27, s9
	s_addc_u32 s27, 0, s28
	s_add_u32 s28, s8, s9
	s_cselect_b64 s[8:9], -1, 0
	s_cmp_lg_u64 s[8:9], 0
	s_addc_u32 s26, s26, s27
	s_mul_i32 s8, s17, s26
	s_mul_hi_u32 s9, s17, s28
	s_add_i32 s8, s9, s8
	s_mul_i32 s25, s25, s28
	s_add_i32 s8, s8, s25
	s_mul_i32 s17, s17, s28
	s_mul_hi_u32 s25, s26, s17
	s_mul_i32 s27, s26, s17
	s_mul_i32 s30, s28, s8
	s_mul_hi_u32 s17, s28, s17
	s_mul_hi_u32 s29, s28, s8
	s_add_u32 s17, s17, s30
	s_addc_u32 s29, 0, s29
	s_add_u32 s17, s17, s27
	s_mul_hi_u32 s9, s26, s8
	s_addc_u32 s17, s29, s25
	s_addc_u32 s9, s9, 0
	s_mul_i32 s8, s26, s8
	s_add_u32 s8, s17, s8
	s_addc_u32 s17, 0, s9
	s_add_u32 s25, s28, s8
	s_cselect_b64 s[8:9], -1, 0
	s_cmp_lg_u64 s[8:9], 0
	s_addc_u32 s17, s26, s17
	s_ashr_i32 s8, s1, 31
	s_add_u32 s26, s16, s8
	s_mov_b32 s9, s8
	s_addc_u32 s27, s1, s8
	s_xor_b64 s[26:27], s[26:27], s[8:9]
	s_mul_i32 s28, s26, s17
	s_mul_hi_u32 s29, s26, s25
	s_mul_hi_u32 s1, s26, s17
	s_add_u32 s28, s29, s28
	s_addc_u32 s1, 0, s1
	s_mul_hi_u32 s30, s27, s25
	s_mul_i32 s25, s27, s25
	s_add_u32 s25, s28, s25
	s_mul_hi_u32 s29, s27, s17
	s_addc_u32 s1, s1, s30
	s_addc_u32 s25, s29, 0
	s_mul_i32 s17, s27, s17
	s_add_u32 s1, s1, s17
	s_addc_u32 s17, 0, s25
	s_mul_i32 s25, s2, s17
	s_mul_hi_u32 s28, s2, s1
	s_add_i32 s25, s28, s25
	s_mul_i32 s28, s3, s1
	s_add_i32 s25, s25, s28
	s_sub_i32 s30, s27, s25
	s_mul_i32 s28, s2, s1
	s_sub_u32 s26, s26, s28
	s_cselect_b64 s[28:29], -1, 0
	s_cmp_lg_u64 s[28:29], 0
	s_subb_u32 s33, s30, s3
	s_sub_u32 s34, s26, s2
	s_cselect_b64 s[30:31], -1, 0
	s_cmp_lg_u64 s[30:31], 0
	s_subb_u32 s30, s33, 0
	s_cmp_ge_u32 s30, s3
	s_cselect_b32 s31, -1, 0
	s_cmp_ge_u32 s34, s2
	s_cselect_b32 s33, -1, 0
	s_cmp_eq_u32 s30, s3
	s_cselect_b32 s30, s33, s31
	s_add_u32 s31, s1, 1
	s_addc_u32 s33, s17, 0
	s_add_u32 s34, s1, 2
	s_addc_u32 s35, s17, 0
	s_cmp_lg_u32 s30, 0
	s_cselect_b32 s30, s34, s31
	s_cselect_b32 s31, s35, s33
	s_cmp_lg_u64 s[28:29], 0
	s_subb_u32 s25, s27, s25
	s_cmp_ge_u32 s25, s3
	s_cselect_b32 s27, -1, 0
	s_cmp_ge_u32 s26, s2
	s_cselect_b32 s2, -1, 0
	s_cmp_eq_u32 s25, s3
	s_cselect_b32 s2, s2, s27
	s_cmp_lg_u32 s2, 0
	s_cselect_b32 s3, s31, s17
	s_cselect_b32 s2, s30, s1
	s_xor_b64 s[8:9], s[8:9], 0
	s_xor_b64 s[2:3], s[2:3], s[8:9]
	s_sub_u32 s8, s2, s8
	s_cbranch_execnz .LBB22_11
.LBB22_10:
	s_sub_i32 s1, 0, s22
	v_readfirstlane_b32 s2, v7
	s_mul_i32 s1, s1, s2
	s_mul_hi_u32 s1, s2, s1
	s_add_i32 s2, s2, s1
	s_mul_hi_u32 s1, s16, s2
	s_mul_i32 s3, s1, s22
	s_sub_i32 s3, s16, s3
	s_add_i32 s2, s1, 1
	s_sub_i32 s8, s3, s22
	s_cmp_ge_u32 s3, s22
	s_cselect_b32 s1, s2, s1
	s_cselect_b32 s3, s8, s3
	s_add_i32 s2, s1, 1
	s_cmp_ge_u32 s3, s22
	s_cselect_b32 s8, s2, s1
.LBB22_11:
	s_cmp_lg_u32 s6, s8
	s_cbranch_scc0 .LBB22_15
; %bb.12:
	s_add_i32 s1, s21, s22
	s_lshl_b32 s1, s1, 6
	s_add_i32 s2, s1, s15
	s_mov_b32 s3, s0
	s_lshl_b64 s[2:3], s[2:3], 3
	s_add_u32 s16, s18, s2
	s_mul_hi_u32 s1, s8, s12
	s_addc_u32 s17, s19, s3
	s_add_i32 s1, s1, s8
	s_lshr_b32 s1, s1, s13
	s_mul_i32 s2, s1, s14
	s_cmp_eq_u32 s2, s8
	s_cselect_b64 s[2:3], -1, 0
	s_cmp_lt_u32 s1, s7
	s_cselect_b64 s[26:27], -1, 0
	s_or_b64 s[26:27], s[26:27], s[2:3]
	s_mov_b64 s[2:3], -1
	s_and_b64 vcc, exec, s[26:27]
	s_mov_b32 s1, s21
	s_mov_b32 s25, s6
	s_cbranch_vccnz .LBB22_14
; %bb.13:
	s_add_i32 s1, s21, -1
	s_mov_b64 s[2:3], 0
	s_mov_b32 s25, s8
.LBB22_14:
	s_mul_i32 s8, s21, 0x1c00
	v_add_u32_e32 v4, s8, v6
	v_ashrrev_i32_e32 v5, 31, v4
	v_lshl_add_u64 v[4:5], v[4:5], 2, s[4:5]
	global_load_dword v5, v[4:5], off
	s_load_dwordx2 s[8:9], s[16:17], 0x0
	v_max_f32_e32 v4, v9, v9
	s_waitcnt lgkmcnt(0)
	v_max_f32_e64 v10, s8, s8
	v_max_f32_e32 v10, v4, v10
	v_sub_f32_e32 v11, v9, v10
	v_sub_f32_e32 v13, s8, v10
	v_mul_f32_e32 v4, 0x3fb8aa3b, v11
	v_mul_f32_e32 v12, 0x3fb8aa3b, v13
	v_fma_f32 v14, v11, s10, -v4
	v_rndne_f32_e32 v15, v4
	v_fma_f32 v16, v13, s10, -v12
	v_rndne_f32_e32 v17, v12
	v_fmac_f32_e32 v14, 0x32a5705f, v11
	v_sub_f32_e32 v4, v4, v15
	v_fmac_f32_e32 v16, 0x32a5705f, v13
	v_sub_f32_e32 v12, v12, v17
	v_add_f32_e32 v4, v4, v14
	v_cvt_i32_f32_e32 v15, v15
	v_add_f32_e32 v12, v12, v16
	v_exp_f32_e32 v14, v4
	v_cvt_i32_f32_e32 v17, v17
	v_exp_f32_e32 v12, v12
	v_cmp_ngt_f32_e32 vcc, s20, v11
	v_ldexp_f32 v14, v14, v15
	v_mov_b32_e32 v4, s9
	v_ldexp_f32 v12, v12, v17
	v_cndmask_b32_e32 v14, 0, v14, vcc
	v_cmp_ngt_f32_e32 vcc, s20, v13
	s_nop 1
	v_cndmask_b32_e32 v12, 0, v12, vcc
	v_cmp_nlt_f32_e32 vcc, s23, v11
	s_nop 1
	v_cndmask_b32_e32 v14, v8, v14, vcc
	v_cmp_nlt_f32_e32 vcc, s23, v13
	s_nop 1
	v_cndmask_b32_e32 v15, v8, v12, vcc
	v_cmp_le_f32_e32 vcc, s24, v11
	s_nop 1
	v_cndmask_b32_e32 v12, 0, v14, vcc
	v_cmp_le_f32_e32 vcc, s24, v13
	s_nop 1
	v_cndmask_b32_e32 v14, 0, v15, vcc
	s_waitcnt vmcnt(0)
	v_pk_mul_f32 v[4:5], v[4:5], v[14:15] op_sel_hi:[1,0]
	s_nop 0
	v_pk_fma_f32 v[4:5], v[0:1], v[12:13], v[4:5] op_sel_hi:[1,0,1]
	s_cbranch_execz .LBB22_16
	s_branch .LBB22_17
.LBB22_15:
                                        ; implicit-def: $vgpr4_vgpr5
                                        ; implicit-def: $sgpr2_sgpr3
                                        ; implicit-def: $vgpr10
                                        ; implicit-def: $sgpr1
                                        ; implicit-def: $sgpr25
.LBB22_16:
	s_add_i32 s1, s21, -1
	s_mov_b64 s[2:3], 0
	s_mov_b32 s25, s6
	v_mov_b32_e32 v10, v9
	s_waitcnt vmcnt(0)
	v_mov_b64_e32 v[4:5], v[0:1]
.LBB22_17:
	s_andn2_b64 vcc, exec, s[2:3]
	s_cbranch_vccz .LBB22_22
; %bb.18:
	s_mov_b32 s6, s25
	s_mov_b32 s21, s1
	v_mov_b32_e32 v9, v10
	s_waitcnt vmcnt(0)
	v_mov_b64_e32 v[0:1], v[4:5]
	s_mul_hi_i32 s1, s21, s11
	s_cmp_lg_u64 s[0:1], 0
	s_mul_i32 s16, s21, s11
	s_cbranch_scc1 .LBB22_9
.LBB22_19:
                                        ; implicit-def: $sgpr8_sgpr9
	s_branch .LBB22_10
.LBB22_20:
                                        ; implicit-def: $sgpr6_sgpr7
	s_load_dwordx4 s[12:15], s[0:1], 0x44
	s_branch .LBB22_2
.LBB22_21:
                                        ; implicit-def: $sgpr18_sgpr19
	s_branch .LBB22_5
.LBB22_22:
	v_div_scale_f32 v0, s[0:1], v4, v4, v5
	s_waitcnt vmcnt(0)
	v_rcp_f32_e32 v1, v0
	v_div_scale_f32 v6, vcc, v5, v4, v5
	v_fma_f32 v7, -v0, v1, 1.0
	v_fmac_f32_e32 v1, v7, v1
	v_mul_f32_e32 v7, v6, v1
	v_fma_f32 v8, -v0, v7, v6
	v_fmac_f32_e32 v7, v8, v1
	v_fma_f32 v0, -v0, v7, v6
	v_div_fmas_f32 v0, v0, v1, v7
	v_div_fixup_f32 v0, v0, v4, v5
	global_store_dword v[2:3], v0, off
.LBB22_23:
	s_endpgm
	.section	.rodata,"a",@progbits
	.p2align	6, 0x0
	.amdhsa_kernel _ZL33flash_attn_stream_k_fixup_generalILi112ELi8ELi8EEvPfPK15HIP_vector_typeIfLj2EEiiiiS1_IjLj3EES5_S5_S5_
		.amdhsa_group_segment_fixed_size 0
		.amdhsa_private_segment_fixed_size 0
		.amdhsa_kernarg_size 336
		.amdhsa_user_sgpr_count 2
		.amdhsa_user_sgpr_dispatch_ptr 0
		.amdhsa_user_sgpr_queue_ptr 0
		.amdhsa_user_sgpr_kernarg_segment_ptr 1
		.amdhsa_user_sgpr_dispatch_id 0
		.amdhsa_user_sgpr_kernarg_preload_length 0
		.amdhsa_user_sgpr_kernarg_preload_offset 0
		.amdhsa_user_sgpr_private_segment_size 0
		.amdhsa_uses_dynamic_stack 0
		.amdhsa_enable_private_segment 0
		.amdhsa_system_sgpr_workgroup_id_x 1
		.amdhsa_system_sgpr_workgroup_id_y 1
		.amdhsa_system_sgpr_workgroup_id_z 1
		.amdhsa_system_sgpr_workgroup_info 0
		.amdhsa_system_vgpr_workitem_id 0
		.amdhsa_next_free_vgpr 18
		.amdhsa_next_free_sgpr 36
		.amdhsa_accum_offset 20
		.amdhsa_reserve_vcc 1
		.amdhsa_float_round_mode_32 0
		.amdhsa_float_round_mode_16_64 0
		.amdhsa_float_denorm_mode_32 3
		.amdhsa_float_denorm_mode_16_64 3
		.amdhsa_dx10_clamp 1
		.amdhsa_ieee_mode 1
		.amdhsa_fp16_overflow 0
		.amdhsa_tg_split 0
		.amdhsa_exception_fp_ieee_invalid_op 0
		.amdhsa_exception_fp_denorm_src 0
		.amdhsa_exception_fp_ieee_div_zero 0
		.amdhsa_exception_fp_ieee_overflow 0
		.amdhsa_exception_fp_ieee_underflow 0
		.amdhsa_exception_fp_ieee_inexact 0
		.amdhsa_exception_int_div_zero 0
	.end_amdhsa_kernel
	.section	.text._ZL33flash_attn_stream_k_fixup_generalILi112ELi8ELi8EEvPfPK15HIP_vector_typeIfLj2EEiiiiS1_IjLj3EES5_S5_S5_,"axG",@progbits,_ZL33flash_attn_stream_k_fixup_generalILi112ELi8ELi8EEvPfPK15HIP_vector_typeIfLj2EEiiiiS1_IjLj3EES5_S5_S5_,comdat
.Lfunc_end22:
	.size	_ZL33flash_attn_stream_k_fixup_generalILi112ELi8ELi8EEvPfPK15HIP_vector_typeIfLj2EEiiiiS1_IjLj3EES5_S5_S5_, .Lfunc_end22-_ZL33flash_attn_stream_k_fixup_generalILi112ELi8ELi8EEvPfPK15HIP_vector_typeIfLj2EEiiiiS1_IjLj3EES5_S5_S5_
                                        ; -- End function
	.set _ZL33flash_attn_stream_k_fixup_generalILi112ELi8ELi8EEvPfPK15HIP_vector_typeIfLj2EEiiiiS1_IjLj3EES5_S5_S5_.num_vgpr, 18
	.set _ZL33flash_attn_stream_k_fixup_generalILi112ELi8ELi8EEvPfPK15HIP_vector_typeIfLj2EEiiiiS1_IjLj3EES5_S5_S5_.num_agpr, 0
	.set _ZL33flash_attn_stream_k_fixup_generalILi112ELi8ELi8EEvPfPK15HIP_vector_typeIfLj2EEiiiiS1_IjLj3EES5_S5_S5_.numbered_sgpr, 36
	.set _ZL33flash_attn_stream_k_fixup_generalILi112ELi8ELi8EEvPfPK15HIP_vector_typeIfLj2EEiiiiS1_IjLj3EES5_S5_S5_.num_named_barrier, 0
	.set _ZL33flash_attn_stream_k_fixup_generalILi112ELi8ELi8EEvPfPK15HIP_vector_typeIfLj2EEiiiiS1_IjLj3EES5_S5_S5_.private_seg_size, 0
	.set _ZL33flash_attn_stream_k_fixup_generalILi112ELi8ELi8EEvPfPK15HIP_vector_typeIfLj2EEiiiiS1_IjLj3EES5_S5_S5_.uses_vcc, 1
	.set _ZL33flash_attn_stream_k_fixup_generalILi112ELi8ELi8EEvPfPK15HIP_vector_typeIfLj2EEiiiiS1_IjLj3EES5_S5_S5_.uses_flat_scratch, 0
	.set _ZL33flash_attn_stream_k_fixup_generalILi112ELi8ELi8EEvPfPK15HIP_vector_typeIfLj2EEiiiiS1_IjLj3EES5_S5_S5_.has_dyn_sized_stack, 0
	.set _ZL33flash_attn_stream_k_fixup_generalILi112ELi8ELi8EEvPfPK15HIP_vector_typeIfLj2EEiiiiS1_IjLj3EES5_S5_S5_.has_recursion, 0
	.set _ZL33flash_attn_stream_k_fixup_generalILi112ELi8ELi8EEvPfPK15HIP_vector_typeIfLj2EEiiiiS1_IjLj3EES5_S5_S5_.has_indirect_call, 0
	.section	.AMDGPU.csdata,"",@progbits
; Kernel info:
; codeLenInByte = 2944
; TotalNumSgprs: 42
; NumVgprs: 18
; NumAgprs: 0
; TotalNumVgprs: 18
; ScratchSize: 0
; MemoryBound: 0
; FloatMode: 240
; IeeeMode: 1
; LDSByteSize: 0 bytes/workgroup (compile time only)
; SGPRBlocks: 5
; VGPRBlocks: 2
; NumSGPRsForWavesPerEU: 42
; NumVGPRsForWavesPerEU: 18
; AccumOffset: 20
; Occupancy: 8
; WaveLimiterHint : 0
; COMPUTE_PGM_RSRC2:SCRATCH_EN: 0
; COMPUTE_PGM_RSRC2:USER_SGPR: 2
; COMPUTE_PGM_RSRC2:TRAP_HANDLER: 0
; COMPUTE_PGM_RSRC2:TGID_X_EN: 1
; COMPUTE_PGM_RSRC2:TGID_Y_EN: 1
; COMPUTE_PGM_RSRC2:TGID_Z_EN: 1
; COMPUTE_PGM_RSRC2:TIDIG_COMP_CNT: 0
; COMPUTE_PGM_RSRC3_GFX90A:ACCUM_OFFSET: 4
; COMPUTE_PGM_RSRC3_GFX90A:TG_SPLIT: 0
	.section	.text._ZL26flash_attn_combine_resultsILi112EEvPKfPK15HIP_vector_typeIfLj2EEPfi,"axG",@progbits,_ZL26flash_attn_combine_resultsILi112EEvPKfPK15HIP_vector_typeIfLj2EEPfi,comdat
	.globl	_ZL26flash_attn_combine_resultsILi112EEvPKfPK15HIP_vector_typeIfLj2EEPfi ; -- Begin function _ZL26flash_attn_combine_resultsILi112EEvPKfPK15HIP_vector_typeIfLj2EEPfi
	.p2align	8
	.type	_ZL26flash_attn_combine_resultsILi112EEvPKfPK15HIP_vector_typeIfLj2EEPfi,@function
_ZL26flash_attn_combine_resultsILi112EEvPKfPK15HIP_vector_typeIfLj2EEPfi: ; @_ZL26flash_attn_combine_resultsILi112EEvPKfPK15HIP_vector_typeIfLj2EEPfi
; %bb.0:
	s_load_dwordx2 s[6:7], s[0:1], 0x20
	s_load_dword s23, s[0:1], 0x18
	s_load_dwordx4 s[16:19], s[0:1], 0x0
	s_load_dwordx2 s[14:15], s[0:1], 0x10
	s_waitcnt lgkmcnt(0)
	s_mul_i32 s0, s6, s4
	s_add_i32 s0, s0, s2
	s_mul_i32 s22, s0, s7
	s_add_i32 s22, s22, s3
	s_lshl_b32 s12, s23, 1
	s_mul_i32 s2, s22, s23
	v_cmp_gt_i32_e32 vcc, s12, v0
	s_and_saveexec_b64 s[0:1], vcc
	s_cbranch_execz .LBB23_13
; %bb.1:
	v_xad_u32 v1, v0, -1, s12
	s_movk_i32 s4, 0x6f
	s_ashr_i32 s3, s2, 31
	v_cmp_lt_u32_e32 vcc, s4, v1
	s_mov_b64 s[6:7], -1
	v_mov_b32_e32 v2, v0
	s_and_saveexec_b64 s[4:5], vcc
	s_cbranch_execz .LBB23_10
; %bb.2:
	v_lshrrev_b32_e32 v1, 4, v1
	s_mov_b32 s6, 0x24924925
	v_mul_hi_u32 v6, v1, s6
	s_lshl_b64 s[6:7], s[2:3], 3
	v_add_u32_e32 v2, -1, v6
	s_add_u32 s6, s18, s6
	v_add_u32_e32 v1, 0x70, v0
	v_lshrrev_b32_e32 v3, 1, v2
	s_addc_u32 s7, s19, s7
	v_add_u32_e32 v7, 1, v3
	v_cmp_lt_u32_e32 vcc, 13, v2
	v_mov_b32_e32 v4, 0
	v_mov_b64_e32 v[2:3], v[0:1]
	s_and_saveexec_b64 s[8:9], vcc
	s_cbranch_execz .LBB23_6
; %bb.3:
	v_and_b32_e32 v8, -8, v7
	s_mov_b32 s13, 0
	v_lshl_add_u32 v9, v0, 2, 0
	s_mov_b64 s[10:11], 0
	v_mov_b32_e32 v5, 0
	v_mov_b64_e32 v[2:3], v[0:1]
.LBB23_4:                               ; =>This Inner Loop Header: Depth=1
	v_mov_b32_e32 v4, v2
	v_lshl_add_u64 v[24:25], v[4:5], 2, s[6:7]
	v_mov_b32_e32 v4, v3
	v_add_u32_e32 v10, 0xe0, v3
	v_mov_b32_e32 v11, v5
	v_lshl_add_u64 v[26:27], v[4:5], 2, s[6:7]
	v_add_u32_e32 v4, 0xe0, v2
	v_lshl_add_u64 v[10:11], v[10:11], 2, s[6:7]
	global_load_dword v1, v[24:25], off
	v_lshl_add_u64 v[24:25], v[4:5], 2, s[6:7]
	v_add_u32_e32 v4, 0x1c0, v2
	global_load_dword v28, v[26:27], off
	global_load_dword v29, v[24:25], off
	;; [unrolled: 1-line block ×3, first 2 shown]
	v_lshl_add_u64 v[10:11], v[4:5], 2, s[6:7]
	v_add_u32_e32 v4, 0x2a0, v2
	v_add_u32_e32 v12, 0x1c0, v3
	v_mov_b32_e32 v13, v5
	v_add_u32_e32 v14, 0x2a0, v3
	v_mov_b32_e32 v15, v5
	v_lshl_add_u64 v[24:25], v[4:5], 2, s[6:7]
	v_add_u32_e32 v4, 0x380, v2
	v_lshl_add_u64 v[12:13], v[12:13], 2, s[6:7]
	v_lshl_add_u64 v[14:15], v[14:15], 2, s[6:7]
	global_load_dword v26, v[10:11], off
	global_load_dword v27, v[12:13], off
	;; [unrolled: 1-line block ×4, first 2 shown]
	v_lshl_add_u64 v[10:11], v[4:5], 2, s[6:7]
	v_add_u32_e32 v4, 0x460, v2
	v_add_u32_e32 v16, 0x380, v3
	v_mov_b32_e32 v17, v5
	v_add_u32_e32 v18, 0x460, v3
	v_mov_b32_e32 v19, v5
	v_lshl_add_u64 v[12:13], v[4:5], 2, s[6:7]
	v_add_u32_e32 v4, 0x540, v2
	v_add_u32_e32 v20, 0x540, v3
	v_mov_b32_e32 v21, v5
	v_add_u32_e32 v22, 0x620, v3
	v_mov_b32_e32 v23, v5
	v_lshl_add_u64 v[16:17], v[16:17], 2, s[6:7]
	v_lshl_add_u64 v[18:19], v[18:19], 2, s[6:7]
	global_load_dword v14, v[10:11], off
	global_load_dword v15, v[16:17], off
	;; [unrolled: 1-line block ×4, first 2 shown]
	v_lshl_add_u64 v[10:11], v[4:5], 2, s[6:7]
	v_add_u32_e32 v4, 0x620, v2
	v_lshl_add_u64 v[20:21], v[20:21], 2, s[6:7]
	v_lshl_add_u64 v[22:23], v[22:23], 2, s[6:7]
	;; [unrolled: 1-line block ×3, first 2 shown]
	global_load_dword v16, v[10:11], off
	global_load_dword v17, v[20:21], off
	;; [unrolled: 1-line block ×4, first 2 shown]
	v_add_u32_e32 v8, -8, v8
	s_add_i32 s13, s13, 16
	v_cmp_eq_u32_e32 vcc, 0, v8
	v_add_u32_e32 v10, 0x200, v9
	v_add_u32_e32 v11, 0x600, v9
	;; [unrolled: 1-line block ×8, first 2 shown]
	v_mov_b32_e32 v4, s13
	s_or_b64 s[10:11], vcc, s[10:11]
	v_add_u32_e32 v2, 0x700, v2
	s_waitcnt vmcnt(14)
	ds_write2_b32 v9, v1, v28 offset1:112
	v_add_u32_e32 v9, 0x1c00, v9
	s_waitcnt vmcnt(12)
	ds_write2_b32 v10, v29, v30 offset0:96 offset1:208
	s_waitcnt vmcnt(10)
	ds_write2_b32 v11, v26, v27 offset0:64 offset1:176
	;; [unrolled: 2-line block ×7, first 2 shown]
	s_andn2_b64 exec, exec, s[10:11]
	s_cbranch_execnz .LBB23_4
; %bb.5:
	s_or_b64 exec, exec, s[10:11]
.LBB23_6:
	s_or_b64 exec, exec, s[8:9]
	v_and_b32_e32 v1, 7, v7
	v_cmp_ne_u32_e32 vcc, 0, v1
	s_and_saveexec_b64 s[8:9], vcc
	s_cbranch_execz .LBB23_9
; %bb.7:
	s_movk_i32 s10, 0x1c0
	v_mul_lo_u32 v4, v4, s10
	v_lshlrev_b32_e32 v5, 2, v0
	v_add3_u32 v7, v4, v5, 0
	s_mov_b64 s[10:11], 0
	v_mov_b32_e32 v5, 0
.LBB23_8:                               ; =>This Inner Loop Header: Depth=1
	v_mov_b32_e32 v4, v2
	v_lshl_add_u64 v[8:9], v[4:5], 2, s[6:7]
	v_mov_b32_e32 v4, v3
	v_lshl_add_u64 v[10:11], v[4:5], 2, s[6:7]
	global_load_dword v4, v[8:9], off
	global_load_dword v12, v[10:11], off
	v_add_u32_e32 v1, -1, v1
	v_cmp_eq_u32_e32 vcc, 0, v1
	v_add_u32_e32 v2, 0xe0, v2
	v_add_u32_e32 v3, 0xe0, v3
	s_or_b64 s[10:11], vcc, s[10:11]
	s_waitcnt vmcnt(0)
	ds_write2_b32 v7, v4, v12 offset1:112
	v_add_u32_e32 v7, 0x380, v7
	s_andn2_b64 exec, exec, s[10:11]
	s_cbranch_execnz .LBB23_8
.LBB23_9:
	s_or_b64 exec, exec, s[8:9]
	v_add_u32_e32 v1, 1, v6
	v_and_b32_e32 v4, 0x7fffffe, v1
	s_movk_i32 s6, 0x70
	v_mad_u64_u32 v[2:3], s[6:7], v4, s6, v[0:1]
	v_cmp_ne_u32_e32 vcc, v1, v4
	s_orn2_b64 s[6:7], vcc, exec
.LBB23_10:
	s_or_b64 exec, exec, s[4:5]
	s_and_b64 exec, exec, s[6:7]
	s_cbranch_execz .LBB23_13
; %bb.11:
	s_lshl_b64 s[4:5], s[2:3], 3
	s_add_u32 s4, s18, s4
	v_mov_b32_e32 v3, 0
	s_addc_u32 s5, s19, s5
	v_lshl_add_u64 v[4:5], v[2:3], 2, s[4:5]
	v_lshl_add_u32 v1, v2, 2, 0
	s_mov_b64 s[4:5], 0
	s_mov_b64 s[6:7], 0x1c0
.LBB23_12:                              ; =>This Inner Loop Header: Depth=1
	global_load_dword v3, v[4:5], off
	v_add_u32_e32 v2, 0x70, v2
	v_cmp_le_i32_e32 vcc, s12, v2
	v_lshl_add_u64 v[4:5], v[4:5], 0, s[6:7]
	s_or_b64 s[4:5], vcc, s[4:5]
	s_waitcnt vmcnt(0)
	ds_write_b32 v1, v3
	v_add_u32_e32 v1, 0x1c0, v1
	s_andn2_b64 exec, exec, s[4:5]
	s_cbranch_execnz .LBB23_12
.LBB23_13:
	s_or_b64 exec, exec, s[0:1]
	v_mov_b32_e32 v1, 0
	s_waitcnt lgkmcnt(0)
	s_barrier
	ds_read_b32 v1, v1
	s_cmp_lt_i32 s23, 2
	s_cbranch_scc1 .LBB23_21
; %bb.14:
	s_cmp_eq_u32 s23, 2
	s_cbranch_scc1 .LBB23_18
; %bb.15:
	s_add_i32 s3, s23, -1
	s_and_b32 s4, s3, -2
	s_add_i32 s6, 0, 8
	s_mov_b32 s5, 2
	s_waitcnt lgkmcnt(0)
	v_mov_b32_e32 v4, v1
.LBB23_16:                              ; =>This Inner Loop Header: Depth=1
	v_mov_b32_e32 v2, v1
	v_mov_b32_e32 v1, s6
	v_mov_b32_e32 v3, v4
	ds_read2_b32 v[4:5], v1 offset1:2
	s_cmp_lg_u32 s4, s5
	s_cselect_b64 s[8:9], -1, 0
	v_max_f32_e32 v1, v3, v3
	v_max_f32_e32 v6, v2, v2
	s_waitcnt lgkmcnt(0)
	v_cmp_u_f32_e32 vcc, v5, v5
	v_max_f32_e32 v7, v5, v5
	v_max_f32_e32 v8, v4, v4
	v_cndmask_b32_e64 v5, 0, 1, vcc
	v_cmp_u_f32_e32 vcc, v4, v4
	v_readfirstlane_b32 s0, v5
	s_lshl_b32 s0, s0, 1
	v_cndmask_b32_e64 v9, 0, 1, vcc
	v_max_f32_e32 v4, v1, v7
	v_readfirstlane_b32 s1, v9
	s_or_b32 s0, s1, s0
	s_and_b32 s7, s0, 3
	s_cmp_lg_u32 s7, 0
	s_cselect_b64 s[0:1], -1, 0
	s_cmp_eq_u32 s7, 0
	s_cselect_b64 s[10:11], -1, 0
	s_and_b64 s[8:9], s[10:11], s[8:9]
	v_max_f32_e32 v1, v6, v8
	s_add_i32 s5, s5, 2
	s_add_i32 s6, s6, 16
	s_and_b64 vcc, exec, s[8:9]
	s_cbranch_vccnz .LBB23_16
; %bb.17:
	s_add_i32 s5, s5, -4
	s_and_b64 s[6:7], s[0:1], exec
	s_cselect_b32 s5, s5, s3
	s_or_b32 s5, s5, 1
	v_cndmask_b32_e64 v1, v1, v2, s[0:1]
	v_cndmask_b32_e64 v2, v4, v3, s[0:1]
	s_cmp_lg_u32 s3, s4
	v_max_f32_e32 v2, v2, v2
	v_max_f32_e32 v1, v1, v1
	s_cselect_b64 s[6:7], -1, 0
	v_max_f32_e32 v1, v1, v2
	s_or_b64 s[0:1], s[6:7], s[0:1]
	s_and_b64 vcc, exec, s[0:1]
	s_cbranch_vccnz .LBB23_19
	s_branch .LBB23_21
.LBB23_18:
	s_mov_b32 s5, 1
	s_cbranch_execz .LBB23_21
.LBB23_19:
	s_lshl_b32 s1, s5, 3
	s_sub_i32 s0, s23, s5
	s_add_i32 s1, s1, 0
.LBB23_20:                              ; =>This Inner Loop Header: Depth=1
	v_mov_b32_e32 v2, s1
	ds_read_b32 v2, v2
	s_waitcnt lgkmcnt(1)
	v_max_f32_e32 v1, v1, v1
	s_add_i32 s0, s0, -1
	s_add_i32 s1, s1, 8
	s_cmp_eq_u32 s0, 0
	s_waitcnt lgkmcnt(0)
	v_max_f32_e32 v2, v2, v2
	v_max_f32_e32 v1, v1, v2
	s_cbranch_scc0 .LBB23_20
.LBB23_21:
	s_cmp_lt_i32 s23, 1
	s_cbranch_scc1 .LBB23_26
; %bb.22:
	s_mul_i32 s18, s2, 0x70
	s_ashr_i32 s19, s18, 31
	s_cmp_lt_u32 s23, 8
	s_cbranch_scc1 .LBB23_27
; %bb.23:
	s_lshl_b64 s[0:1], s[18:19], 2
	s_add_u32 s20, s16, s0
	v_mov_b32_e32 v7, 0
	s_addc_u32 s21, s17, s1
	s_and_b32 s24, s23, 0x7ffffff8
	v_add_u32_e32 v4, 0x1c0, v0
	s_mov_b32 s25, 0
	s_mov_b32 s26, 0x3fb8aa3b
	;; [unrolled: 1-line block ×4, first 2 shown]
	v_mov_b32_e32 v8, 0x7f800000
	s_mov_b32 s29, 0
	v_mov_b32_e32 v2, v7
	v_mov_b32_e32 v3, v7
.LBB23_24:                              ; =>This Inner Loop Header: Depth=1
	v_add_u32_e32 v6, 0xfffffe40, v4
	v_mov_b32_e32 v9, s25
	v_lshl_add_u64 v[26:27], v[6:7], 2, s[20:21]
	v_add_u32_e32 v6, 0xfffffeb0, v4
	ds_read2_b64 v[10:13], v9 offset1:1
	ds_read2_b64 v[14:17], v9 offset0:2 offset1:3
	ds_read2_b64 v[18:21], v9 offset0:4 offset1:5
	ds_read2_b64 v[22:25], v9 offset0:6 offset1:7
	v_lshl_add_u64 v[30:31], v[6:7], 2, s[20:21]
	v_add_u32_e32 v6, 0xffffff20, v4
	global_load_dword v33, v[26:27], off
	global_load_dword v35, v[30:31], off
	v_lshl_add_u64 v[26:27], v[6:7], 2, s[20:21]
	v_add_u32_e32 v6, 0xffffff90, v4
	v_mov_b32_e32 v5, v7
	v_lshl_add_u64 v[30:31], v[6:7], 2, s[20:21]
	v_add_u32_e32 v6, 0x70, v4
	v_lshl_add_u64 v[28:29], v[4:5], 2, s[20:21]
	global_load_dword v37, v[26:27], off
	global_load_dword v39, v[30:31], off
	;; [unrolled: 1-line block ×3, first 2 shown]
	v_lshl_add_u64 v[26:27], v[6:7], 2, s[20:21]
	v_add_u32_e32 v6, 0xe0, v4
	s_waitcnt lgkmcnt(3)
	v_mov_b32_e32 v32, v11
	v_sub_f32_e32 v9, v12, v1
	v_mov_b32_e32 v34, v13
	global_load_dword v11, v[26:27], off
	v_lshl_add_u64 v[12:13], v[6:7], 2, s[20:21]
	v_add_u32_e32 v6, 0x150, v4
	s_waitcnt lgkmcnt(2)
	v_mov_b32_e32 v36, v15
	global_load_dword v15, v[12:13], off
	v_lshl_add_u64 v[12:13], v[6:7], 2, s[20:21]
	v_mov_b32_e32 v38, v17
	global_load_dword v17, v[12:13], off
	v_sub_f32_e32 v5, v10, v1
	s_waitcnt lgkmcnt(1)
	v_mov_b32_e32 v40, v19
	v_sub_f32_e32 v19, v20, v1
	s_waitcnt lgkmcnt(0)
	v_sub_f32_e32 v20, v22, v1
	v_mul_f32_e32 v22, 0x3fb8aa3b, v5
	v_sub_f32_e32 v28, v14, v1
	v_sub_f32_e32 v29, v16, v1
	v_mov_b32_e32 v14, v23
	v_mul_f32_e32 v23, 0x3fb8aa3b, v9
	v_fma_f32 v6, v5, s26, -v22
	v_rndne_f32_e32 v42, v22
	v_sub_f32_e32 v18, v18, v1
	v_mov_b32_e32 v10, v21
	v_sub_f32_e32 v21, v24, v1
	v_mov_b32_e32 v16, v25
	v_mul_f32_e32 v24, 0x3fb8aa3b, v28
	v_mul_f32_e32 v25, 0x3fb8aa3b, v29
	v_fma_f32 v43, v9, s26, -v23
	v_rndne_f32_e32 v44, v23
	v_fmac_f32_e32 v6, 0x32a5705f, v5
	v_sub_f32_e32 v12, v22, v42
	v_mul_f32_e32 v26, 0x3fb8aa3b, v18
	v_mul_f32_e32 v27, 0x3fb8aa3b, v19
	v_mul_f32_e32 v30, 0x3fb8aa3b, v20
	v_fma_f32 v45, v28, s26, -v24
	v_rndne_f32_e32 v46, v24
	v_fma_f32 v47, v29, s26, -v25
	v_rndne_f32_e32 v48, v25
	v_fmac_f32_e32 v43, 0x32a5705f, v9
	v_sub_f32_e32 v22, v23, v44
	v_add_f32_e32 v6, v12, v6
	v_fma_f32 v49, v18, s26, -v26
	v_rndne_f32_e32 v50, v26
	v_fma_f32 v51, v19, s26, -v27
	v_rndne_f32_e32 v52, v27
	;; [unrolled: 2-line block ×3, first 2 shown]
	v_cvt_i32_f32_e32 v13, v42
	v_fmac_f32_e32 v45, 0x32a5705f, v28
	v_sub_f32_e32 v24, v24, v46
	v_fmac_f32_e32 v47, 0x32a5705f, v29
	v_sub_f32_e32 v25, v25, v48
	v_add_f32_e32 v12, v22, v43
	v_exp_f32_e32 v6, v6
	v_cvt_i32_f32_e32 v23, v44
	v_fmac_f32_e32 v49, 0x32a5705f, v18
	v_sub_f32_e32 v26, v26, v50
	v_fmac_f32_e32 v51, 0x32a5705f, v19
	v_sub_f32_e32 v27, v27, v52
	;; [unrolled: 2-line block ×3, first 2 shown]
	v_add_f32_e32 v22, v24, v45
	v_add_f32_e32 v24, v25, v47
	v_exp_f32_e32 v12, v12
	v_mul_f32_e32 v31, 0x3fb8aa3b, v21
	v_cvt_i32_f32_e32 v42, v46
	v_cvt_i32_f32_e32 v44, v48
	v_add_f32_e32 v25, v26, v49
	v_add_f32_e32 v26, v27, v51
	;; [unrolled: 1-line block ×3, first 2 shown]
	v_exp_f32_e32 v22, v22
	v_exp_f32_e32 v24, v24
	v_fma_f32 v55, v21, s26, -v31
	v_rndne_f32_e32 v56, v31
	v_cvt_i32_f32_e32 v46, v50
	v_cvt_i32_f32_e32 v48, v52
	;; [unrolled: 1-line block ×3, first 2 shown]
	v_exp_f32_e32 v25, v25
	v_exp_f32_e32 v26, v26
	;; [unrolled: 1-line block ×3, first 2 shown]
	v_fmac_f32_e32 v55, 0x32a5705f, v21
	v_sub_f32_e32 v31, v31, v56
	v_ldexp_f32 v6, v6, v13
	v_cmp_ngt_f32_e64 s[12:13], s27, v5
	v_add_f32_e32 v30, v31, v55
	v_ldexp_f32 v12, v12, v23
	v_cmp_ngt_f32_e32 vcc, s27, v9
	v_cndmask_b32_e64 v6, 0, v6, s[12:13]
	v_cmp_nlt_f32_e64 s[12:13], s28, v5
	v_cvt_i32_f32_e32 v52, v56
	v_exp_f32_e32 v30, v30
	v_ldexp_f32 v13, v22, v42
	v_cmp_ngt_f32_e64 s[0:1], s27, v28
	v_ldexp_f32 v22, v24, v44
	v_cmp_ngt_f32_e64 s[2:3], s27, v29
	v_cndmask_b32_e32 v12, 0, v12, vcc
	v_cmp_nlt_f32_e32 vcc, s28, v9
	v_cndmask_b32_e64 v6, v8, v6, s[12:13]
	v_ldexp_f32 v23, v25, v46
	v_cmp_ngt_f32_e64 s[4:5], s27, v18
	v_ldexp_f32 v24, v26, v48
	v_cmp_ngt_f32_e64 s[6:7], s27, v19
	;; [unrolled: 2-line block ×3, first 2 shown]
	v_cndmask_b32_e64 v9, 0, v13, s[0:1]
	v_cmp_nlt_f32_e64 s[0:1], s28, v28
	v_cndmask_b32_e64 v13, 0, v22, s[2:3]
	v_cndmask_b32_e32 v12, v8, v12, vcc
	s_waitcnt vmcnt(7)
	v_pk_fma_f32 v[2:3], v[6:7], v[32:33], v[2:3] op_sel_hi:[0,1,1]
	v_cmp_nlt_f32_e64 s[2:3], s28, v29
	v_cndmask_b32_e64 v22, 0, v23, s[4:5]
	v_cmp_nlt_f32_e64 s[4:5], s28, v18
	v_cndmask_b32_e64 v23, 0, v24, s[6:7]
	;; [unrolled: 2-line block ×3, first 2 shown]
	v_cndmask_b32_e64 v18, v8, v9, s[0:1]
	s_waitcnt vmcnt(6)
	v_pk_fma_f32 v[2:3], v[12:13], v[34:35], v[2:3] op_sel_hi:[0,1,1]
	v_cmp_nlt_f32_e64 s[8:9], s28, v20
	v_cndmask_b32_e64 v20, v8, v13, s[2:3]
	s_waitcnt vmcnt(5)
	v_pk_fma_f32 v[2:3], v[18:19], v[36:37], v[2:3] op_sel_hi:[0,1,1]
	v_ldexp_f32 v26, v30, v52
	v_cmp_ngt_f32_e64 s[10:11], s27, v21
	v_cndmask_b32_e64 v22, v8, v22, s[4:5]
	s_waitcnt vmcnt(4)
	v_pk_fma_f32 v[2:3], v[20:21], v[38:39], v[2:3] op_sel_hi:[0,1,1]
	v_cndmask_b32_e64 v25, 0, v26, s[10:11]
	v_cndmask_b32_e64 v24, v8, v23, s[6:7]
	s_waitcnt vmcnt(3)
	v_pk_fma_f32 v[2:3], v[22:23], v[40:41], v[2:3] op_sel_hi:[0,1,1]
	v_cmp_nlt_f32_e64 s[10:11], s28, v21
	v_cndmask_b32_e64 v26, v8, v19, s[8:9]
	s_waitcnt vmcnt(2)
	v_pk_fma_f32 v[2:3], v[24:25], v[10:11], v[2:3] op_sel_hi:[0,1,1]
	s_add_i32 s29, s29, 8
	s_add_i32 s25, s25, 64
	v_cndmask_b32_e64 v28, v8, v25, s[10:11]
	s_waitcnt vmcnt(1)
	v_pk_fma_f32 v[2:3], v[26:27], v[14:15], v[2:3] op_sel_hi:[0,1,1]
	s_cmp_eq_u32 s24, s29
	v_add_u32_e32 v4, 0x380, v4
	s_waitcnt vmcnt(0)
	v_pk_fma_f32 v[2:3], v[28:29], v[16:17], v[2:3] op_sel_hi:[0,1,1]
	s_cbranch_scc0 .LBB23_24
; %bb.25:
	s_and_b32 s2, s23, 7
	s_cmp_eq_u32 s2, 0
	s_cbranch_scc0 .LBB23_28
	s_branch .LBB23_30
.LBB23_26:
	s_waitcnt lgkmcnt(0)
	v_mov_b32_e32 v1, 0x7fc00000
	s_branch .LBB23_31
.LBB23_27:
	v_mov_b32_e32 v2, 0
	s_mov_b32 s24, 0
	v_mov_b32_e32 v3, v2
	s_and_b32 s2, s23, 7
	s_cmp_eq_u32 s2, 0
	s_cbranch_scc1 .LBB23_30
.LBB23_28:
	s_lshl_b64 s[0:1], s[18:19], 2
	s_mul_i32 s3, s24, 0x70
	s_add_u32 s0, s16, s0
	v_add_u32_e32 v4, s3, v0
	v_mov_b32_e32 v5, 0
	s_addc_u32 s1, s17, s1
	v_lshl_add_u64 v[4:5], v[4:5], 2, s[0:1]
	s_lshl_b32 s0, s24, 3
	s_add_i32 s3, s0, 0
	s_mov_b32 s4, 0x3fb8aa3b
	s_mov_b32 s5, 0xc2ce8ed0
	;; [unrolled: 1-line block ×3, first 2 shown]
	v_mov_b32_e32 v6, 0x7f800000
	s_mov_b64 s[0:1], 0x1c0
.LBB23_29:                              ; =>This Inner Loop Header: Depth=1
	global_load_dword v9, v[4:5], off
	v_mov_b32_e32 v7, s3
	ds_read_b64 v[10:11], v7
	s_add_i32 s3, s3, 8
	s_add_i32 s2, s2, -1
	v_lshl_add_u64 v[4:5], v[4:5], 0, s[0:1]
	s_cmp_lg_u32 s2, 0
	s_waitcnt lgkmcnt(0)
	v_sub_f32_e32 v7, v10, v1
	v_mul_f32_e32 v8, 0x3fb8aa3b, v7
	v_fma_f32 v10, v7, s4, -v8
	v_rndne_f32_e32 v12, v8
	v_fmac_f32_e32 v10, 0x32a5705f, v7
	v_sub_f32_e32 v8, v8, v12
	v_add_f32_e32 v8, v8, v10
	v_cvt_i32_f32_e32 v12, v12
	v_exp_f32_e32 v10, v8
	v_cmp_ngt_f32_e32 vcc, s5, v7
	v_mov_b32_e32 v8, v11
	v_ldexp_f32 v10, v10, v12
	v_cndmask_b32_e32 v10, 0, v10, vcc
	v_cmp_nlt_f32_e32 vcc, s6, v7
	s_nop 1
	v_cndmask_b32_e32 v10, v6, v10, vcc
	s_waitcnt vmcnt(0)
	v_pk_fma_f32 v[2:3], v[10:11], v[8:9], v[2:3] op_sel_hi:[0,1,1]
	s_cbranch_scc1 .LBB23_29
.LBB23_30:
	s_waitcnt lgkmcnt(0)
	v_div_scale_f32 v1, s[0:1], v2, v2, v3
	v_rcp_f32_e32 v4, v1
	v_div_scale_f32 v5, vcc, v3, v2, v3
	v_fma_f32 v6, -v1, v4, 1.0
	v_fmac_f32_e32 v4, v6, v4
	v_mul_f32_e32 v6, v5, v4
	v_fma_f32 v7, -v1, v6, v5
	v_fmac_f32_e32 v6, v7, v4
	v_fma_f32 v1, -v1, v6, v5
	v_div_fmas_f32 v1, v1, v4, v6
	v_div_fixup_f32 v1, v1, v2, v3
.LBB23_31:
	s_mul_i32 s0, s22, 0x70
	s_ashr_i32 s1, s0, 31
	s_lshl_b64 s[0:1], s[0:1], 2
	s_add_u32 s0, s14, s0
	s_addc_u32 s1, s15, s1
	v_lshlrev_b32_e32 v0, 2, v0
	global_store_dword v0, v1, s[0:1]
	s_endpgm
	.section	.rodata,"a",@progbits
	.p2align	6, 0x0
	.amdhsa_kernel _ZL26flash_attn_combine_resultsILi112EEvPKfPK15HIP_vector_typeIfLj2EEPfi
		.amdhsa_group_segment_fixed_size 0
		.amdhsa_private_segment_fixed_size 0
		.amdhsa_kernarg_size 288
		.amdhsa_user_sgpr_count 2
		.amdhsa_user_sgpr_dispatch_ptr 0
		.amdhsa_user_sgpr_queue_ptr 0
		.amdhsa_user_sgpr_kernarg_segment_ptr 1
		.amdhsa_user_sgpr_dispatch_id 0
		.amdhsa_user_sgpr_kernarg_preload_length 0
		.amdhsa_user_sgpr_kernarg_preload_offset 0
		.amdhsa_user_sgpr_private_segment_size 0
		.amdhsa_uses_dynamic_stack 0
		.amdhsa_enable_private_segment 0
		.amdhsa_system_sgpr_workgroup_id_x 1
		.amdhsa_system_sgpr_workgroup_id_y 1
		.amdhsa_system_sgpr_workgroup_id_z 1
		.amdhsa_system_sgpr_workgroup_info 0
		.amdhsa_system_vgpr_workitem_id 0
		.amdhsa_next_free_vgpr 57
		.amdhsa_next_free_sgpr 30
		.amdhsa_accum_offset 60
		.amdhsa_reserve_vcc 1
		.amdhsa_float_round_mode_32 0
		.amdhsa_float_round_mode_16_64 0
		.amdhsa_float_denorm_mode_32 3
		.amdhsa_float_denorm_mode_16_64 3
		.amdhsa_dx10_clamp 1
		.amdhsa_ieee_mode 1
		.amdhsa_fp16_overflow 0
		.amdhsa_tg_split 0
		.amdhsa_exception_fp_ieee_invalid_op 0
		.amdhsa_exception_fp_denorm_src 0
		.amdhsa_exception_fp_ieee_div_zero 0
		.amdhsa_exception_fp_ieee_overflow 0
		.amdhsa_exception_fp_ieee_underflow 0
		.amdhsa_exception_fp_ieee_inexact 0
		.amdhsa_exception_int_div_zero 0
	.end_amdhsa_kernel
	.section	.text._ZL26flash_attn_combine_resultsILi112EEvPKfPK15HIP_vector_typeIfLj2EEPfi,"axG",@progbits,_ZL26flash_attn_combine_resultsILi112EEvPKfPK15HIP_vector_typeIfLj2EEPfi,comdat
.Lfunc_end23:
	.size	_ZL26flash_attn_combine_resultsILi112EEvPKfPK15HIP_vector_typeIfLj2EEPfi, .Lfunc_end23-_ZL26flash_attn_combine_resultsILi112EEvPKfPK15HIP_vector_typeIfLj2EEPfi
                                        ; -- End function
	.set _ZL26flash_attn_combine_resultsILi112EEvPKfPK15HIP_vector_typeIfLj2EEPfi.num_vgpr, 57
	.set _ZL26flash_attn_combine_resultsILi112EEvPKfPK15HIP_vector_typeIfLj2EEPfi.num_agpr, 0
	.set _ZL26flash_attn_combine_resultsILi112EEvPKfPK15HIP_vector_typeIfLj2EEPfi.numbered_sgpr, 30
	.set _ZL26flash_attn_combine_resultsILi112EEvPKfPK15HIP_vector_typeIfLj2EEPfi.num_named_barrier, 0
	.set _ZL26flash_attn_combine_resultsILi112EEvPKfPK15HIP_vector_typeIfLj2EEPfi.private_seg_size, 0
	.set _ZL26flash_attn_combine_resultsILi112EEvPKfPK15HIP_vector_typeIfLj2EEPfi.uses_vcc, 1
	.set _ZL26flash_attn_combine_resultsILi112EEvPKfPK15HIP_vector_typeIfLj2EEPfi.uses_flat_scratch, 0
	.set _ZL26flash_attn_combine_resultsILi112EEvPKfPK15HIP_vector_typeIfLj2EEPfi.has_dyn_sized_stack, 0
	.set _ZL26flash_attn_combine_resultsILi112EEvPKfPK15HIP_vector_typeIfLj2EEPfi.has_recursion, 0
	.set _ZL26flash_attn_combine_resultsILi112EEvPKfPK15HIP_vector_typeIfLj2EEPfi.has_indirect_call, 0
	.section	.AMDGPU.csdata,"",@progbits
; Kernel info:
; codeLenInByte = 3040
; TotalNumSgprs: 36
; NumVgprs: 57
; NumAgprs: 0
; TotalNumVgprs: 57
; ScratchSize: 0
; MemoryBound: 0
; FloatMode: 240
; IeeeMode: 1
; LDSByteSize: 0 bytes/workgroup (compile time only)
; SGPRBlocks: 4
; VGPRBlocks: 7
; NumSGPRsForWavesPerEU: 36
; NumVGPRsForWavesPerEU: 57
; AccumOffset: 60
; Occupancy: 8
; WaveLimiterHint : 0
; COMPUTE_PGM_RSRC2:SCRATCH_EN: 0
; COMPUTE_PGM_RSRC2:USER_SGPR: 2
; COMPUTE_PGM_RSRC2:TRAP_HANDLER: 0
; COMPUTE_PGM_RSRC2:TGID_X_EN: 1
; COMPUTE_PGM_RSRC2:TGID_Y_EN: 1
; COMPUTE_PGM_RSRC2:TGID_Z_EN: 1
; COMPUTE_PGM_RSRC2:TIDIG_COMP_CNT: 0
; COMPUTE_PGM_RSRC3_GFX90A:ACCUM_OFFSET: 14
; COMPUTE_PGM_RSRC3_GFX90A:TG_SPLIT: 0
	.section	.text._ZL18flash_attn_ext_f16ILi128ELi128ELi8ELi8ELb0ELb0EEvPKcS1_S1_S1_S1_PKiPfP15HIP_vector_typeIfLj2EEffffjfiS5_IjLj3EEiiiiiiiiiiiliiliiiiil,"axG",@progbits,_ZL18flash_attn_ext_f16ILi128ELi128ELi8ELi8ELb0ELb0EEvPKcS1_S1_S1_S1_PKiPfP15HIP_vector_typeIfLj2EEffffjfiS5_IjLj3EEiiiiiiiiiiiliiliiiiil,comdat
	.globl	_ZL18flash_attn_ext_f16ILi128ELi128ELi8ELi8ELb0ELb0EEvPKcS1_S1_S1_S1_PKiPfP15HIP_vector_typeIfLj2EEffffjfiS5_IjLj3EEiiiiiiiiiiiliiliiiiil ; -- Begin function _ZL18flash_attn_ext_f16ILi128ELi128ELi8ELi8ELb0ELb0EEvPKcS1_S1_S1_S1_PKiPfP15HIP_vector_typeIfLj2EEffffjfiS5_IjLj3EEiiiiiiiiiiiliiliiiiil
	.p2align	8
	.type	_ZL18flash_attn_ext_f16ILi128ELi128ELi8ELi8ELb0ELb0EEvPKcS1_S1_S1_S1_PKiPfP15HIP_vector_typeIfLj2EEffffjfiS5_IjLj3EEiiiiiiiiiiiliiliiiiil,@function
_ZL18flash_attn_ext_f16ILi128ELi128ELi8ELi8ELb0ELb0EEvPKcS1_S1_S1_S1_PKiPfP15HIP_vector_typeIfLj2EEffffjfiS5_IjLj3EEiiiiiiiiiiiliiliiiiil: ; @_ZL18flash_attn_ext_f16ILi128ELi128ELi8ELi8ELb0ELb0EEvPKcS1_S1_S1_S1_PKiPfP15HIP_vector_typeIfLj2EEffffjfiS5_IjLj3EEiiiiiiiiiiiliiliiiiil
; %bb.0:
	s_load_dwordx2 s[4:5], s[0:1], 0x80
	s_load_dwordx4 s[24:27], s[0:1], 0x64
	s_mov_b32 s28, s2
                                        ; implicit-def: $vgpr255 : SGPR spill to VGPR lane
	s_mov_b32 s6, 0
	s_waitcnt lgkmcnt(0)
	s_abs_i32 s2, s5
	v_cvt_f32_u32_e32 v1, s2
	s_sub_i32 s8, 0, s2
	s_abs_i32 s7, s25
	s_xor_b32 s3, s25, s5
	v_rcp_iflag_f32_e32 v1, v1
	s_ashr_i32 s3, s3, 31
	v_mul_f32_e32 v1, 0x4f7ffffe, v1
	v_cvt_u32_f32_e32 v1, v1
	s_nop 0
	v_readfirstlane_b32 s9, v1
	s_mul_i32 s8, s8, s9
	s_mul_hi_u32 s8, s9, s8
	s_add_i32 s9, s9, s8
	s_mul_hi_u32 s8, s7, s9
	s_mul_i32 s9, s8, s2
	s_sub_i32 s7, s7, s9
	s_add_i32 s10, s8, 1
	s_sub_i32 s9, s7, s2
	s_cmp_ge_u32 s7, s2
	s_cselect_b32 s8, s10, s8
	s_cselect_b32 s7, s9, s7
	s_add_i32 s9, s8, 1
	s_cmp_ge_u32 s7, s2
	s_cselect_b32 s2, s9, s8
	s_add_i32 s4, s4, 63
	s_xor_b32 s2, s2, s3
	s_ashr_i32 s7, s4, 31
	s_sub_i32 s33, s2, s3
	s_lshr_b32 s2, s7, 26
	s_add_i32 s4, s4, s2
	s_add_i32 s2, s24, 7
	s_lshr_b32 s7, s2, 3
	s_add_i32 s2, s33, 7
	s_ashr_i32 s3, s4, 6
	s_ashr_i32 s4, s2, 31
	s_lshr_b32 s4, s4, 29
	s_add_i32 s2, s2, s4
	s_ashr_i32 s2, s2, 3
	s_mul_i32 s4, s7, s3
	s_mul_i32 s62, s4, s2
	;; [unrolled: 1-line block ×4, first 2 shown]
	v_writelane_b32 v255, s7, 0
	s_ashr_i32 s10, s2, 31
	v_writelane_b32 v255, s4, 1
	s_mul_i32 s4, s10, s28
	s_mul_hi_u32 s5, s2, s28
	s_load_dword s26, s[0:1], 0xd0
	s_add_i32 s7, s5, s4
	s_add_u32 s30, s0, 0xd0
	s_addc_u32 s31, s1, 0
	s_cmp_lg_u64 s[6:7], 0
	s_mul_i32 s6, s2, s28
	s_cbranch_scc0 .LBB24_5
; %bb.1:
	s_waitcnt lgkmcnt(0)
	s_add_u32 s4, s26, 0
	s_addc_u32 s5, 0, 0
	s_xor_b64 s[8:9], s[4:5], 0
	v_cvt_f32_u32_e32 v1, s8
	v_cvt_f32_u32_e32 v2, s9
	s_sub_u32 s11, 0, s8
	s_subb_u32 s14, 0, s9
	v_fmamk_f32 v1, v2, 0x4f800000, v1
	v_rcp_f32_e32 v1, v1
	s_nop 0
	v_mul_f32_e32 v1, 0x5f7ffffc, v1
	v_mul_f32_e32 v2, 0x2f800000, v1
	v_trunc_f32_e32 v2, v2
	v_fmamk_f32 v1, v2, 0xcf800000, v1
	v_cvt_u32_f32_e32 v2, v2
	v_cvt_u32_f32_e32 v1, v1
	v_readfirstlane_b32 s15, v2
	v_readfirstlane_b32 s12, v1
	s_mul_i32 s13, s11, s15
	s_mul_hi_u32 s17, s11, s12
	s_mul_i32 s16, s14, s12
	s_add_i32 s13, s17, s13
	s_add_i32 s13, s13, s16
	s_mul_i32 s18, s11, s12
	s_mul_i32 s17, s12, s13
	s_mul_hi_u32 s19, s12, s18
	s_mul_hi_u32 s16, s12, s13
	s_add_u32 s17, s19, s17
	s_addc_u32 s16, 0, s16
	s_mul_hi_u32 s20, s15, s18
	s_mul_i32 s18, s15, s18
	s_add_u32 s17, s17, s18
	s_mul_hi_u32 s19, s15, s13
	s_addc_u32 s16, s16, s20
	s_addc_u32 s17, s19, 0
	s_mul_i32 s13, s15, s13
	s_add_u32 s13, s16, s13
	s_addc_u32 s16, 0, s17
	s_add_u32 s17, s12, s13
	s_cselect_b64 s[12:13], -1, 0
	s_cmp_lg_u64 s[12:13], 0
	s_addc_u32 s15, s15, s16
	s_mul_i32 s12, s11, s15
	s_mul_hi_u32 s13, s11, s17
	s_add_i32 s12, s13, s12
	s_mul_i32 s14, s14, s17
	s_add_i32 s12, s12, s14
	s_mul_i32 s11, s11, s17
	s_mul_hi_u32 s14, s15, s11
	s_mul_i32 s16, s15, s11
	s_mul_i32 s19, s17, s12
	s_mul_hi_u32 s11, s17, s11
	s_mul_hi_u32 s18, s17, s12
	s_add_u32 s11, s11, s19
	s_addc_u32 s18, 0, s18
	s_add_u32 s11, s11, s16
	s_mul_hi_u32 s13, s15, s12
	s_addc_u32 s11, s18, s14
	s_addc_u32 s13, s13, 0
	s_mul_i32 s12, s15, s12
	s_add_u32 s11, s11, s12
	s_addc_u32 s14, 0, s13
	s_add_u32 s11, s17, s11
	s_cselect_b64 s[12:13], -1, 0
	s_cmp_lg_u64 s[12:13], 0
	s_addc_u32 s16, s15, s14
	s_ashr_i32 s12, s7, 31
	s_add_u32 s14, s6, s12
	s_mov_b32 s13, s12
	s_addc_u32 s15, s7, s12
	s_xor_b64 s[14:15], s[14:15], s[12:13]
	s_mul_i32 s17, s14, s16
	s_mul_hi_u32 s18, s14, s11
	s_mul_hi_u32 s7, s14, s16
	s_add_u32 s17, s18, s17
	s_addc_u32 s7, 0, s7
	s_mul_hi_u32 s19, s15, s11
	s_mul_i32 s11, s15, s11
	s_add_u32 s11, s17, s11
	s_mul_hi_u32 s18, s15, s16
	s_addc_u32 s7, s7, s19
	s_addc_u32 s11, s18, 0
	s_mul_i32 s16, s15, s16
	s_add_u32 s7, s7, s16
	s_addc_u32 s11, 0, s11
	s_mul_i32 s16, s8, s11
	s_mul_hi_u32 s17, s8, s7
	s_add_i32 s16, s17, s16
	s_mul_i32 s17, s9, s7
	s_add_i32 s20, s16, s17
	s_sub_i32 s18, s15, s20
	s_mul_i32 s16, s8, s7
	s_sub_u32 s14, s14, s16
	s_cselect_b64 s[16:17], -1, 0
	s_cmp_lg_u64 s[16:17], 0
	s_subb_u32 s21, s18, s9
	s_sub_u32 s22, s14, s8
	s_cselect_b64 s[18:19], -1, 0
	s_cmp_lg_u64 s[18:19], 0
	s_subb_u32 s18, s21, 0
	s_cmp_ge_u32 s18, s9
	s_cselect_b32 s19, -1, 0
	s_cmp_ge_u32 s22, s8
	s_cselect_b32 s21, -1, 0
	s_cmp_eq_u32 s18, s9
	s_cselect_b32 s18, s21, s19
	s_add_u32 s19, s7, 1
	s_addc_u32 s21, s11, 0
	s_add_u32 s22, s7, 2
	s_addc_u32 s23, s11, 0
	s_cmp_lg_u32 s18, 0
	s_cselect_b32 s18, s22, s19
	s_cselect_b32 s19, s23, s21
	s_cmp_lg_u64 s[16:17], 0
	s_subb_u32 s15, s15, s20
	s_cmp_ge_u32 s15, s9
	s_cselect_b32 s16, -1, 0
	s_cmp_ge_u32 s14, s8
	s_cselect_b32 s8, -1, 0
	s_cmp_eq_u32 s15, s9
	s_cselect_b32 s8, s8, s16
	s_cmp_lg_u32 s8, 0
	s_cselect_b32 s9, s19, s11
	s_cselect_b32 s8, s18, s7
	s_xor_b64 s[12:13], s[12:13], 0
	s_xor_b64 s[8:9], s[8:9], s[12:13]
	s_sub_u32 s50, s8, s12
	s_load_dwordx2 s[48:49], s[0:1], 0x74
	v_cvt_f32_u32_e32 v1, s26
	s_cbranch_execnz .LBB24_3
.LBB24_2:
	v_rcp_iflag_f32_e32 v2, v1
	s_sub_i32 s4, 0, s26
	v_mul_f32_e32 v2, 0x4f7ffffe, v2
	v_cvt_u32_f32_e32 v2, v2
	s_nop 0
	v_readfirstlane_b32 s5, v2
	s_mul_i32 s4, s4, s5
	s_mul_hi_u32 s4, s5, s4
	s_add_i32 s5, s5, s4
	s_mul_hi_u32 s4, s6, s5
	s_mul_i32 s7, s4, s26
	s_sub_i32 s6, s6, s7
	s_add_i32 s5, s4, 1
	s_sub_i32 s7, s6, s26
	s_cmp_ge_u32 s6, s26
	s_cselect_b32 s4, s5, s4
	s_cselect_b32 s6, s7, s6
	s_add_i32 s5, s4, 1
	s_cmp_ge_u32 s6, s26
	s_cselect_b32 s50, s5, s4
.LBB24_3:
	s_add_i32 s4, s28, 1
	s_mul_i32 s5, s10, s4
	s_mul_hi_u32 s6, s2, s4
	s_add_i32 s9, s6, s5
	s_mov_b32 s8, 0
	s_cmp_lg_u64 s[8:9], 0
	s_mul_i32 s2, s2, s4
	s_cbranch_scc0 .LBB24_6
; %bb.4:
	s_add_u32 s4, s26, 0
	s_addc_u32 s5, 0, 0
	s_xor_b64 s[6:7], s[4:5], 0
	v_cvt_f32_u32_e32 v2, s6
	v_cvt_f32_u32_e32 v3, s7
	s_sub_u32 s8, 0, s6
	s_subb_u32 s12, 0, s7
	s_mov_b64 s[4:5], 0
	v_fmamk_f32 v2, v3, 0x4f800000, v2
	v_rcp_f32_e32 v2, v2
	s_nop 0
	v_mul_f32_e32 v2, 0x5f7ffffc, v2
	v_mul_f32_e32 v3, 0x2f800000, v2
	v_trunc_f32_e32 v3, v3
	v_fmamk_f32 v2, v3, 0xcf800000, v2
	v_cvt_u32_f32_e32 v3, v3
	v_cvt_u32_f32_e32 v2, v2
	v_readfirstlane_b32 s13, v3
	v_readfirstlane_b32 s10, v2
	s_mul_i32 s11, s8, s13
	s_mul_hi_u32 s15, s8, s10
	s_mul_i32 s14, s12, s10
	s_add_i32 s11, s15, s11
	s_add_i32 s11, s11, s14
	s_mul_i32 s16, s8, s10
	s_mul_i32 s15, s10, s11
	s_mul_hi_u32 s17, s10, s16
	s_mul_hi_u32 s14, s10, s11
	s_add_u32 s15, s17, s15
	s_addc_u32 s14, 0, s14
	s_mul_hi_u32 s18, s13, s16
	s_mul_i32 s16, s13, s16
	s_add_u32 s15, s15, s16
	s_mul_hi_u32 s17, s13, s11
	s_addc_u32 s14, s14, s18
	s_addc_u32 s15, s17, 0
	s_mul_i32 s11, s13, s11
	s_add_u32 s11, s14, s11
	s_addc_u32 s14, 0, s15
	s_add_u32 s15, s10, s11
	s_cselect_b64 s[10:11], -1, 0
	s_cmp_lg_u64 s[10:11], 0
	s_addc_u32 s13, s13, s14
	s_mul_i32 s10, s8, s13
	s_mul_hi_u32 s11, s8, s15
	s_add_i32 s10, s11, s10
	s_mul_i32 s12, s12, s15
	s_add_i32 s10, s10, s12
	s_mul_i32 s8, s8, s15
	s_mul_hi_u32 s12, s13, s8
	s_mul_i32 s14, s13, s8
	s_mul_i32 s17, s15, s10
	s_mul_hi_u32 s8, s15, s8
	s_mul_hi_u32 s16, s15, s10
	s_add_u32 s8, s8, s17
	s_addc_u32 s16, 0, s16
	s_add_u32 s8, s8, s14
	s_mul_hi_u32 s11, s13, s10
	s_addc_u32 s8, s16, s12
	s_addc_u32 s11, s11, 0
	s_mul_i32 s10, s13, s10
	s_add_u32 s8, s8, s10
	s_addc_u32 s12, 0, s11
	s_add_u32 s14, s15, s8
	s_cselect_b64 s[10:11], -1, 0
	s_cmp_lg_u64 s[10:11], 0
	s_addc_u32 s12, s13, s12
	s_ashr_i32 s10, s9, 31
	s_add_u32 s8, s2, s10
	s_mov_b32 s11, s10
	s_addc_u32 s9, s9, s10
	s_xor_b64 s[8:9], s[8:9], s[10:11]
	s_mul_i32 s15, s8, s12
	s_mul_hi_u32 s16, s8, s14
	s_mul_hi_u32 s13, s8, s12
	s_add_u32 s15, s16, s15
	s_addc_u32 s13, 0, s13
	s_mul_hi_u32 s17, s9, s14
	s_mul_i32 s14, s9, s14
	s_add_u32 s14, s15, s14
	s_mul_hi_u32 s16, s9, s12
	s_addc_u32 s13, s13, s17
	s_addc_u32 s14, s16, 0
	s_mul_i32 s12, s9, s12
	s_add_u32 s16, s13, s12
	s_addc_u32 s17, 0, s14
	s_mul_i32 s12, s6, s17
	s_mul_hi_u32 s13, s6, s16
	s_add_i32 s12, s13, s12
	s_mul_i32 s13, s7, s16
	s_add_i32 s18, s12, s13
	s_sub_i32 s14, s9, s18
	s_mul_i32 s12, s6, s16
	s_sub_u32 s8, s8, s12
	s_cselect_b64 s[12:13], -1, 0
	s_cmp_lg_u64 s[12:13], 0
	s_subb_u32 s19, s14, s7
	s_sub_u32 s20, s8, s6
	s_cselect_b64 s[14:15], -1, 0
	s_cmp_lg_u64 s[14:15], 0
	s_subb_u32 s14, s19, 0
	s_cmp_ge_u32 s14, s7
	s_cselect_b32 s15, -1, 0
	s_cmp_ge_u32 s20, s6
	s_cselect_b32 s19, -1, 0
	s_cmp_eq_u32 s14, s7
	s_cselect_b32 s14, s19, s15
	s_add_u32 s15, s16, 1
	s_addc_u32 s19, s17, 0
	s_add_u32 s20, s16, 2
	s_addc_u32 s21, s17, 0
	s_cmp_lg_u32 s14, 0
	s_cselect_b32 s14, s20, s15
	s_cselect_b32 s15, s21, s19
	s_cmp_lg_u64 s[12:13], 0
	s_subb_u32 s9, s9, s18
	s_cmp_ge_u32 s9, s7
	s_cselect_b32 s12, -1, 0
	s_cmp_ge_u32 s8, s6
	s_cselect_b32 s6, -1, 0
	s_cmp_eq_u32 s9, s7
	s_cselect_b32 s6, s6, s12
	s_cmp_lg_u32 s6, 0
	s_cselect_b32 s7, s15, s17
	s_cselect_b32 s6, s14, s16
	s_xor_b64 s[8:9], s[10:11], 0
	s_xor_b64 s[6:7], s[6:7], s[8:9]
	s_sub_u32 s54, s6, s8
	s_branch .LBB24_7
.LBB24_5:
                                        ; implicit-def: $sgpr50_sgpr51
	s_load_dwordx2 s[48:49], s[0:1], 0x74
	s_waitcnt lgkmcnt(0)
	v_cvt_f32_u32_e32 v1, s26
	s_branch .LBB24_2
.LBB24_6:
	s_mov_b64 s[4:5], -1
                                        ; implicit-def: $sgpr54_sgpr55
.LBB24_7:
	s_load_dwordx2 s[40:41], s[0:1], 0x5c
	v_writelane_b32 v255, s30, 2
	s_andn2_b64 vcc, exec, s[4:5]
	s_nop 0
	v_writelane_b32 v255, s31, 3
	v_writelane_b32 v255, s28, 4
	s_cbranch_vccnz .LBB24_9
; %bb.8:
	v_rcp_iflag_f32_e32 v1, v1
	s_sub_i32 s4, 0, s26
	v_mul_f32_e32 v1, 0x4f7ffffe, v1
	v_cvt_u32_f32_e32 v1, v1
	s_nop 0
	v_readfirstlane_b32 s5, v1
	s_mul_i32 s4, s4, s5
	s_mul_hi_u32 s4, s5, s4
	s_add_i32 s5, s5, s4
	s_mul_hi_u32 s4, s2, s5
	s_mul_i32 s6, s4, s26
	s_sub_i32 s2, s2, s6
	s_add_i32 s5, s4, 1
	s_sub_i32 s6, s2, s26
	s_cmp_ge_u32 s2, s26
	s_cselect_b32 s4, s5, s4
	s_cselect_b32 s2, s6, s2
	s_add_i32 s5, s4, 1
	s_cmp_ge_u32 s2, s26
	s_cselect_b32 s54, s5, s4
.LBB24_9:
	s_abs_i32 s2, s3
	v_cvt_f32_u32_e32 v1, s2
	s_load_dwordx16 s[8:23], s[0:1], 0x0
	s_load_dword s34, s[0:1], 0x40
	s_load_dwordx2 s[4:5], s[0:1], 0x8c
	s_load_dwordx4 s[28:31], s[0:1], 0x98
	s_load_dwordx2 s[42:43], s[0:1], 0xa8
	s_load_dwordx2 s[68:69], s[0:1], 0xb8
	s_load_dwordx2 s[44:45], s[0:1], 0xc8
	v_writelane_b32 v255, s26, 5
	s_waitcnt lgkmcnt(0)
	s_ashr_i32 s26, s4, 2
	v_rcp_iflag_f32_e32 v1, v1
	s_sub_i32 s4, 0, s2
	s_mov_b32 s1, s5
	v_writelane_b32 v255, s0, 6
	v_mul_f32_e32 v1, 0x4f7ffffe, v1
	v_cvt_u32_f32_e32 v1, v1
	v_writelane_b32 v255, s1, 7
	s_abs_i32 s1, s50
	s_ashr_i32 s51, s27, 3
	v_readfirstlane_b32 s46, v1
	s_mul_i32 s4, s4, s46
	s_mul_hi_u32 s4, s46, s4
	s_add_i32 s46, s46, s4
	s_mul_hi_u32 s4, s1, s46
	s_mul_i32 s4, s4, s2
	s_sub_i32 s1, s1, s4
	s_ashr_i32 s53, s48, 3
	s_ashr_i32 s38, s69, 1
	;; [unrolled: 1-line block ×5, first 2 shown]
	s_sub_i32 s4, s1, s2
	s_cmp_ge_u32 s1, s2
	s_cselect_b32 s1, s4, s1
	s_sub_i32 s4, s1, s2
	s_cmp_ge_u32 s1, s2
	s_cselect_b32 s1, s4, s1
	s_xor_b32 s1, s1, s0
	s_sub_i32 s52, s1, s0
	s_sub_i32 s0, s54, s50
	s_add_i32 s6, s0, s52
	s_min_i32 s35, s3, s6
	s_cmp_gt_i32 s54, s50
	s_cselect_b64 s[4:5], -1, 0
	s_cmp_le_i32 s54, s50
	s_cselect_b64 s[0:1], -1, 0
	s_cmp_gt_i32 s3, s6
	v_cvt_f16_f32_e32 v1, s34
	s_cselect_b64 s[6:7], -1, 0
	s_or_b64 s[0:1], s[6:7], s[0:1]
	v_bfe_u32 v167, v0, 10, 10
	s_mov_b32 s57, 0
	s_and_b64 vcc, exec, s[0:1]
	v_bfe_u32 v50, v0, 10, 3
	v_lshrrev_b32_e32 v51, 10, v0
	v_add_u32_e32 v170, 4, v167
	v_add_u32_e32 v14, 8, v167
	;; [unrolled: 1-line block ×15, first 2 shown]
	v_writelane_b32 v255, s53, 8
	s_cbranch_vccnz .LBB24_355
; %bb.10:
	s_cmp_eq_u64 s[16:17], 0
	s_cselect_b64 s[58:59], -1, 0
	s_cmp_lg_u64 s[18:19], 0
	s_cselect_b64 s[0:1], -1, 0
	v_writelane_b32 v255, s0, 9
	v_and_b32_e32 v4, 15, v0
	v_bfe_u32 v6, v0, 1, 9
	v_writelane_b32 v255, s1, 10
	s_movk_i32 s0, 0x1100
	v_and_b32_e32 v52, 0x3ff, v0
	v_mad_u32_u24 v3, v167, s0, 0
	v_mul_u32_u24_e32 v5, 0x110, v4
	v_and_b32_e32 v7, 0x78, v6
	v_add3_u32 v53, v3, v5, v7
	v_lshlrev_b32_e32 v5, 1, v52
	v_and_b32_e32 v54, 62, v5
	v_bfe_u32 v5, v0, 4, 6
	v_lshl_add_u32 v5, v167, 2, v5
	v_mul_lo_u32 v60, s26, v5
	s_lshl_b32 s0, s26, 4
	v_add_u32_e32 v62, s0, v60
	v_add_u32_e32 v64, s0, v62
	;; [unrolled: 1-line block ×3, first 2 shown]
	v_readlane_b32 s0, v255, 4
	s_mov_b32 s1, s57
	s_lshl_b32 s56, s0, 6
	v_writelane_b32 v255, s0, 11
	s_ashr_i32 s39, s38, 31
	s_ashr_i32 s27, s26, 31
	;; [unrolled: 1-line block ×3, first 2 shown]
	s_lshl_b32 s7, s36, 4
	v_writelane_b32 v255, s1, 12
	s_lshl_b64 s[0:1], s[56:57], 3
	s_add_u32 s0, s22, s0
	s_addc_u32 s1, s23, s1
	s_abs_i32 s55, s63
	v_bfe_u32 v3, v0, 5, 5
	v_cvt_f32_u32_e32 v11, s55
	v_lshlrev_b32_e32 v2, 2, v52
	v_lshl_add_u32 v55, v167, 1, v3
	v_mul_u32_u24_e32 v3, 0x90, v55
	v_mul_u32_u24_e32 v8, 0x110, v5
	v_and_b32_e32 v58, 60, v2
	v_mul_lo_u32 v68, s36, v5
	v_lshlrev_b32_e32 v5, 1, v54
	v_add3_u32 v59, 0, v3, v5
	v_lshlrev_b32_e32 v3, 2, v58
	v_add3_u32 v171, 0, v8, v3
	v_rcp_iflag_f32_e32 v3, v11
	s_abs_i32 s34, s62
	v_cvt_f32_u32_e32 v8, s34
	v_readlane_b32 s47, v255, 1
	v_mul_f32_e32 v3, 0x4f7ffffe, v3
	v_cvt_u32_f32_e32 v3, v3
	s_abs_i32 s56, s47
	v_cvt_f32_u32_e32 v12, s56
	v_rcp_iflag_f32_e32 v8, v8
	s_sub_i32 s30, 0, s55
	v_mul_lo_u32 v11, s30, v3
	v_mul_hi_u32 v11, v3, v11
	s_abs_i32 s57, s68
	v_add_u32_e32 v172, v3, v11
	v_rcp_iflag_f32_e32 v11, v12
	v_cvt_f32_u32_e32 v12, s57
	v_mul_f32_e32 v8, 0x4f7ffffe, v8
	v_cvt_u32_f32_e32 v8, v8
	v_mul_f32_e32 v11, 0x4f7ffffe, v11
	v_rcp_iflag_f32_e32 v12, v12
	s_sub_i32 s30, 0, s34
	v_cvt_u32_f32_e32 v11, v11
	v_mul_lo_u32 v3, s30, v8
	v_mul_hi_u32 v3, v8, v3
	v_add_u32_e32 v173, v8, v3
	s_sub_i32 s30, 0, s56
	v_mul_f32_e32 v8, 0x4f7ffffe, v12
	v_lshlrev_b32_e32 v9, 4, v167
	v_mul_lo_u32 v3, s30, v11
	v_cvt_u32_f32_e32 v8, v8
	v_or_b32_e32 v5, v9, v52
	v_mul_hi_u32 v3, v11, v3
	v_mov_b32_e32 v57, 0
	v_lshlrev_b32_e32 v56, 3, v5
	v_add_u32_e32 v174, v11, v3
	v_and_b32_e32 v3, 31, v0
	v_lshl_add_u64 v[74:75], s[0:1], 0, v[56:57]
	v_lshlrev_b32_e32 v56, 2, v3
	v_bfe_u32 v3, v0, 2, 8
	s_movk_i32 s5, 0x110
	v_readfirstlane_b32 s30, v8
	v_and_b32_e32 v8, 60, v3
	v_or_b32_e32 v3, 3, v3
	v_lshl_add_u32 v178, v4, 1, 0
	v_mul_u32_u24_e32 v180, 0x110, v3
	v_mad_u32_u24 v181, v3, s5, v178
	v_mov_b32_e32 v3, 0x440
	v_mad_u32_u24 v182, v167, s5, v3
	v_mov_b32_e32 v3, 0x880
	v_mad_u32_u24 v183, v167, s5, v3
	v_mov_b32_e32 v3, 0xcc0
	v_mad_u32_u24 v184, v167, s5, v3
	v_mov_b32_e32 v3, 0x1100
	v_mad_u32_u24 v185, v167, s5, v3
	v_mov_b32_e32 v3, 0x1540
	v_mad_u32_u24 v193, v167, s5, 0
	v_and_or_b32 v10, v0, 8, v9
	v_mad_u32_u24 v186, v167, s5, v3
	v_mov_b32_e32 v3, 0x1980
	v_add_u32_e32 v11, 0x440, v193
	s_movk_i32 s6, 0x90
	v_lshrrev_b32_e32 v10, 3, v10
	s_movk_i32 s0, 0x1fc
	v_mad_u32_u24 v187, v167, s5, v3
	v_or_b32_e32 v3, v9, v4
	v_add_u32_e32 v189, v11, v2
	v_add_u32_e32 v11, 0x880, v193
	;; [unrolled: 1-line block ×3, first 2 shown]
	v_mad_u32_u24 v7, v10, s6, 0
	v_bitop3_b32 v6, v6, s0, 4 bitop3:0xc8
	v_mul_u32_u24_e32 v188, 0x110, v3
	s_movk_i32 s6, 0x1f0
	v_bfe_u32 v3, v0, 10, 4
	v_add_u32_e32 v11, v11, v2
	v_add_u32_e32 v176, v7, v6
	v_and_or_b32 v6, v166, s6, v3
	scratch_store_dword off, v11, off       ; 4-byte Folded Spill
	v_add_u32_e32 v11, 0xcc0, v193
	v_mad_u32_u24 v9, v6, s5, 0
	v_add_u32_e32 v11, v11, v2
	scratch_store_dword off, v11, off offset:4 ; 4-byte Folded Spill
	scratch_store_dword off, v9, off offset:12 ; 4-byte Folded Spill
	v_add_u32_e32 v9, v9, v2
	scratch_store_dword off, v9, off offset:16 ; 4-byte Folded Spill
	v_add_u32_e32 v9, 0x1540, v193
	v_add_u32_e32 v9, v9, v2
	scratch_store_dword off, v9, off offset:20 ; 4-byte Folded Spill
	v_add_u32_e32 v9, 0x1980, v193
	v_add_u32_e32 v9, v9, v2
	v_lshl_add_u32 v177, v8, 1, v7
	v_and_or_b32 v7, v109, s6, v3
	scratch_store_dword off, v9, off offset:24 ; 4-byte Folded Spill
	v_add_u32_e32 v9, 0x1dc0, v193
	v_mad_u32_u24 v10, v7, s5, 0
	v_add_u32_e32 v9, v9, v2
	scratch_store_dword off, v9, off offset:28 ; 4-byte Folded Spill
	scratch_store_dword off, v10, off offset:36 ; 4-byte Folded Spill
	v_add_u32_e32 v9, v10, v2
	scratch_store_dword off, v9, off offset:40 ; 4-byte Folded Spill
	v_add_u32_e32 v9, 0x2640, v193
	v_add_u32_e32 v9, v9, v2
	scratch_store_dword off, v9, off offset:44 ; 4-byte Folded Spill
	v_add_u32_e32 v9, 0x2a80, v193
	v_add_u32_e32 v9, v9, v2
	v_and_or_b32 v3, v93, s6, v3
	scratch_store_dword off, v9, off offset:48 ; 4-byte Folded Spill
	v_add_u32_e32 v9, 0x2ec0, v193
	v_mad_u32_u24 v179, v8, s5, v178
	v_mul_u32_u24_e32 v8, 0x110, v6
	v_mul_u32_u24_e32 v6, 0x110, v7
	;; [unrolled: 1-line block ×3, first 2 shown]
	v_mad_u32_u24 v3, v3, s5, 0
	v_add_u32_e32 v9, v9, v2
	scratch_store_dword off, v9, off offset:52 ; 4-byte Folded Spill
	scratch_store_dword off, v3, off offset:60 ; 4-byte Folded Spill
	v_add_u32_e32 v3, v3, v2
	v_cmp_gt_u32_e64 s[0:1], 16, v52
	scratch_store_dword off, v3, off offset:64 ; 4-byte Folded Spill
	v_add_u32_e32 v3, 0x3740, v193
	v_writelane_b32 v255, s0, 13
	v_add_u32_e32 v3, v3, v2
	scratch_store_dword off, v3, off offset:68 ; 4-byte Folded Spill
	v_writelane_b32 v255, s1, 14
	v_add_u32_e32 v3, 0x3b80, v193
	s_ashr_i32 s0, s63, 31
	s_sub_i32 s6, 0, s57
	v_add_u32_e32 v3, v3, v2
	v_writelane_b32 v255, s0, 15
	s_ashr_i32 s0, s62, 31
	s_mul_i32 s6, s6, s30
	v_add_u32_e32 v70, s7, v68
	scratch_store_dword off, v3, off offset:72 ; 4-byte Folded Spill
	v_add_u32_e32 v3, 0x3fc0, v193
	v_writelane_b32 v255, s0, 16
	s_ashr_i32 s0, s47, 31
	s_mul_hi_u32 s6, s30, s6
	v_add_u32_e32 v72, s7, v70
	v_add_u32_e32 v192, 0, v2
	;; [unrolled: 1-line block ×4, first 2 shown]
	v_writelane_b32 v255, s0, 17
	s_add_i32 s0, s30, s6
	v_add_u32_e32 v76, s7, v72
	scratch_store_dword off, v2, off offset:76 ; 4-byte Folded Spill
	v_writelane_b32 v255, s0, 18
	s_lshl_b64 s[0:1], s[38:39], 1
	v_add_u32_e32 v2, v192, v8
	s_mov_b32 s4, 0x10001
	v_ashrrev_i32_e32 v61, 31, v60
	v_ashrrev_i32_e32 v63, 31, v62
	;; [unrolled: 1-line block ×8, first 2 shown]
	v_mul_u32_u24_e32 v5, 0x110, v5
	v_writelane_b32 v255, s0, 19
	scratch_store_dword off, v2, off offset:8 ; 4-byte Folded Spill
	v_add_u32_e32 v2, v192, v6
	v_mbcnt_lo_u32_b32 v250, -1, 0
	v_and_b32_e32 v84, 7, v170
	v_and_b32_e32 v88, 7, v13
	;; [unrolled: 1-line block ×8, first 2 shown]
	v_writelane_b32 v255, s1, 20
	v_mad_u32_u24 v222, v4, s5, v175
	v_lshlrev_b32_e32 v78, 4, v4
	v_mov_b32_e32 v79, v57
	s_lshl_b64 s[64:65], s[36:37], 8
	s_lshl_b64 s[66:67], s[26:27], 8
	s_mov_b32 s39, 0x3fb8aa3b
	s_mov_b32 s60, 0xc2ce8ed0
	s_mov_b32 s61, 0x42b17218
	s_mov_b32 s30, 0xc1a00000
	s_mov_b32 s47, 0x5040100
	scratch_store_dword off, v2, off offset:32 ; 4-byte Folded Spill
	v_add_u32_e32 v2, v192, v7
	v_add_u32_e32 v226, 0, v5
	v_mul_lo_u32 v227, v1, s4
	v_add_u32_e32 v228, 0x1100, v171
	v_add_u32_e32 v229, 0x2200, v171
	;; [unrolled: 1-line block ×6, first 2 shown]
	v_mul_u32_u24_e32 v234, 0x110, v167
	v_lshrrev_b32_e32 v235, 3, v170
	v_lshrrev_b32_e32 v236, 3, v14
	;; [unrolled: 1-line block ×15, first 2 shown]
	v_mbcnt_hi_u32_b32 v202, -1, v250
	v_mov_b32_e32 v252, 0x7f800000
	v_and_b32_e32 v80, 7, v0
	v_mad_u64_u32 v[82:83], s[4:5], v50, s53, v[52:53]
	v_mad_u64_u32 v[86:87], s[4:5], v84, s53, v[52:53]
	v_mad_u64_u32 v[90:91], s[4:5], v88, s53, v[52:53]
	v_mad_u64_u32 v[94:95], s[4:5], v92, s53, v[52:53]
	v_mad_u64_u32 v[98:99], s[4:5], v96, s53, v[52:53]
	v_mad_u64_u32 v[102:103], s[4:5], v100, s53, v[52:53]
	v_mad_u64_u32 v[106:107], s[4:5], v104, s53, v[52:53]
	v_mad_u64_u32 v[110:111], s[4:5], v108, s53, v[52:53]
	v_mad_u64_u32 v[114:115], s[4:5], v112, s53, v[52:53]
	v_lshl_add_u64 v[190:191], s[14:15], 0, v[56:57]
	v_lshl_add_u64 v[168:169], v[68:69], 2, s[12:13]
	;; [unrolled: 1-line block ×9, first 2 shown]
	s_mov_b32 s1, s69
	scratch_store_dword off, v2, off offset:56 ; 4-byte Folded Spill
	s_branch .LBB24_12
.LBB24_11:                              ;   in Loop: Header=BB24_12 Depth=1
	s_or_b64 exec, exec, s[4:5]
	s_add_i32 s4, s50, s3
	s_abs_i32 s6, s4
	s_mul_hi_u32 s7, s6, s46
	s_mul_i32 s7, s7, s2
	s_sub_i32 s6, s6, s7
	s_ashr_i32 s5, s4, 31
	s_sub_i32 s7, s6, s2
	s_cmp_ge_u32 s6, s2
	s_cselect_b32 s6, s7, s6
	s_sub_i32 s7, s6, s2
	s_cmp_ge_u32 s6, s2
	s_cselect_b32 s6, s7, s6
	s_xor_b32 s6, s6, s5
	s_sub_i32 s5, s5, s6
	s_add_i32 s50, s4, s5
	s_sub_i32 s6, s54, s50
	s_min_i32 s35, s3, s6
	s_cmp_gt_i32 s54, s50
	s_cselect_b64 s[4:5], -1, 0
	s_cmp_le_i32 s3, s6
	s_cselect_b64 s[6:7], -1, 0
	s_and_b64 s[6:7], s[6:7], s[4:5]
	s_mov_b32 s52, 0
	s_and_b64 vcc, exec, s[6:7]
	s_mov_b32 s68, s0
	s_cbranch_vccz .LBB24_356
.LBB24_12:                              ; =>This Loop Header: Depth=1
                                        ;     Child Loop BB24_83 Depth 2
                                        ;     Child Loop BB24_252 Depth 2
	s_abs_i32 s5, s50
	v_mul_hi_u32 v2, s5, v172
	v_mul_lo_u32 v3, v2, s55
	v_sub_u32_e32 v3, s5, v3
	v_add_u32_e32 v4, 1, v2
	v_subrev_u32_e32 v5, s55, v3
	v_cmp_le_u32_e32 vcc, s55, v3
	s_ashr_i32 s4, s50, 31
	v_readlane_b32 s0, v255, 15
	v_cndmask_b32_e32 v2, v2, v4, vcc
	v_cndmask_b32_e32 v3, v3, v5, vcc
	v_add_u32_e32 v4, 1, v2
	v_cmp_le_u32_e32 vcc, s55, v3
	s_xor_b32 s4, s4, s0
	v_readlane_b32 s0, v255, 16
	v_cndmask_b32_e32 v2, v2, v4, vcc
	v_xor_b32_e32 v2, s4, v2
	v_subrev_u32_e32 v2, s4, v2
	v_mul_lo_u32 v3, v2, s63
	v_sub_u32_e32 v4, s50, v3
	v_sub_u32_e32 v5, 0, v4
	v_max_i32_e32 v5, v4, v5
	v_mul_hi_u32 v6, v5, v173
	v_mul_lo_u32 v7, v6, s34
	v_sub_u32_e32 v5, v5, v7
	v_add_u32_e32 v7, 1, v6
	v_subrev_u32_e32 v8, s34, v5
	v_cmp_le_u32_e32 vcc, s34, v5
	v_ashrrev_i32_e32 v3, 31, v4
	v_xor_b32_e32 v3, s0, v3
	v_cndmask_b32_e32 v6, v6, v7, vcc
	v_cndmask_b32_e32 v5, v5, v8, vcc
	v_add_u32_e32 v7, 1, v6
	v_cmp_le_u32_e32 vcc, s34, v5
	v_readlane_b32 s0, v255, 17
	v_readlane_b32 s4, v255, 1
	v_cndmask_b32_e32 v5, v6, v7, vcc
	v_xor_b32_e32 v5, v5, v3
	v_sub_u32_e32 v3, v5, v3
	v_mul_lo_u32 v5, v3, s62
	v_sub_u32_e32 v4, v4, v5
	v_sub_u32_e32 v6, 0, v4
	v_max_i32_e32 v6, v4, v6
	v_mul_hi_u32 v7, v6, v174
	v_mul_lo_u32 v8, v7, s56
	v_sub_u32_e32 v6, v6, v8
	v_add_u32_e32 v8, 1, v7
	v_subrev_u32_e32 v9, s56, v6
	v_cmp_le_u32_e32 vcc, s56, v6
	v_ashrrev_i32_e32 v5, 31, v4
	v_xor_b32_e32 v5, s0, v5
	v_cndmask_b32_e32 v7, v7, v8, vcc
	v_cndmask_b32_e32 v6, v6, v9, vcc
	v_add_u32_e32 v8, 1, v7
	v_cmp_le_u32_e32 vcc, s56, v6
	s_nop 1
	v_cndmask_b32_e32 v6, v7, v8, vcc
	v_xor_b32_e32 v6, v6, v5
	v_sub_u32_e32 v5, v6, v5
	v_mul_lo_u32 v6, v5, s4
	v_sub_u32_e32 v4, v4, v6
	v_sub_u32_e32 v7, 0, v4
	v_ashrrev_i32_e32 v6, 31, v4
	v_max_i32_e32 v4, v4, v7
	v_mul_hi_u32 v7, v4, s46
	v_mul_lo_u32 v8, v7, s2
	v_sub_u32_e32 v4, v4, v8
	v_add_u32_e32 v8, 1, v7
	v_subrev_u32_e32 v9, s2, v4
	v_cmp_le_u32_e32 vcc, s2, v4
	v_xor_b32_e32 v6, s1, v6
	v_readlane_b32 s4, v255, 9
	v_cndmask_b32_e32 v7, v7, v8, vcc
	v_cndmask_b32_e32 v4, v4, v9, vcc
	v_add_u32_e32 v8, 1, v7
	v_cmp_le_u32_e32 vcc, s2, v4
	v_readlane_b32 s5, v255, 10
	s_nop 0
	v_cndmask_b32_e32 v4, v7, v8, vcc
	v_xor_b32_e32 v4, v4, v6
	s_andn2_b64 vcc, exec, s[4:5]
	v_sub_u32_e32 v4, v4, v6
	s_cbranch_vccnz .LBB24_14
; %bb.13:                               ;   in Loop: Header=BB24_12 Depth=1
	v_readlane_b32 s4, v255, 0
	s_nop 1
	v_mul_lo_u32 v6, v2, s4
	v_add_u32_e32 v6, v4, v6
	v_ashrrev_i32_e32 v7, 31, v6
	v_lshlrev_b64 v[6:7], 2, v[6:7]
	v_lshl_add_u64 v[6:7], s[18:19], 0, v[6:7]
	global_load_dword v6, v[6:7], off
	s_waitcnt vmcnt(0)
	v_readfirstlane_b32 s4, v6
	s_ashr_i32 s5, s4, 31
	s_lshr_b32 s5, s5, 26
	s_add_i32 s4, s4, s5
	s_ashr_i32 s4, s4, 6
	s_min_i32 s35, s35, s4
.LBB24_14:                              ;   in Loop: Header=BB24_12 Depth=1
	v_mul_lo_u32 v6, v3, s33
	v_lshlrev_b32_e32 v95, 3, v5
	v_add_u32_e32 v6, v95, v6
	v_mul_lo_u32 v8, v2, s49
	v_ashrrev_i32_e32 v9, 31, v8
	v_mul_lo_u32 v10, v6, s48
	v_lshl_add_u64 v[8:9], s[8:9], 0, v[8:9]
	v_ashrrev_i32_e32 v11, 31, v10
	v_ashrrev_i32_e32 v5, 31, v2
	v_lshl_add_u64 v[154:155], v[8:9], 0, v[10:11]
	v_mul_hi_u32 v7, s28, v2
	v_mul_lo_u32 v8, s28, v5
	v_readlane_b32 s4, v255, 6
	v_add_u32_e32 v7, v7, v8
	v_mul_lo_u32 v8, s29, v2
	v_readlane_b32 s5, v255, 7
	v_add_u32_e32 v145, v7, v8
	v_mul_lo_u32 v144, s28, v2
	v_mul_lo_u32 v146, v3, s5
	v_sub_u32_e32 v7, 0, v2
	v_lshl_add_u64 v[8:9], s[10:11], 0, v[144:145]
	v_ashrrev_i32_e32 v147, 31, v146
	v_max_i32_e32 v7, v2, v7
	v_readlane_b32 s4, v255, 18
	v_lshl_add_u64 v[140:141], v[8:9], 0, v[146:147]
	v_mul_lo_u32 v150, s42, v2
	v_mul_hi_u32 v8, v7, s4
	v_mul_lo_u32 v8, v8, s57
	v_sub_u32_e32 v7, v7, v8
	v_subrev_u32_e32 v8, s57, v7
	v_cmp_le_u32_e32 vcc, s57, v7
	s_mul_i32 s4, s24, s25
	v_mul_lo_u32 v152, v3, s31
	v_cndmask_b32_e32 v7, v7, v8, vcc
	v_subrev_u32_e32 v8, s57, v7
	v_cmp_le_u32_e32 vcc, s57, v7
	v_ashrrev_i32_e32 v153, 31, v152
	v_lshlrev_b32_e32 v91, 3, v4
	v_cndmask_b32_e32 v7, v7, v8, vcc
	v_xor_b32_e32 v7, v7, v5
	v_sub_u32_e32 v7, v7, v5
	v_ashrrev_i32_e32 v8, 31, v7
	v_mul_lo_u32 v8, s44, v8
	v_mul_hi_u32 v9, s44, v7
	v_add_u32_e32 v8, v9, v8
	v_mul_lo_u32 v9, s45, v7
	v_mul_lo_u32 v148, s44, v7
	;; [unrolled: 1-line block ×3, first 2 shown]
	v_add_u32_e32 v7, v6, v7
	v_lshlrev_b32_e32 v56, 6, v7
	v_mul_hi_u32 v7, s42, v2
	v_mul_lo_u32 v5, s42, v5
	v_add_u32_e32 v5, v7, v5
	v_mul_lo_u32 v7, s43, v2
	v_add_u32_e32 v151, v5, v7
	v_ashrrev_i32_e32 v7, 31, v6
	v_lshlrev_b64 v[2:3], 2, v[6:7]
	v_add_u32_e32 v149, v8, v9
	v_lshlrev_b64 v[8:9], 3, v[56:57]
	v_lshl_add_u64 v[2:3], s[16:17], 0, v[2:3]
	v_lshl_add_u64 v[134:135], s[20:21], 0, v[8:9]
	;; [unrolled: 1-line block ×3, first 2 shown]
	v_cndmask_b32_e64 v136, v2, 0, s[58:59]
	v_bfe_u32 v2, v51, 3, 7
	s_mov_b32 s0, s68
	v_lshl_add_u64 v[142:143], s[14:15], 0, v[148:149]
	v_lshl_add_u64 v[138:139], v[8:9], 0, v[152:153]
	v_cndmask_b32_e64 v137, v3, 0, s[58:59]
	s_cmp_lg_u32 s52, 0
	v_add_u32_e32 v83, v2, v91
	v_or_b32_e32 v87, v50, v95
	s_cbranch_scc0 .LBB24_84
; %bb.15:                               ;   in Loop: Header=BB24_12 Depth=1
	v_cmp_le_i32_e64 s[4:5], s24, v83
	v_cmp_le_i32_e64 s[6:7], s33, v87
	v_cmp_gt_i32_e32 vcc, s33, v87
	s_or_b64 s[4:5], s[4:5], s[6:7]
	s_and_saveexec_b64 s[6:7], s[4:5]
	s_xor_b64 s[4:5], exec, s[6:7]
; %bb.16:                               ;   in Loop: Header=BB24_12 Depth=1
	v_add_u32_e32 v2, v192, v234
	ds_write_b32 v2, v57
; %bb.17:                               ;   in Loop: Header=BB24_12 Depth=1
	s_andn2_saveexec_b64 s[4:5], s[4:5]
	s_cbranch_execz .LBB24_19
; %bb.18:                               ;   in Loop: Header=BB24_12 Depth=1
	v_mad_u64_u32 v[2:3], s[6:7], v83, s51, v[82:83]
	v_ashrrev_i32_e32 v3, 31, v2
	v_lshl_add_u64 v[2:3], v[2:3], 3, v[154:155]
	global_load_dwordx2 v[2:3], v[2:3], off
	s_waitcnt vmcnt(0)
	v_cvt_pk_f16_f32 v2, v2, v3
	v_pk_mul_f16 v2, v2, v227
	v_add_u32_e32 v3, v192, v234
	ds_write_b32 v3, v2
.LBB24_19:                              ;   in Loop: Header=BB24_12 Depth=1
	s_or_b64 exec, exec, s[4:5]
	v_add_u32_e32 v206, v235, v91
	v_or_b32_e32 v208, v84, v95
	v_cmp_le_i32_e64 s[4:5], s24, v206
	v_cmp_le_i32_e64 s[6:7], s33, v208
	s_or_b64 s[4:5], s[4:5], s[6:7]
	s_and_saveexec_b64 s[6:7], s[4:5]
	s_xor_b64 s[4:5], exec, s[6:7]
; %bb.20:                               ;   in Loop: Header=BB24_12 Depth=1
	v_add_u32_e32 v2, v192, v182
	ds_write_b32 v2, v57
; %bb.21:                               ;   in Loop: Header=BB24_12 Depth=1
	s_andn2_saveexec_b64 s[4:5], s[4:5]
	s_cbranch_execz .LBB24_23
; %bb.22:                               ;   in Loop: Header=BB24_12 Depth=1
	v_mad_u64_u32 v[2:3], s[6:7], v206, s51, v[86:87]
	v_ashrrev_i32_e32 v3, 31, v2
	v_lshl_add_u64 v[2:3], v[2:3], 3, v[154:155]
	global_load_dwordx2 v[2:3], v[2:3], off
	s_waitcnt vmcnt(0)
	v_cvt_pk_f16_f32 v2, v2, v3
	v_pk_mul_f16 v2, v2, v227
	v_add_u32_e32 v3, v192, v182
	ds_write_b32 v3, v2
.LBB24_23:                              ;   in Loop: Header=BB24_12 Depth=1
	s_or_b64 exec, exec, s[4:5]
	v_add_u32_e32 v210, v236, v91
	v_cmp_le_i32_e64 s[4:5], s24, v210
	s_xor_b64 s[6:7], vcc, -1
	s_or_b64 s[4:5], s[4:5], s[6:7]
	s_and_saveexec_b64 s[68:69], s[4:5]
	s_xor_b64 s[4:5], exec, s[68:69]
; %bb.24:                               ;   in Loop: Header=BB24_12 Depth=1
	v_add_u32_e32 v2, v192, v183
	ds_write_b32 v2, v57
; %bb.25:                               ;   in Loop: Header=BB24_12 Depth=1
	s_andn2_saveexec_b64 s[4:5], s[4:5]
	s_cbranch_execz .LBB24_27
; %bb.26:                               ;   in Loop: Header=BB24_12 Depth=1
	v_mad_u64_u32 v[2:3], s[68:69], v210, s51, v[82:83]
	v_ashrrev_i32_e32 v3, 31, v2
	v_lshl_add_u64 v[2:3], v[2:3], 3, v[154:155]
	global_load_dwordx2 v[2:3], v[2:3], off
	s_waitcnt vmcnt(0)
	v_cvt_pk_f16_f32 v2, v2, v3
	v_pk_mul_f16 v2, v2, v227
	v_add_u32_e32 v3, v192, v183
	ds_write_b32 v3, v2
.LBB24_27:                              ;   in Loop: Header=BB24_12 Depth=1
	s_or_b64 exec, exec, s[4:5]
	v_add_u32_e32 v209, v237, v91
	v_or_b32_e32 v212, v88, v95
	v_cmp_le_i32_e32 vcc, s24, v209
	v_cmp_le_i32_e64 s[4:5], s33, v212
	s_or_b64 s[4:5], vcc, s[4:5]
	s_and_saveexec_b64 s[68:69], s[4:5]
	s_xor_b64 s[4:5], exec, s[68:69]
; %bb.28:                               ;   in Loop: Header=BB24_12 Depth=1
	v_add_u32_e32 v2, v192, v184
	ds_write_b32 v2, v57
; %bb.29:                               ;   in Loop: Header=BB24_12 Depth=1
	s_andn2_saveexec_b64 s[4:5], s[4:5]
	s_cbranch_execz .LBB24_31
; %bb.30:                               ;   in Loop: Header=BB24_12 Depth=1
	v_mad_u64_u32 v[2:3], s[68:69], v209, s51, v[90:91]
	v_ashrrev_i32_e32 v3, 31, v2
	v_lshl_add_u64 v[2:3], v[2:3], 3, v[154:155]
	global_load_dwordx2 v[2:3], v[2:3], off
	s_waitcnt vmcnt(0)
	v_cvt_pk_f16_f32 v2, v2, v3
	v_pk_mul_f16 v2, v2, v227
	v_add_u32_e32 v3, v192, v184
	ds_write_b32 v3, v2
.LBB24_31:                              ;   in Loop: Header=BB24_12 Depth=1
	s_or_b64 exec, exec, s[4:5]
	v_add_u32_e32 v214, v238, v91
	v_cmp_le_i32_e32 vcc, s24, v214
	s_or_b64 s[4:5], vcc, s[6:7]
	s_and_saveexec_b64 s[68:69], s[4:5]
	s_xor_b64 s[4:5], exec, s[68:69]
; %bb.32:                               ;   in Loop: Header=BB24_12 Depth=1
	v_add_u32_e32 v2, v192, v185
	ds_write_b32 v2, v57
; %bb.33:                               ;   in Loop: Header=BB24_12 Depth=1
	s_andn2_saveexec_b64 s[4:5], s[4:5]
	s_cbranch_execz .LBB24_35
; %bb.34:                               ;   in Loop: Header=BB24_12 Depth=1
	v_mad_u64_u32 v[2:3], s[68:69], v214, s51, v[82:83]
	v_ashrrev_i32_e32 v3, 31, v2
	v_lshl_add_u64 v[2:3], v[2:3], 3, v[154:155]
	global_load_dwordx2 v[2:3], v[2:3], off
	s_waitcnt vmcnt(0)
	v_cvt_pk_f16_f32 v2, v2, v3
	v_pk_mul_f16 v2, v2, v227
	v_add_u32_e32 v3, v192, v185
	ds_write_b32 v3, v2
.LBB24_35:                              ;   in Loop: Header=BB24_12 Depth=1
	s_or_b64 exec, exec, s[4:5]
	v_add_u32_e32 v225, v239, v91
	v_or_b32_e32 v211, v92, v95
	v_cmp_le_i32_e32 vcc, s24, v225
	v_cmp_le_i32_e64 s[4:5], s33, v211
	s_or_b64 s[4:5], vcc, s[4:5]
	s_and_saveexec_b64 s[68:69], s[4:5]
	s_xor_b64 s[4:5], exec, s[68:69]
; %bb.36:                               ;   in Loop: Header=BB24_12 Depth=1
	v_add_u32_e32 v2, v192, v186
	ds_write_b32 v2, v57
; %bb.37:                               ;   in Loop: Header=BB24_12 Depth=1
	s_andn2_saveexec_b64 s[4:5], s[4:5]
	s_cbranch_execz .LBB24_39
; %bb.38:                               ;   in Loop: Header=BB24_12 Depth=1
	v_mad_u64_u32 v[2:3], s[68:69], v225, s51, v[94:95]
	v_ashrrev_i32_e32 v3, 31, v2
	v_lshl_add_u64 v[2:3], v[2:3], 3, v[154:155]
	global_load_dwordx2 v[2:3], v[2:3], off
	s_waitcnt vmcnt(0)
	v_cvt_pk_f16_f32 v2, v2, v3
	v_pk_mul_f16 v2, v2, v227
	v_add_u32_e32 v3, v192, v186
	ds_write_b32 v3, v2
.LBB24_39:                              ;   in Loop: Header=BB24_12 Depth=1
	s_or_b64 exec, exec, s[4:5]
	v_add_u32_e32 v215, v240, v91
	v_cmp_le_i32_e32 vcc, s24, v215
	s_or_b64 s[4:5], vcc, s[6:7]
	s_and_saveexec_b64 s[68:69], s[4:5]
	s_xor_b64 s[4:5], exec, s[68:69]
; %bb.40:                               ;   in Loop: Header=BB24_12 Depth=1
	v_add_u32_e32 v2, v192, v187
	ds_write_b32 v2, v57
; %bb.41:                               ;   in Loop: Header=BB24_12 Depth=1
	s_andn2_saveexec_b64 s[4:5], s[4:5]
	s_cbranch_execz .LBB24_43
; %bb.42:                               ;   in Loop: Header=BB24_12 Depth=1
	v_mad_u64_u32 v[2:3], s[68:69], v215, s51, v[82:83]
	v_ashrrev_i32_e32 v3, 31, v2
	v_lshl_add_u64 v[2:3], v[2:3], 3, v[154:155]
	global_load_dwordx2 v[2:3], v[2:3], off
	s_waitcnt vmcnt(0)
	v_cvt_pk_f16_f32 v2, v2, v3
	v_pk_mul_f16 v2, v2, v227
	v_add_u32_e32 v3, v192, v187
	ds_write_b32 v3, v2
.LBB24_43:                              ;   in Loop: Header=BB24_12 Depth=1
	s_or_b64 exec, exec, s[4:5]
	v_add_u32_e32 v217, v241, v91
	v_or_b32_e32 v213, v96, v95
	v_cmp_le_i32_e32 vcc, s24, v217
	v_cmp_le_i32_e64 s[4:5], s33, v213
	s_or_b64 s[4:5], vcc, s[4:5]
	s_and_saveexec_b64 s[68:69], s[4:5]
	s_xor_b64 s[4:5], exec, s[68:69]
; %bb.44:                               ;   in Loop: Header=BB24_12 Depth=1
	v_add_u32_e32 v2, v192, v187
	ds_write_b32 v2, v57 offset:1088
; %bb.45:                               ;   in Loop: Header=BB24_12 Depth=1
	s_andn2_saveexec_b64 s[4:5], s[4:5]
	s_cbranch_execz .LBB24_47
; %bb.46:                               ;   in Loop: Header=BB24_12 Depth=1
	v_mad_u64_u32 v[2:3], s[68:69], v217, s51, v[98:99]
	v_ashrrev_i32_e32 v3, 31, v2
	v_lshl_add_u64 v[2:3], v[2:3], 3, v[154:155]
	global_load_dwordx2 v[2:3], v[2:3], off
	s_waitcnt vmcnt(0)
	v_cvt_pk_f16_f32 v2, v2, v3
	v_pk_mul_f16 v2, v2, v227
	v_add_u32_e32 v3, v192, v187
	ds_write_b32 v3, v2 offset:1088
.LBB24_47:                              ;   in Loop: Header=BB24_12 Depth=1
	s_or_b64 exec, exec, s[4:5]
	v_add_u32_e32 v219, v242, v91
	v_cmp_le_i32_e32 vcc, s24, v219
	s_or_b64 s[4:5], vcc, s[6:7]
	s_and_saveexec_b64 s[68:69], s[4:5]
	s_xor_b64 s[4:5], exec, s[68:69]
; %bb.48:                               ;   in Loop: Header=BB24_12 Depth=1
	v_add_u32_e32 v2, v192, v187
	ds_write_b32 v2, v57 offset:2176
; %bb.49:                               ;   in Loop: Header=BB24_12 Depth=1
	s_andn2_saveexec_b64 s[4:5], s[4:5]
	s_cbranch_execz .LBB24_51
; %bb.50:                               ;   in Loop: Header=BB24_12 Depth=1
	v_mad_u64_u32 v[2:3], s[68:69], v219, s51, v[82:83]
	v_ashrrev_i32_e32 v3, 31, v2
	v_lshl_add_u64 v[2:3], v[2:3], 3, v[154:155]
	global_load_dwordx2 v[2:3], v[2:3], off
	s_waitcnt vmcnt(0)
	v_cvt_pk_f16_f32 v2, v2, v3
	v_pk_mul_f16 v2, v2, v227
	v_add_u32_e32 v3, v192, v187
	ds_write_b32 v3, v2 offset:2176
.LBB24_51:                              ;   in Loop: Header=BB24_12 Depth=1
	s_or_b64 exec, exec, s[4:5]
	v_add_u32_e32 v221, v243, v91
	v_or_b32_e32 v216, v100, v95
	v_cmp_le_i32_e32 vcc, s24, v221
	v_cmp_le_i32_e64 s[4:5], s33, v216
	s_or_b64 s[4:5], vcc, s[4:5]
	s_and_saveexec_b64 s[68:69], s[4:5]
	s_xor_b64 s[4:5], exec, s[68:69]
; %bb.52:                               ;   in Loop: Header=BB24_12 Depth=1
	v_add_u32_e32 v2, v192, v187
	ds_write_b32 v2, v57 offset:3264
; %bb.53:                               ;   in Loop: Header=BB24_12 Depth=1
	s_andn2_saveexec_b64 s[4:5], s[4:5]
	s_cbranch_execz .LBB24_55
; %bb.54:                               ;   in Loop: Header=BB24_12 Depth=1
	v_mad_u64_u32 v[2:3], s[68:69], v221, s51, v[102:103]
	v_ashrrev_i32_e32 v3, 31, v2
	v_lshl_add_u64 v[2:3], v[2:3], 3, v[154:155]
	global_load_dwordx2 v[2:3], v[2:3], off
	s_waitcnt vmcnt(0)
	v_cvt_pk_f16_f32 v2, v2, v3
	v_pk_mul_f16 v2, v2, v227
	v_add_u32_e32 v3, v192, v187
	ds_write_b32 v3, v2 offset:3264
.LBB24_55:                              ;   in Loop: Header=BB24_12 Depth=1
	s_or_b64 exec, exec, s[4:5]
	v_add_u32_e32 v218, v244, v91
	v_cmp_le_i32_e32 vcc, s24, v218
	s_or_b64 s[4:5], vcc, s[6:7]
	s_and_saveexec_b64 s[68:69], s[4:5]
	s_xor_b64 s[4:5], exec, s[68:69]
; %bb.56:                               ;   in Loop: Header=BB24_12 Depth=1
	v_add_u32_e32 v2, v192, v187
	ds_write_b32 v2, v57 offset:4352
; %bb.57:                               ;   in Loop: Header=BB24_12 Depth=1
	s_andn2_saveexec_b64 s[4:5], s[4:5]
	s_cbranch_execz .LBB24_59
; %bb.58:                               ;   in Loop: Header=BB24_12 Depth=1
	v_mad_u64_u32 v[2:3], s[68:69], v218, s51, v[82:83]
	v_ashrrev_i32_e32 v3, 31, v2
	v_lshl_add_u64 v[2:3], v[2:3], 3, v[154:155]
	global_load_dwordx2 v[2:3], v[2:3], off
	s_waitcnt vmcnt(0)
	v_cvt_pk_f16_f32 v2, v2, v3
	v_pk_mul_f16 v2, v2, v227
	v_add_u32_e32 v3, v192, v187
	ds_write_b32 v3, v2 offset:4352
.LBB24_59:                              ;   in Loop: Header=BB24_12 Depth=1
	;; [unrolled: 48-line block ×4, first 2 shown]
	s_or_b64 exec, exec, s[4:5]
	v_add_u32_e32 v99, v249, v91
	v_or_b32_e32 v103, v112, v95
	v_cmp_le_i32_e32 vcc, s24, v99
	v_cmp_le_i32_e64 s[4:5], s33, v103
	s_or_b64 s[4:5], vcc, s[4:5]
	s_and_saveexec_b64 s[6:7], s[4:5]
	s_xor_b64 s[4:5], exec, s[6:7]
; %bb.76:                               ;   in Loop: Header=BB24_12 Depth=1
	v_add_u32_e32 v2, v192, v187
	ds_write_b32 v2, v57 offset:9792
; %bb.77:                               ;   in Loop: Header=BB24_12 Depth=1
	s_andn2_saveexec_b64 s[4:5], s[4:5]
	s_cbranch_execz .LBB24_79
; %bb.78:                               ;   in Loop: Header=BB24_12 Depth=1
	v_mad_u64_u32 v[2:3], s[6:7], v99, s51, v[114:115]
	v_ashrrev_i32_e32 v3, 31, v2
	v_lshl_add_u64 v[2:3], v[2:3], 3, v[154:155]
	global_load_dwordx2 v[2:3], v[2:3], off
	s_waitcnt vmcnt(0)
	v_cvt_pk_f16_f32 v2, v2, v3
	v_pk_mul_f16 v2, v2, v227
	v_add_u32_e32 v3, v192, v187
	ds_write_b32 v3, v2 offset:9792
.LBB24_79:                              ;   in Loop: Header=BB24_12 Depth=1
	s_or_b64 exec, exec, s[4:5]
	s_waitcnt lgkmcnt(0)
	s_barrier
	ds_read2_b64 v[14:17], v53 offset1:4
	ds_read2_b64 v[10:13], v53 offset0:8 offset1:12
	ds_read2_b64 v[6:9], v53 offset0:16 offset1:20
	;; [unrolled: 1-line block ×3, first 2 shown]
	s_add_i32 s6, s35, -1
	s_cmp_lt_i32 s52, s6
	s_mov_b64 s[4:5], -1
	s_waitcnt lgkmcnt(0)
	s_barrier
                                        ; implicit-def: $vgpr224
                                        ; implicit-def: $vgpr204
                                        ; implicit-def: $vgpr207
	s_cbranch_scc1 .LBB24_81
; %bb.80:                               ;   in Loop: Header=BB24_12 Depth=1
	v_and_b32_e32 v18, 64, v202
	v_add_u32_e32 v224, 64, v18
	v_xor_b32_e32 v204, 32, v202
	v_xor_b32_e32 v207, 16, v202
	s_mov_b64 s[4:5], 0
.LBB24_81:                              ;   in Loop: Header=BB24_12 Depth=1
	v_add_u32_e32 v18, v91, v55
	v_mul_hi_u32 v19, s40, v18
	v_add_u32_e32 v19, v18, v19
	v_lshrrev_b32_e32 v19, s41, v19
	v_mul_lo_u32 v19, v19, s24
	v_sub_u32_e32 v18, v18, v19
	s_andn2_b64 vcc, exec, s[4:5]
	v_mad_i64_i32 v[156:157], s[4:5], v18, s38, 0
	s_cbranch_vccnz .LBB24_85
; %bb.82:                               ;   in Loop: Header=BB24_12 Depth=1
	v_lshl_add_u64 v[18:19], v[156:157], 1, v[142:143]
	v_lshlrev_b32_e32 v56, 1, v54
	v_mbcnt_hi_u32_b32 v251, -1, v250
	v_lshl_add_u64 v[158:159], v[18:19], 0, v[56:57]
	v_and_b32_e32 v18, 64, v251
	v_add_u32_e32 v224, 64, v18
	v_xor_b32_e32 v204, 32, v251
	v_cmp_lt_i32_e32 vcc, v204, v224
	v_xor_b32_e32 v207, 16, v251
	s_lshl_b32 s4, s52, 6
	v_cndmask_b32_e32 v18, v251, v204, vcc
	v_cmp_lt_i32_e32 vcc, v207, v224
	v_lshlrev_b32_e32 v199, 2, v18
	v_mov_b32_e32 v46, 0
	v_cndmask_b32_e32 v18, v251, v207, vcc
	v_lshlrev_b32_e32 v201, 2, v18
	v_mov_b32_e32 v205, 0xfeffffff
	v_mov_b32_e32 v203, 0
	v_mov_b32_e32 v47, 0
	v_mov_b32_e32 v43, 0
	v_mov_b32_e32 v42, 0
	v_mov_b32_e32 v39, 0
	v_mov_b32_e32 v38, 0
	v_mov_b32_e32 v35, 0
	v_mov_b32_e32 v34, 0
	v_mov_b32_e32 v37, 0
	v_mov_b32_e32 v36, 0
	v_mov_b32_e32 v41, 0
	v_mov_b32_e32 v40, 0
	v_mov_b32_e32 v45, 0
	v_mov_b32_e32 v44, 0
	v_mov_b32_e32 v49, 0
	v_mov_b32_e32 v48, 0
.LBB24_83:                              ;   Parent Loop BB24_12 Depth=1
                                        ; =>  This Inner Loop Header: Depth=2
	s_ashr_i32 s5, s4, 31
	v_lshl_add_u64 v[18:19], s[4:5], 1, v[158:159]
	global_load_dword v18, v[18:19], off
	s_mul_hi_i32 s69, s4, s26
	s_mul_i32 s68, s4, s26
	s_lshl_b64 s[68:69], s[68:69], 2
	v_lshlrev_b32_e32 v56, 2, v58
	v_add_u32_e32 v30, 0x1000, v222
	v_add_u32_e32 v116, 0x2000, v222
	;; [unrolled: 1-line block ×3, first 2 shown]
	v_mov_b32_e32 v161, v205
	v_mov_b32_e32 v160, v203
	s_add_i32 s52, s52, 1
	s_waitcnt vmcnt(0)
	ds_write_b32 v59, v18 offset:17408
	v_lshl_add_u64 v[18:19], v[140:141], 0, s[68:69]
	v_lshl_add_u64 v[20:21], v[60:61], 2, v[18:19]
	;; [unrolled: 1-line block ×7, first 2 shown]
	global_load_dwordx4 v[18:21], v[20:21], off
	v_lshl_add_u64 v[22:23], v[22:23], 0, v[56:57]
	v_lshl_add_u64 v[24:25], v[24:25], 0, v[56:57]
	s_mul_hi_i32 s69, s4, s36
	s_mul_i32 s68, s4, s36
	s_lshl_b64 s[68:69], s[68:69], 2
	s_add_i32 s4, s4, 64
	s_cmp_lt_i32 s52, s6
	s_waitcnt vmcnt(0)
	ds_write_b128 v171, v[18:21]
	global_load_dwordx4 v[18:21], v[22:23], off
	s_waitcnt vmcnt(0)
	ds_write_b128 v228, v[18:21]
	global_load_dwordx4 v[18:21], v[24:25], off
	;; [unrolled: 3-line block ×3, first 2 shown]
	s_waitcnt vmcnt(0)
	ds_write_b128 v230, v[18:21]
	s_waitcnt lgkmcnt(0)
	s_barrier
	ds_read2_b64 v[18:21], v222 offset1:4
	s_waitcnt lgkmcnt(0)
	v_mfma_f32_16x16x16_f16 v[22:25], v[18:19], v[14:15], 0
	v_mfma_f32_16x16x16_f16 v[18:21], v[20:21], v[16:17], v[22:25]
	s_nop 6
	ds_read2_b64 v[22:25], v222 offset0:8 offset1:12
	s_waitcnt lgkmcnt(0)
	v_mfma_f32_16x16x16_f16 v[18:21], v[22:23], v[10:11], v[18:21]
	v_mfma_f32_16x16x16_f16 v[18:21], v[24:25], v[12:13], v[18:21]
	ds_read2_b64 v[22:25], v222 offset0:16 offset1:20
	s_waitcnt lgkmcnt(0)
	v_mfma_f32_16x16x16_f16 v[18:21], v[22:23], v[6:7], v[18:21]
	v_mfma_f32_16x16x16_f16 v[18:21], v[24:25], v[8:9], v[18:21]
	ds_read2_b64 v[22:25], v222 offset0:24 offset1:28
	s_waitcnt lgkmcnt(0)
	v_mfma_f32_16x16x16_f16 v[18:21], v[22:23], v[2:3], v[18:21]
	v_mfma_f32_16x16x16_f16 v[18:21], v[24:25], v[4:5], v[18:21]
	ds_read2_b64 v[22:25], v30 offset0:32 offset1:36
	s_waitcnt lgkmcnt(0)
	v_mfma_f32_16x16x16_f16 v[26:29], v[22:23], v[14:15], 0
	v_mfma_f32_16x16x16_f16 v[22:25], v[24:25], v[16:17], v[26:29]
	s_nop 6
	ds_read2_b64 v[26:29], v30 offset0:40 offset1:44
	s_waitcnt lgkmcnt(0)
	v_mfma_f32_16x16x16_f16 v[22:25], v[26:27], v[10:11], v[22:25]
	v_mfma_f32_16x16x16_f16 v[22:25], v[28:29], v[12:13], v[22:25]
	ds_read2_b64 v[26:29], v30 offset0:48 offset1:52
	s_waitcnt lgkmcnt(0)
	v_mfma_f32_16x16x16_f16 v[22:25], v[26:27], v[6:7], v[22:25]
	v_mfma_f32_16x16x16_f16 v[22:25], v[28:29], v[8:9], v[22:25]
	ds_read2_b64 v[26:29], v30 offset0:56 offset1:60
	s_waitcnt lgkmcnt(0)
	v_mfma_f32_16x16x16_f16 v[22:25], v[26:27], v[2:3], v[22:25]
	v_mfma_f32_16x16x16_f16 v[22:25], v[28:29], v[4:5], v[22:25]
	ds_read2_b64 v[26:29], v116 offset0:64 offset1:68
	;; [unrolled: 17-line block ×3, first 2 shown]
	s_waitcnt lgkmcnt(0)
	v_mfma_f32_16x16x16_f16 v[116:119], v[30:31], v[14:15], 0
	v_mfma_f32_16x16x16_f16 v[30:33], v[32:33], v[16:17], v[116:119]
	s_nop 6
	ds_read2_b64 v[116:119], v162 offset0:104 offset1:108
	s_waitcnt lgkmcnt(0)
	v_mfma_f32_16x16x16_f16 v[30:33], v[116:117], v[10:11], v[30:33]
	v_mfma_f32_16x16x16_f16 v[30:33], v[118:119], v[12:13], v[30:33]
	ds_read2_b64 v[116:119], v162 offset0:112 offset1:116
	s_waitcnt lgkmcnt(0)
	v_mfma_f32_16x16x16_f16 v[30:33], v[116:117], v[6:7], v[30:33]
	v_mfma_f32_16x16x16_f16 v[30:33], v[118:119], v[8:9], v[30:33]
	ds_read2_b64 v[116:119], v162 offset0:120 offset1:124
	s_waitcnt lgkmcnt(0)
	s_barrier
	v_mfma_f32_16x16x16_f16 v[30:33], v[116:117], v[2:3], v[30:33]
	ds_read_b32 v116, v177 offset:17408
	s_waitcnt lgkmcnt(0)
	v_cvt_f32_f16_e32 v117, v116
	v_cvt_f32_f16_sdwa v116, v116 dst_sel:DWORD dst_unused:UNUSED_PAD src0_sel:WORD_1
	v_mfma_f32_16x16x16_f16 v[30:33], v[118:119], v[4:5], v[30:33]
	v_add_f32_e32 v117, v18, v117
	ds_read_b32 v18, v176 offset:17408
	v_add_f32_e32 v116, v19, v116
	s_waitcnt lgkmcnt(0)
	v_cvt_f32_f16_e32 v19, v18
	v_cvt_f32_f16_sdwa v18, v18 dst_sel:DWORD dst_unused:UNUSED_PAD src0_sel:WORD_1
	v_add_f32_e32 v20, v20, v19
	v_add_f32_e32 v21, v21, v18
	v_add_u32_e32 v18, 0x4400, v231
	ds_read2_b32 v[18:19], v18 offset1:1
	s_waitcnt lgkmcnt(0)
	v_cvt_f32_f16_e32 v118, v18
	v_cvt_f32_f16_sdwa v18, v18 dst_sel:DWORD dst_unused:UNUSED_PAD src0_sel:WORD_1
	v_add_f32_e32 v118, v22, v118
	v_add_f32_e32 v23, v23, v18
	v_cvt_f32_f16_e32 v18, v19
	v_cvt_f32_f16_sdwa v19, v19 dst_sel:DWORD dst_unused:UNUSED_PAD src0_sel:WORD_1
	v_add_f32_e32 v24, v24, v18
	v_add_u32_e32 v18, 0x4400, v232
	v_add_f32_e32 v25, v25, v19
	ds_read2_b32 v[18:19], v18 offset1:1
	s_waitcnt lgkmcnt(0)
	v_cvt_f32_f16_e32 v22, v18
	v_cvt_f32_f16_sdwa v18, v18 dst_sel:DWORD dst_unused:UNUSED_PAD src0_sel:WORD_1
	v_add_f32_e32 v119, v26, v22
	v_add_f32_e32 v27, v27, v18
	v_cvt_f32_f16_e32 v18, v19
	v_cvt_f32_f16_sdwa v19, v19 dst_sel:DWORD dst_unused:UNUSED_PAD src0_sel:WORD_1
	v_add_f32_e32 v28, v28, v18
	v_add_u32_e32 v18, 0x4400, v233
	v_add_f32_e32 v29, v29, v19
	ds_read2_b32 v[18:19], v18 offset1:1
	s_waitcnt lgkmcnt(0)
	v_cvt_f32_f16_e32 v22, v18
	v_cvt_f32_f16_sdwa v18, v18 dst_sel:DWORD dst_unused:UNUSED_PAD src0_sel:WORD_1
	v_add_f32_e32 v30, v30, v22
	v_add_f32_e32 v31, v31, v18
	v_cvt_f32_f16_e32 v18, v19
	v_cvt_f32_f16_sdwa v19, v19 dst_sel:DWORD dst_unused:UNUSED_PAD src0_sel:WORD_1
	v_add_f32_e32 v22, 0x40051340, v21
	v_add_f32_e32 v163, v32, v18
	;; [unrolled: 1-line block ×5, first 2 shown]
	v_max3_f32 v18, v161, v18, v19
	v_add_f32_e32 v19, 0x40051340, v20
	v_max3_f32 v18, v18, v19, v22
	v_add_f32_e32 v19, 0x40051340, v118
	v_add_f32_e32 v22, 0x40051340, v23
	v_max3_f32 v18, v18, v19, v22
	v_add_f32_e32 v19, 0x40051340, v24
	;; [unrolled: 3-line block ×6, first 2 shown]
	v_add_f32_e32 v22, 0x40051340, v33
	v_max3_f32 v18, v18, v19, v22
	ds_bpermute_b32 v19, v199, v18
	s_waitcnt lgkmcnt(0)
	v_max_f32_e32 v19, v19, v19
	v_max_f32_e32 v18, v18, v19
	ds_bpermute_b32 v19, v201, v18
	s_waitcnt lgkmcnt(0)
	v_max_f32_e32 v19, v19, v19
	v_max_f32_e32 v205, v18, v19
	v_sub_f32_e32 v18, v117, v205
	v_mul_f32_e32 v19, 0x3fb8aa3b, v18
	v_fma_f32 v22, v18, s39, -v19
	v_rndne_f32_e32 v26, v19
	v_fmac_f32_e32 v22, 0x32a5705f, v18
	v_sub_f32_e32 v19, v19, v26
	v_add_f32_e32 v19, v19, v22
	v_exp_f32_e32 v19, v19
	v_cvt_i32_f32_e32 v22, v26
	v_cmp_ngt_f32_e32 vcc, s60, v18
	v_sub_f32_e32 v20, v20, v205
	v_sub_f32_e32 v21, v21, v205
	v_ldexp_f32 v19, v19, v22
	v_cndmask_b32_e32 v19, 0, v19, vcc
	v_cmp_nlt_f32_e32 vcc, s61, v18
	v_sub_f32_e32 v23, v23, v205
	v_sub_f32_e32 v24, v24, v205
	v_cndmask_b32_e32 v18, v252, v19, vcc
	v_sub_f32_e32 v19, v116, v205
	v_mul_f32_e32 v22, 0x3fb8aa3b, v19
	v_fma_f32 v26, v19, s39, -v22
	v_rndne_f32_e32 v32, v22
	v_fmac_f32_e32 v26, 0x32a5705f, v19
	v_sub_f32_e32 v22, v22, v32
	v_add_f32_e32 v22, v22, v26
	v_exp_f32_e32 v22, v22
	v_cvt_i32_f32_e32 v26, v32
	v_cmp_ngt_f32_e32 vcc, s60, v19
	v_sub_f32_e32 v25, v25, v205
	v_sub_f32_e32 v27, v27, v205
	v_ldexp_f32 v22, v22, v26
	v_mul_f32_e32 v26, 0x3fb8aa3b, v20
	v_fma_f32 v32, v20, s39, -v26
	v_rndne_f32_e32 v116, v26
	v_fmac_f32_e32 v32, 0x32a5705f, v20
	v_sub_f32_e32 v26, v26, v116
	v_add_f32_e32 v26, v26, v32
	v_exp_f32_e32 v26, v26
	v_cvt_i32_f32_e32 v32, v116
	v_cndmask_b32_e32 v22, 0, v22, vcc
	v_cmp_nlt_f32_e32 vcc, s61, v19
	v_sub_f32_e32 v28, v28, v205
	v_ldexp_f32 v26, v26, v32
	v_cndmask_b32_e32 v19, v252, v22, vcc
	v_cmp_ngt_f32_e32 vcc, s60, v20
	v_add_f32_e32 v22, v18, v19
	v_sub_f32_e32 v29, v29, v205
	v_cndmask_b32_e32 v26, 0, v26, vcc
	v_cmp_nlt_f32_e32 vcc, s61, v20
	v_sub_f32_e32 v31, v31, v205
	s_nop 0
	v_cndmask_b32_e32 v20, v252, v26, vcc
	v_add_f32_e32 v26, v20, v22
	v_mul_f32_e32 v22, 0x3fb8aa3b, v21
	v_fma_f32 v32, v21, s39, -v22
	v_rndne_f32_e32 v116, v22
	v_fmac_f32_e32 v32, 0x32a5705f, v21
	v_sub_f32_e32 v22, v22, v116
	v_add_f32_e32 v22, v22, v32
	v_exp_f32_e32 v22, v22
	v_cvt_i32_f32_e32 v32, v116
	v_cmp_ngt_f32_e32 vcc, s60, v21
	v_ldexp_f32 v22, v22, v32
	s_nop 0
	v_cndmask_b32_e32 v22, 0, v22, vcc
	v_cmp_nlt_f32_e32 vcc, s61, v21
	v_sub_f32_e32 v21, v118, v205
	v_mul_f32_e32 v32, 0x3fb8aa3b, v21
	v_fma_f32 v116, v21, s39, -v32
	v_rndne_f32_e32 v117, v32
	v_fmac_f32_e32 v116, 0x32a5705f, v21
	v_sub_f32_e32 v32, v32, v117
	v_add_f32_e32 v32, v32, v116
	v_exp_f32_e32 v32, v32
	v_cvt_i32_f32_e32 v116, v117
	v_cndmask_b32_e32 v22, v252, v22, vcc
	v_cmp_ngt_f32_e32 vcc, s60, v21
	v_add_f32_e32 v26, v22, v26
	v_ldexp_f32 v32, v32, v116
	v_cndmask_b32_e32 v32, 0, v32, vcc
	v_cmp_nlt_f32_e32 vcc, s61, v21
	s_nop 1
	v_cndmask_b32_e32 v21, v252, v32, vcc
	v_mul_f32_e32 v32, 0x3fb8aa3b, v23
	v_fma_f32 v116, v23, s39, -v32
	v_rndne_f32_e32 v117, v32
	v_fmac_f32_e32 v116, 0x32a5705f, v23
	v_sub_f32_e32 v32, v32, v117
	v_add_f32_e32 v32, v32, v116
	v_exp_f32_e32 v32, v32
	v_cvt_i32_f32_e32 v116, v117
	v_cmp_ngt_f32_e32 vcc, s60, v23
	v_add_f32_e32 v26, v21, v26
	v_ldexp_f32 v32, v32, v116
	v_cndmask_b32_e32 v32, 0, v32, vcc
	v_cmp_nlt_f32_e32 vcc, s61, v23
	s_nop 1
	v_cndmask_b32_e32 v23, v252, v32, vcc
	v_mul_f32_e32 v32, 0x3fb8aa3b, v24
	v_fma_f32 v116, v24, s39, -v32
	v_rndne_f32_e32 v117, v32
	v_fmac_f32_e32 v116, 0x32a5705f, v24
	v_sub_f32_e32 v32, v32, v117
	v_add_f32_e32 v32, v32, v116
	v_exp_f32_e32 v32, v32
	v_cvt_i32_f32_e32 v116, v117
	v_cmp_ngt_f32_e32 vcc, s60, v24
	v_add_f32_e32 v26, v23, v26
	v_ldexp_f32 v32, v32, v116
	v_cndmask_b32_e32 v32, 0, v32, vcc
	v_cmp_nlt_f32_e32 vcc, s61, v24
	s_nop 1
	v_cndmask_b32_e32 v24, v252, v32, vcc
	v_add_f32_e32 v32, v24, v26
	v_mul_f32_e32 v26, 0x3fb8aa3b, v25
	v_fma_f32 v116, v25, s39, -v26
	v_rndne_f32_e32 v117, v26
	v_fmac_f32_e32 v116, 0x32a5705f, v25
	v_sub_f32_e32 v26, v26, v117
	v_add_f32_e32 v26, v26, v116
	v_exp_f32_e32 v26, v26
	v_cvt_i32_f32_e32 v116, v117
	v_cmp_ngt_f32_e32 vcc, s60, v25
	v_ldexp_f32 v26, v26, v116
	s_nop 0
	v_cndmask_b32_e32 v26, 0, v26, vcc
	v_cmp_nlt_f32_e32 vcc, s61, v25
	v_sub_f32_e32 v25, v119, v205
	v_mul_f32_e32 v116, 0x3fb8aa3b, v25
	v_fma_f32 v117, v25, s39, -v116
	v_rndne_f32_e32 v118, v116
	v_fmac_f32_e32 v117, 0x32a5705f, v25
	v_sub_f32_e32 v116, v116, v118
	v_add_f32_e32 v116, v116, v117
	v_exp_f32_e32 v116, v116
	v_cvt_i32_f32_e32 v117, v118
	v_cndmask_b32_e32 v26, v252, v26, vcc
	v_cmp_ngt_f32_e32 vcc, s60, v25
	v_add_f32_e32 v32, v26, v32
	v_ldexp_f32 v116, v116, v117
	v_cndmask_b32_e32 v116, 0, v116, vcc
	v_cmp_nlt_f32_e32 vcc, s61, v25
	s_nop 1
	v_cndmask_b32_e32 v25, v252, v116, vcc
	v_mul_f32_e32 v116, 0x3fb8aa3b, v27
	v_fma_f32 v117, v27, s39, -v116
	v_rndne_f32_e32 v118, v116
	v_fmac_f32_e32 v117, 0x32a5705f, v27
	v_sub_f32_e32 v116, v116, v118
	v_add_f32_e32 v116, v116, v117
	v_exp_f32_e32 v116, v116
	v_cvt_i32_f32_e32 v117, v118
	v_cmp_ngt_f32_e32 vcc, s60, v27
	v_add_f32_e32 v32, v25, v32
	v_ldexp_f32 v116, v116, v117
	v_cndmask_b32_e32 v116, 0, v116, vcc
	v_cmp_nlt_f32_e32 vcc, s61, v27
	s_nop 1
	v_cndmask_b32_e32 v27, v252, v116, vcc
	v_mul_f32_e32 v116, 0x3fb8aa3b, v28
	v_fma_f32 v117, v28, s39, -v116
	v_rndne_f32_e32 v118, v116
	v_fmac_f32_e32 v117, 0x32a5705f, v28
	v_sub_f32_e32 v116, v116, v118
	v_add_f32_e32 v116, v116, v117
	v_exp_f32_e32 v116, v116
	v_cvt_i32_f32_e32 v117, v118
	v_cmp_ngt_f32_e32 vcc, s60, v28
	v_add_f32_e32 v32, v27, v32
	v_ldexp_f32 v116, v116, v117
	v_cndmask_b32_e32 v116, 0, v116, vcc
	v_cmp_nlt_f32_e32 vcc, s61, v28
	s_nop 1
	v_cndmask_b32_e32 v28, v252, v116, vcc
	v_add_f32_e32 v116, v28, v32
	v_mul_f32_e32 v32, 0x3fb8aa3b, v29
	v_fma_f32 v117, v29, s39, -v32
	v_rndne_f32_e32 v118, v32
	v_fmac_f32_e32 v117, 0x32a5705f, v29
	v_sub_f32_e32 v32, v32, v118
	v_add_f32_e32 v32, v32, v117
	v_exp_f32_e32 v32, v32
	v_cvt_i32_f32_e32 v117, v118
	v_cmp_ngt_f32_e32 vcc, s60, v29
	v_ldexp_f32 v32, v32, v117
	s_nop 0
	v_cndmask_b32_e32 v32, 0, v32, vcc
	v_cmp_nlt_f32_e32 vcc, s61, v29
	v_sub_f32_e32 v29, v30, v205
	v_mul_f32_e32 v30, 0x3fb8aa3b, v29
	v_fma_f32 v117, v29, s39, -v30
	v_rndne_f32_e32 v118, v30
	v_fmac_f32_e32 v117, 0x32a5705f, v29
	v_sub_f32_e32 v30, v30, v118
	v_add_f32_e32 v30, v30, v117
	v_exp_f32_e32 v30, v30
	v_cvt_i32_f32_e32 v117, v118
	v_cndmask_b32_e32 v32, v252, v32, vcc
	v_cmp_ngt_f32_e32 vcc, s60, v29
	v_add_f32_e32 v116, v32, v116
	v_ldexp_f32 v30, v30, v117
	v_cndmask_b32_e32 v30, 0, v30, vcc
	v_cmp_nlt_f32_e32 vcc, s61, v29
	s_nop 1
	v_cndmask_b32_e32 v29, v252, v30, vcc
	v_add_f32_e32 v30, v29, v116
	v_mul_f32_e32 v116, 0x3fb8aa3b, v31
	v_fma_f32 v117, v31, s39, -v116
	v_rndne_f32_e32 v118, v116
	v_fmac_f32_e32 v117, 0x32a5705f, v31
	v_sub_f32_e32 v116, v116, v118
	v_add_f32_e32 v116, v116, v117
	v_exp_f32_e32 v116, v116
	v_cvt_i32_f32_e32 v117, v118
	v_cmp_ngt_f32_e32 vcc, s60, v31
	v_ldexp_f32 v116, v116, v117
	s_nop 0
	v_cndmask_b32_e32 v116, 0, v116, vcc
	v_cmp_nlt_f32_e32 vcc, s61, v31
	v_sub_f32_e32 v31, v163, v205
	s_nop 0
	v_cndmask_b32_e32 v162, v252, v116, vcc
	v_mul_f32_e32 v116, 0x3fb8aa3b, v31
	v_fma_f32 v117, v31, s39, -v116
	v_rndne_f32_e32 v118, v116
	v_fmac_f32_e32 v117, 0x32a5705f, v31
	v_sub_f32_e32 v116, v116, v118
	v_add_f32_e32 v116, v116, v117
	v_exp_f32_e32 v116, v116
	v_cvt_i32_f32_e32 v117, v118
	v_cmp_ngt_f32_e32 vcc, s60, v31
	v_add_f32_e32 v30, v162, v30
	v_cvt_pk_f16_f32 v162, v29, v162
	v_ldexp_f32 v116, v116, v117
	v_cndmask_b32_e32 v116, 0, v116, vcc
	v_cmp_nlt_f32_e32 vcc, s61, v31
	v_sub_f32_e32 v31, v33, v205
	v_mul_f32_e32 v33, 0x3fb8aa3b, v31
	v_cndmask_b32_e32 v163, v252, v116, vcc
	v_fma_f32 v116, v31, s39, -v33
	v_rndne_f32_e32 v117, v33
	v_fmac_f32_e32 v116, 0x32a5705f, v31
	v_sub_f32_e32 v33, v33, v117
	v_add_f32_e32 v33, v33, v116
	v_exp_f32_e32 v33, v33
	v_cvt_i32_f32_e32 v116, v117
	v_cmp_ngt_f32_e32 vcc, s60, v31
	v_add_f32_e32 v30, v163, v30
	v_ldexp_f32 v33, v33, v116
	v_cndmask_b32_e32 v33, 0, v33, vcc
	v_cmp_nlt_f32_e32 vcc, s61, v31
	s_nop 1
	v_cndmask_b32_e32 v200, v252, v33, vcc
	v_add_f32_e32 v203, v200, v30
	v_sub_f32_e32 v30, v161, v205
	v_mul_f32_e32 v31, 0x3fb8aa3b, v30
	v_fma_f32 v33, v30, s39, -v31
	v_rndne_f32_e32 v116, v31
	v_fmac_f32_e32 v33, 0x32a5705f, v30
	v_sub_f32_e32 v31, v31, v116
	v_add_f32_e32 v31, v31, v33
	v_exp_f32_e32 v31, v31
	v_cvt_i32_f32_e32 v33, v116
	v_cmp_ngt_f32_e32 vcc, s60, v30
	v_cvt_pk_f16_f32 v163, v163, v200
	v_ldexp_f32 v31, v31, v33
	v_cndmask_b32_e32 v31, 0, v31, vcc
	v_cmp_nlt_f32_e32 vcc, s61, v30
	s_nop 1
	v_cndmask_b32_e32 v31, v252, v31, vcc
	v_cmp_le_f32_e32 vcc, s30, v30
	s_nop 1
	v_cndmask_b32_e32 v30, 0, v31, vcc
	v_fmac_f32_e32 v203, v160, v30
	v_cvt_f16_f32_e32 v30, v30
	v_mul_u32_u24_e32 v116, 0x10001, v30
	v_pk_mul_f16 v31, v37, v116
	v_pk_mul_f16 v30, v36, v116
	v_lshl_add_u64 v[36:37], v[138:139], 0, s[68:69]
	v_pk_mul_f16 v49, v49, v116
	v_pk_mul_f16 v48, v48, v116
	;; [unrolled: 1-line block ×14, first 2 shown]
	v_lshl_add_u64 v[46:47], v[68:69], 2, v[36:37]
	v_lshl_add_u64 v[116:117], v[70:71], 2, v[36:37]
	;; [unrolled: 1-line block ×6, first 2 shown]
	global_load_dwordx4 v[116:119], v[46:47], off
	v_lshl_add_u64 v[36:37], v[76:77], 2, v[36:37]
	v_lshl_add_u64 v[36:37], v[36:37], 0, v[56:57]
	v_cvt_pk_f16_f32 v47, v20, v22
	v_cvt_pk_f16_f32 v46, v18, v19
	s_waitcnt vmcnt(0)
	ds_write_b128 v171, v[116:119]
	global_load_dwordx4 v[116:119], v[160:161], off
	v_cvt_pk_f16_f32 v161, v28, v32
	v_cvt_pk_f16_f32 v160, v25, v27
	s_waitcnt vmcnt(0)
	ds_write_b128 v228, v[116:119]
	global_load_dwordx4 v[116:119], v[194:195], off
	s_waitcnt vmcnt(0)
	ds_write_b128 v229, v[116:119]
	global_load_dwordx4 v[116:119], v[36:37], off
	s_waitcnt vmcnt(0)
	ds_write_b128 v230, v[116:119]
	s_waitcnt lgkmcnt(0)
	s_barrier
	ds_read_u16 v36, v179 offset:272
	ds_read_u16 v37, v179 offset:544
	ds_read_u16 v40, v181
	ds_read_u16 v56, v181 offset:32
	v_cvt_f32_f16_e32 v116, v49
	v_cvt_f32_f16_sdwa v117, v49 dst_sel:DWORD dst_unused:UNUSED_PAD src0_sel:WORD_1
	v_cvt_f32_f16_e32 v118, v48
	s_waitcnt lgkmcnt(1)
	v_perm_b32 v37, v40, v37, s47
	ds_read_u16 v40, v179
	ds_read_u16 v194, v179 offset:32
	v_cvt_f32_f16_sdwa v119, v48 dst_sel:DWORD dst_unused:UNUSED_PAD src0_sel:WORD_1
	v_cvt_pk_f16_f32 v49, v24, v26
	s_waitcnt lgkmcnt(1)
	v_perm_b32 v36, v36, v40, s47
	s_nop 1
	v_mfma_f32_16x16x16_f16 v[116:119], v[36:37], v[46:47], v[116:119]
	ds_read_u16 v36, v179 offset:4352
	ds_read_u16 v37, v179 offset:4624
	;; [unrolled: 1-line block ×4, first 2 shown]
	s_nop 3
	v_cvt_f16_f32_e32 v18, v116
	v_cvt_f16_f32_e32 v19, v117
	;; [unrolled: 1-line block ×4, first 2 shown]
	v_cvt_f32_f16_e32 v116, v18
	v_cvt_f32_f16_e32 v117, v19
	s_waitcnt lgkmcnt(0)
	v_perm_b32 v19, v48, v40, s47
	v_perm_b32 v18, v37, v36, s47
	v_cvt_f32_f16_e32 v118, v20
	v_cvt_f32_f16_e32 v119, v22
	v_cvt_pk_f16_f32 v48, v21, v23
	ds_read_u16 v22, v179 offset:8704
	ds_read_u16 v24, v179 offset:8976
	;; [unrolled: 1-line block ×4, first 2 shown]
	v_mfma_f32_16x16x16_f16 v[18:21], v[18:19], v[48:49], v[116:119]
	s_waitcnt lgkmcnt(2)
	v_perm_b32 v22, v24, v22, s47
	s_waitcnt lgkmcnt(0)
	v_perm_b32 v23, v26, v23, s47
	v_cvt_f32_f16_e32 v116, v31
	s_nop 2
	v_cvt_f16_f32_e32 v18, v18
	v_cvt_f16_f32_e32 v19, v19
	;; [unrolled: 1-line block ×4, first 2 shown]
	v_cvt_f32_f16_e32 v18, v18
	v_cvt_f32_f16_e32 v19, v19
	;; [unrolled: 1-line block ×4, first 2 shown]
	v_cvt_f32_f16_sdwa v117, v31 dst_sel:DWORD dst_unused:UNUSED_PAD src0_sel:WORD_1
	v_cvt_f32_f16_e32 v118, v30
	v_mfma_f32_16x16x16_f16 v[18:21], v[22:23], v[160:161], v[18:21]
	ds_read_u16 v22, v179 offset:13056
	ds_read_u16 v24, v179 offset:13328
	;; [unrolled: 1-line block ×6, first 2 shown]
	v_cvt_f32_f16_sdwa v119, v30 dst_sel:DWORD dst_unused:UNUSED_PAD src0_sel:WORD_1
	s_nop 0
	v_cvt_f16_f32_e32 v18, v18
	v_cvt_f16_f32_e32 v19, v19
	;; [unrolled: 1-line block ×4, first 2 shown]
	s_waitcnt lgkmcnt(2)
	v_perm_b32 v23, v25, v23, s47
	v_perm_b32 v22, v24, v22, s47
	v_cvt_f32_f16_e32 v18, v18
	v_cvt_f32_f16_e32 v19, v19
	;; [unrolled: 1-line block ×4, first 2 shown]
	s_waitcnt lgkmcnt(0)
	v_perm_b32 v27, v56, v27, s47
	v_perm_b32 v26, v26, v194, s47
	v_mfma_f32_16x16x16_f16 v[18:21], v[22:23], v[162:163], v[18:21]
	v_cvt_f32_f16_e32 v22, v45
	v_cvt_f32_f16_sdwa v23, v45 dst_sel:DWORD dst_unused:UNUSED_PAD src0_sel:WORD_1
	v_cvt_f32_f16_e32 v24, v44
	v_cvt_f32_f16_sdwa v25, v44 dst_sel:DWORD dst_unused:UNUSED_PAD src0_sel:WORD_1
	s_nop 1
	v_mfma_f32_16x16x16_f16 v[22:25], v[26:27], v[46:47], v[22:25]
	ds_read_u16 v26, v179 offset:4384
	ds_read_u16 v28, v179 offset:4656
	;; [unrolled: 1-line block ×4, first 2 shown]
	s_nop 3
	v_cvt_f16_f32_e32 v22, v22
	v_cvt_f16_f32_e32 v23, v23
	;; [unrolled: 1-line block ×4, first 2 shown]
	s_waitcnt lgkmcnt(0)
	v_perm_b32 v27, v29, v27, s47
	v_perm_b32 v26, v28, v26, s47
	v_cvt_f32_f16_e32 v22, v22
	v_cvt_f32_f16_e32 v23, v23
	;; [unrolled: 1-line block ×4, first 2 shown]
	s_nop 1
	v_mfma_f32_16x16x16_f16 v[22:25], v[26:27], v[48:49], v[22:25]
	ds_read_u16 v26, v179 offset:8736
	ds_read_u16 v28, v179 offset:9008
	;; [unrolled: 1-line block ×4, first 2 shown]
	s_nop 3
	v_cvt_f16_f32_e32 v22, v22
	v_cvt_f16_f32_e32 v23, v23
	;; [unrolled: 1-line block ×4, first 2 shown]
	s_waitcnt lgkmcnt(0)
	v_perm_b32 v27, v29, v27, s47
	v_perm_b32 v26, v28, v26, s47
	v_cvt_f32_f16_e32 v22, v22
	v_cvt_f32_f16_e32 v23, v23
	;; [unrolled: 1-line block ×4, first 2 shown]
	s_nop 1
	v_mfma_f32_16x16x16_f16 v[22:25], v[26:27], v[160:161], v[22:25]
	ds_read_u16 v26, v179 offset:13088
	ds_read_u16 v28, v179 offset:13360
	;; [unrolled: 1-line block ×8, first 2 shown]
	v_cvt_f16_f32_e32 v22, v22
	v_cvt_f16_f32_e32 v23, v23
	;; [unrolled: 1-line block ×4, first 2 shown]
	s_waitcnt lgkmcnt(4)
	v_perm_b32 v27, v29, v27, s47
	v_perm_b32 v26, v28, v26, s47
	v_cvt_f32_f16_e32 v22, v22
	v_cvt_f32_f16_e32 v23, v23
	;; [unrolled: 1-line block ×5, first 2 shown]
	v_cvt_f32_f16_sdwa v29, v33 dst_sel:DWORD dst_unused:UNUSED_PAD src0_sel:WORD_1
	s_waitcnt lgkmcnt(0)
	v_perm_b32 v33, v40, v37, s47
	v_perm_b32 v32, v36, v32, s47
	v_mfma_f32_16x16x16_f16 v[22:25], v[26:27], v[162:163], v[22:25]
	v_cvt_f32_f16_e32 v26, v41
	v_cvt_f32_f16_sdwa v27, v41 dst_sel:DWORD dst_unused:UNUSED_PAD src0_sel:WORD_1
	s_nop 1
	v_mfma_f32_16x16x16_f16 v[26:29], v[32:33], v[46:47], v[26:29]
	ds_read_u16 v32, v179 offset:4416
	ds_read_u16 v36, v179 offset:4688
	ds_read_u16 v33, v179 offset:4960
	ds_read_u16 v37, v181 offset:4416
	s_nop 3
	v_cvt_f16_f32_e32 v26, v26
	v_cvt_f16_f32_e32 v27, v27
	v_cvt_f16_f32_e32 v28, v28
	v_cvt_f16_f32_e32 v29, v29
	s_waitcnt lgkmcnt(0)
	v_perm_b32 v33, v37, v33, s47
	v_perm_b32 v32, v36, v32, s47
	v_cvt_f32_f16_e32 v26, v26
	v_cvt_f32_f16_e32 v27, v27
	v_cvt_f32_f16_e32 v28, v28
	v_cvt_f32_f16_e32 v29, v29
	s_nop 1
	v_mfma_f32_16x16x16_f16 v[26:29], v[32:33], v[48:49], v[26:29]
	ds_read_u16 v32, v179 offset:8768
	ds_read_u16 v36, v179 offset:9040
	ds_read_u16 v33, v179 offset:9312
	ds_read_u16 v37, v181 offset:8768
	s_nop 3
	v_cvt_f16_f32_e32 v26, v26
	v_cvt_f16_f32_e32 v27, v27
	v_cvt_f16_f32_e32 v28, v28
	v_cvt_f16_f32_e32 v29, v29
	s_waitcnt lgkmcnt(0)
	v_perm_b32 v33, v37, v33, s47
	v_perm_b32 v32, v36, v32, s47
	v_cvt_f32_f16_e32 v26, v26
	v_cvt_f32_f16_e32 v27, v27
	v_cvt_f32_f16_e32 v28, v28
	v_cvt_f32_f16_e32 v29, v29
	;; [unrolled: 18-line block ×3, first 2 shown]
	s_nop 1
	v_mfma_f32_16x16x16_f16 v[26:29], v[32:33], v[162:163], v[26:29]
	ds_read_u16 v32, v179 offset:96
	ds_read_u16 v33, v179 offset:368
	;; [unrolled: 1-line block ×4, first 2 shown]
	s_waitcnt lgkmcnt(2)
	v_perm_b32 v30, v33, v32, s47
	s_waitcnt lgkmcnt(0)
	v_perm_b32 v31, v37, v36, s47
	ds_read_u16 v36, v179 offset:4448
	ds_read_u16 v40, v179 offset:4720
	;; [unrolled: 1-line block ×4, first 2 shown]
	v_mfma_f32_16x16x16_f16 v[30:33], v[30:31], v[46:47], v[116:119]
	s_waitcnt lgkmcnt(0)
	v_perm_b32 v37, v41, v37, s47
	v_perm_b32 v36, v40, v36, s47
	v_cvt_f32_f16_e32 v116, v35
	s_nop 3
	v_cvt_f16_f32_e32 v30, v30
	v_cvt_f16_f32_e32 v31, v31
	;; [unrolled: 1-line block ×4, first 2 shown]
	v_cvt_f32_f16_e32 v30, v30
	v_cvt_f32_f16_e32 v31, v31
	v_cvt_f32_f16_e32 v32, v32
	v_cvt_f32_f16_e32 v33, v33
	v_cvt_f32_f16_sdwa v117, v35 dst_sel:DWORD dst_unused:UNUSED_PAD src0_sel:WORD_1
	v_cvt_f32_f16_e32 v118, v34
	v_mfma_f32_16x16x16_f16 v[30:33], v[36:37], v[48:49], v[30:33]
	ds_read_u16 v36, v179 offset:8800
	ds_read_u16 v40, v179 offset:9072
	;; [unrolled: 1-line block ×4, first 2 shown]
	v_cvt_f32_f16_sdwa v119, v34 dst_sel:DWORD dst_unused:UNUSED_PAD src0_sel:WORD_1
	s_nop 2
	v_cvt_f16_f32_e32 v30, v30
	v_cvt_f16_f32_e32 v31, v31
	;; [unrolled: 1-line block ×4, first 2 shown]
	s_waitcnt lgkmcnt(0)
	v_perm_b32 v37, v41, v37, s47
	v_perm_b32 v36, v40, v36, s47
	v_cvt_f32_f16_e32 v30, v30
	v_cvt_f32_f16_e32 v31, v31
	;; [unrolled: 1-line block ×4, first 2 shown]
	s_nop 1
	v_mfma_f32_16x16x16_f16 v[30:33], v[36:37], v[160:161], v[30:33]
	ds_read_u16 v36, v179 offset:13152
	ds_read_u16 v40, v179 offset:13424
	;; [unrolled: 1-line block ×4, first 2 shown]
	s_nop 3
	v_cvt_f16_f32_e32 v30, v30
	v_cvt_f16_f32_e32 v31, v31
	;; [unrolled: 1-line block ×4, first 2 shown]
	s_waitcnt lgkmcnt(0)
	v_perm_b32 v37, v41, v37, s47
	v_perm_b32 v36, v40, v36, s47
	v_cvt_f32_f16_e32 v30, v30
	v_cvt_f32_f16_e32 v31, v31
	;; [unrolled: 1-line block ×4, first 2 shown]
	s_nop 1
	v_mfma_f32_16x16x16_f16 v[30:33], v[36:37], v[162:163], v[30:33]
	ds_read_u16 v36, v179 offset:128
	ds_read_u16 v37, v179 offset:400
	;; [unrolled: 1-line block ×4, first 2 shown]
	s_waitcnt lgkmcnt(2)
	v_perm_b32 v34, v37, v36, s47
	s_waitcnt lgkmcnt(0)
	v_perm_b32 v35, v41, v40, s47
	ds_read_u16 v40, v179 offset:4480
	ds_read_u16 v44, v179 offset:4752
	;; [unrolled: 1-line block ×4, first 2 shown]
	v_mfma_f32_16x16x16_f16 v[34:37], v[34:35], v[46:47], v[116:119]
	s_waitcnt lgkmcnt(0)
	v_perm_b32 v41, v45, v41, s47
	v_perm_b32 v40, v44, v40, s47
	v_cvt_f32_f16_e32 v116, v39
	s_nop 3
	v_cvt_f16_f32_e32 v34, v34
	v_cvt_f16_f32_e32 v35, v35
	;; [unrolled: 1-line block ×4, first 2 shown]
	v_cvt_f32_f16_e32 v34, v34
	v_cvt_f32_f16_e32 v35, v35
	;; [unrolled: 1-line block ×4, first 2 shown]
	v_cvt_f32_f16_sdwa v117, v39 dst_sel:DWORD dst_unused:UNUSED_PAD src0_sel:WORD_1
	v_cvt_f32_f16_e32 v118, v38
	v_mfma_f32_16x16x16_f16 v[34:37], v[40:41], v[48:49], v[34:37]
	ds_read_u16 v40, v179 offset:8832
	ds_read_u16 v44, v179 offset:9104
	;; [unrolled: 1-line block ×4, first 2 shown]
	v_cvt_f32_f16_sdwa v119, v38 dst_sel:DWORD dst_unused:UNUSED_PAD src0_sel:WORD_1
	s_nop 2
	v_cvt_f16_f32_e32 v34, v34
	v_cvt_f16_f32_e32 v35, v35
	;; [unrolled: 1-line block ×4, first 2 shown]
	s_waitcnt lgkmcnt(0)
	v_perm_b32 v41, v45, v41, s47
	v_perm_b32 v40, v44, v40, s47
	v_cvt_f32_f16_e32 v34, v34
	v_cvt_f32_f16_e32 v35, v35
	;; [unrolled: 1-line block ×4, first 2 shown]
	s_nop 1
	v_mfma_f32_16x16x16_f16 v[34:37], v[40:41], v[160:161], v[34:37]
	ds_read_u16 v40, v179 offset:13184
	ds_read_u16 v44, v179 offset:13456
	;; [unrolled: 1-line block ×4, first 2 shown]
	s_nop 3
	v_cvt_f16_f32_e32 v34, v34
	v_cvt_f16_f32_e32 v35, v35
	;; [unrolled: 1-line block ×4, first 2 shown]
	s_waitcnt lgkmcnt(0)
	v_perm_b32 v41, v45, v41, s47
	v_perm_b32 v40, v44, v40, s47
	v_cvt_f32_f16_e32 v34, v34
	v_cvt_f32_f16_e32 v35, v35
	;; [unrolled: 1-line block ×4, first 2 shown]
	s_nop 1
	v_mfma_f32_16x16x16_f16 v[34:37], v[40:41], v[162:163], v[34:37]
	ds_read_u16 v40, v179 offset:160
	ds_read_u16 v41, v179 offset:432
	;; [unrolled: 1-line block ×4, first 2 shown]
	s_waitcnt lgkmcnt(2)
	v_perm_b32 v38, v41, v40, s47
	s_nop 1
	v_cvt_pk_f16_f32 v35, v34, v35
	s_waitcnt lgkmcnt(0)
	v_perm_b32 v39, v45, v44, s47
	v_cvt_pk_f16_f32 v34, v36, v37
	v_cvt_pk_f16_f32 v37, v30, v31
	v_mfma_f32_16x16x16_f16 v[38:41], v[38:39], v[46:47], v[116:119]
	ds_read_u16 v44, v179 offset:4512
	ds_read_u16 v56, v179 offset:4784
	;; [unrolled: 1-line block ×4, first 2 shown]
	v_cvt_f32_f16_sdwa v117, v43 dst_sel:DWORD dst_unused:UNUSED_PAD src0_sel:WORD_1
	v_cvt_f32_f16_e32 v118, v42
	s_nop 1
	v_cvt_f16_f32_e32 v38, v38
	v_cvt_f16_f32_e32 v39, v39
	v_cvt_f16_f32_e32 v40, v40
	v_cvt_f16_f32_e32 v41, v41
	s_waitcnt lgkmcnt(0)
	v_perm_b32 v45, v116, v45, s47
	v_perm_b32 v44, v56, v44, s47
	v_cvt_f32_f16_e32 v38, v38
	v_cvt_f32_f16_e32 v39, v39
	;; [unrolled: 1-line block ×4, first 2 shown]
	v_cvt_f32_f16_sdwa v119, v42 dst_sel:DWORD dst_unused:UNUSED_PAD src0_sel:WORD_1
	v_cvt_pk_f16_f32 v36, v32, v33
	v_mfma_f32_16x16x16_f16 v[38:41], v[44:45], v[48:49], v[38:41]
	ds_read_u16 v44, v179 offset:8864
	ds_read_u16 v56, v179 offset:9136
	;; [unrolled: 1-line block ×4, first 2 shown]
	s_nop 3
	v_cvt_f16_f32_e32 v38, v38
	v_cvt_f16_f32_e32 v39, v39
	;; [unrolled: 1-line block ×4, first 2 shown]
	s_waitcnt lgkmcnt(0)
	v_perm_b32 v45, v116, v45, s47
	v_perm_b32 v44, v56, v44, s47
	v_cvt_f32_f16_e32 v38, v38
	v_cvt_f32_f16_e32 v39, v39
	;; [unrolled: 1-line block ×4, first 2 shown]
	s_nop 1
	v_mfma_f32_16x16x16_f16 v[38:41], v[44:45], v[160:161], v[38:41]
	ds_read_u16 v44, v179 offset:13216
	ds_read_u16 v56, v179 offset:13488
	;; [unrolled: 1-line block ×4, first 2 shown]
	s_nop 3
	v_cvt_f16_f32_e32 v38, v38
	v_cvt_f16_f32_e32 v39, v39
	;; [unrolled: 1-line block ×4, first 2 shown]
	s_waitcnt lgkmcnt(0)
	v_perm_b32 v45, v116, v45, s47
	v_perm_b32 v44, v56, v44, s47
	v_cvt_f32_f16_e32 v38, v38
	v_cvt_f32_f16_e32 v39, v39
	;; [unrolled: 1-line block ×5, first 2 shown]
	s_nop 0
	v_mfma_f32_16x16x16_f16 v[38:41], v[44:45], v[162:163], v[38:41]
	ds_read_u16 v44, v179 offset:192
	ds_read_u16 v45, v179 offset:464
	;; [unrolled: 1-line block ×4, first 2 shown]
	s_waitcnt lgkmcnt(2)
	v_perm_b32 v42, v45, v44, s47
	s_nop 1
	v_cvt_pk_f16_f32 v39, v38, v39
	s_waitcnt lgkmcnt(0)
	v_perm_b32 v43, v194, v56, s47
	v_cvt_pk_f16_f32 v38, v40, v41
	v_cvt_pk_f16_f32 v41, v26, v27
	v_mfma_f32_16x16x16_f16 v[42:45], v[42:43], v[46:47], v[116:119]
	ds_read_u16 v56, v179 offset:4544
	s_nop 1
	ds_read_u16 v116, v179 offset:4816
	ds_read_u16 v117, v179 offset:5088
	;; [unrolled: 1-line block ×3, first 2 shown]
	v_cvt_f32_f16_sdwa v119, v223 dst_sel:DWORD dst_unused:UNUSED_PAD src0_sel:WORD_1
	v_cvt_pk_f16_f32 v40, v28, v29
	v_cvt_f16_f32_e32 v42, v42
	v_cvt_f16_f32_e32 v43, v43
	v_cvt_f16_f32_e32 v44, v44
	v_cvt_f16_f32_e32 v45, v45
	s_waitcnt lgkmcnt(0)
	v_perm_b32 v117, v118, v117, s47
	v_perm_b32 v116, v116, v56, s47
	v_cvt_f32_f16_e32 v42, v42
	v_cvt_f32_f16_e32 v43, v43
	;; [unrolled: 1-line block ×4, first 2 shown]
	s_nop 1
	v_mfma_f32_16x16x16_f16 v[42:45], v[116:117], v[48:49], v[42:45]
	ds_read_u16 v56, v179 offset:8896
	ds_read_u16 v116, v179 offset:9168
	ds_read_u16 v117, v179 offset:9440
	ds_read_u16 v118, v181 offset:8896
	s_nop 3
	v_cvt_f16_f32_e32 v42, v42
	v_cvt_f16_f32_e32 v43, v43
	;; [unrolled: 1-line block ×4, first 2 shown]
	s_waitcnt lgkmcnt(0)
	v_perm_b32 v117, v118, v117, s47
	v_perm_b32 v116, v116, v56, s47
	v_cvt_f32_f16_e32 v42, v42
	v_cvt_f32_f16_e32 v43, v43
	;; [unrolled: 1-line block ×4, first 2 shown]
	s_nop 1
	v_mfma_f32_16x16x16_f16 v[42:45], v[116:117], v[160:161], v[42:45]
	ds_read_u16 v56, v179 offset:13248
	ds_read_u16 v116, v179 offset:13520
	;; [unrolled: 1-line block ×4, first 2 shown]
	s_nop 3
	v_cvt_f16_f32_e32 v42, v42
	v_cvt_f16_f32_e32 v43, v43
	;; [unrolled: 1-line block ×4, first 2 shown]
	s_waitcnt lgkmcnt(2)
	v_perm_b32 v116, v116, v56, s47
	ds_read_u16 v56, v179 offset:224
	ds_read_u16 v194, v179 offset:496
	;; [unrolled: 1-line block ×4, first 2 shown]
	s_waitcnt lgkmcnt(4)
	v_perm_b32 v117, v118, v117, s47
	v_cvt_f32_f16_e32 v42, v42
	v_cvt_f32_f16_e32 v43, v43
	;; [unrolled: 1-line block ×4, first 2 shown]
	s_waitcnt lgkmcnt(0)
	v_perm_b32 v195, v196, v195, s47
	v_perm_b32 v194, v194, v56, s47
	v_mfma_f32_16x16x16_f16 v[42:45], v[116:117], v[162:163], v[42:45]
	v_cvt_f32_f16_e32 v116, v197
	v_cvt_f32_f16_sdwa v117, v197 dst_sel:DWORD dst_unused:UNUSED_PAD src0_sel:WORD_1
	v_cvt_f32_f16_e32 v118, v223
	s_nop 1
	v_mfma_f32_16x16x16_f16 v[116:119], v[194:195], v[46:47], v[116:119]
	ds_read_u16 v194, v179 offset:4576
	ds_read_u16 v195, v179 offset:4848
	;; [unrolled: 1-line block ×4, first 2 shown]
	v_cvt_pk_f16_f32 v43, v42, v43
	v_cvt_pk_f16_f32 v42, v44, v45
	s_nop 1
	v_cvt_f16_f32_e32 v46, v116
	v_cvt_f16_f32_e32 v47, v117
	;; [unrolled: 1-line block ×4, first 2 shown]
	v_cvt_f32_f16_e32 v116, v46
	v_cvt_f32_f16_e32 v117, v47
	s_waitcnt lgkmcnt(0)
	v_perm_b32 v47, v197, v196, s47
	v_perm_b32 v46, v195, v194, s47
	v_cvt_f32_f16_e32 v118, v56
	v_cvt_f32_f16_e32 v119, v119
	v_cvt_pk_f16_f32 v45, v22, v23
	v_cvt_pk_f16_f32 v44, v24, v25
	v_mfma_f32_16x16x16_f16 v[46:49], v[46:47], v[48:49], v[116:119]
	ds_read_u16 v56, v179 offset:8928
	s_nop 1
	ds_read_u16 v116, v179 offset:9200
	ds_read_u16 v117, v179 offset:9472
	;; [unrolled: 1-line block ×3, first 2 shown]
	s_nop 1
	v_cvt_f16_f32_e32 v46, v46
	v_cvt_f16_f32_e32 v47, v47
	;; [unrolled: 1-line block ×4, first 2 shown]
	s_waitcnt lgkmcnt(0)
	v_perm_b32 v117, v118, v117, s47
	v_perm_b32 v116, v116, v56, s47
	v_cvt_f32_f16_e32 v46, v46
	v_cvt_f32_f16_e32 v47, v47
	;; [unrolled: 1-line block ×4, first 2 shown]
	s_nop 1
	v_mfma_f32_16x16x16_f16 v[46:49], v[116:117], v[160:161], v[46:49]
	ds_read_u16 v56, v179 offset:13280
	ds_read_u16 v116, v179 offset:13552
	;; [unrolled: 1-line block ×4, first 2 shown]
	s_waitcnt lgkmcnt(0)
	s_barrier
	s_nop 1
	v_cvt_f16_f32_e32 v46, v46
	v_cvt_f16_f32_e32 v47, v47
	;; [unrolled: 1-line block ×4, first 2 shown]
	v_perm_b32 v117, v118, v117, s47
	v_perm_b32 v116, v116, v56, s47
	v_cvt_f32_f16_e32 v46, v46
	v_cvt_f32_f16_e32 v47, v47
	;; [unrolled: 1-line block ×4, first 2 shown]
	s_nop 1
	v_mfma_f32_16x16x16_f16 v[46:49], v[116:117], v[162:163], v[46:49]
	s_nop 7
	v_cvt_pk_f16_f32 v46, v46, v47
	v_cvt_pk_f16_f32 v47, v48, v49
	;; [unrolled: 1-line block ×4, first 2 shown]
	s_cbranch_scc1 .LBB24_83
	s_branch .LBB24_86
.LBB24_84:                              ;   in Loop: Header=BB24_12 Depth=1
	s_mov_b64 s[68:69], 0
                                        ; implicit-def: $vgpr4_vgpr5
                                        ; implicit-def: $vgpr2
	s_cbranch_execnz .LBB24_184
	s_branch .LBB24_353
.LBB24_85:                              ;   in Loop: Header=BB24_12 Depth=1
	v_mov_b32_e32 v205, 0xfeffffff
	v_mov_b32_e32 v203, 0
	;; [unrolled: 1-line block ×19, first 2 shown]
.LBB24_86:                              ;   in Loop: Header=BB24_12 Depth=1
	s_lshl_b32 s4, s52, 6
	s_ashr_i32 s5, s4, 31
	s_lshl_b64 s[6:7], s[4:5], 1
	v_lshl_add_u64 v[18:19], v[142:143], 0, s[6:7]
	v_lshl_add_u64 v[18:19], v[156:157], 1, v[18:19]
	v_lshlrev_b32_e32 v56, 1, v54
	v_lshl_add_u64 v[18:19], v[18:19], 0, v[56:57]
	global_load_dword v18, v[18:19], off
	s_mul_hi_i32 s7, s26, s4
	s_mul_i32 s6, s26, s4
	s_lshl_b64 s[6:7], s[6:7], 2
	v_lshlrev_b32_e32 v56, 2, v58
	v_add_u32_e32 v30, 0x1000, v222
	v_add_u32_e32 v116, 0x2000, v222
	;; [unrolled: 1-line block ×3, first 2 shown]
	v_cmp_lt_i32_e32 vcc, v204, v224
	s_mul_hi_i32 s5, s36, s4
	s_mul_i32 s4, s36, s4
	s_lshl_b64 s[4:5], s[4:5], 2
	s_waitcnt vmcnt(0)
	ds_write_b32 v59, v18 offset:17408
	v_lshl_add_u64 v[18:19], v[140:141], 0, s[6:7]
	v_lshl_add_u64 v[20:21], v[60:61], 2, v[18:19]
	;; [unrolled: 1-line block ×7, first 2 shown]
	global_load_dwordx4 v[18:21], v[20:21], off
	v_lshl_add_u64 v[22:23], v[22:23], 0, v[56:57]
	v_lshl_add_u64 v[24:25], v[24:25], 0, v[56:57]
	s_waitcnt vmcnt(0)
	ds_write_b128 v171, v[18:21]
	global_load_dwordx4 v[18:21], v[22:23], off
	s_waitcnt vmcnt(0)
	ds_write_b128 v228, v[18:21]
	global_load_dwordx4 v[18:21], v[24:25], off
	s_waitcnt vmcnt(0)
	ds_write_b128 v229, v[18:21]
	global_load_dwordx4 v[18:21], v[26:27], off
	s_waitcnt vmcnt(0)
	ds_write_b128 v230, v[18:21]
	s_waitcnt lgkmcnt(0)
	s_barrier
	ds_read2_b64 v[18:21], v222 offset1:4
	s_waitcnt lgkmcnt(0)
	v_mfma_f32_16x16x16_f16 v[22:25], v[18:19], v[14:15], 0
	v_mfma_f32_16x16x16_f16 v[18:21], v[20:21], v[16:17], v[22:25]
	s_nop 6
	ds_read2_b64 v[22:25], v222 offset0:8 offset1:12
	s_waitcnt lgkmcnt(0)
	v_mfma_f32_16x16x16_f16 v[18:21], v[22:23], v[10:11], v[18:21]
	v_mfma_f32_16x16x16_f16 v[18:21], v[24:25], v[12:13], v[18:21]
	ds_read2_b64 v[22:25], v222 offset0:16 offset1:20
	s_waitcnt lgkmcnt(0)
	v_mfma_f32_16x16x16_f16 v[18:21], v[22:23], v[6:7], v[18:21]
	v_mfma_f32_16x16x16_f16 v[18:21], v[24:25], v[8:9], v[18:21]
	;; [unrolled: 4-line block ×3, first 2 shown]
	s_nop 6
	ds_read2_b64 v[18:21], v30 offset0:32 offset1:36
	s_waitcnt lgkmcnt(0)
	v_mfma_f32_16x16x16_f16 v[22:25], v[18:19], v[14:15], 0
	v_mfma_f32_16x16x16_f16 v[18:21], v[20:21], v[16:17], v[22:25]
	s_nop 6
	ds_read2_b64 v[22:25], v30 offset0:40 offset1:44
	s_waitcnt lgkmcnt(0)
	v_mfma_f32_16x16x16_f16 v[18:21], v[22:23], v[10:11], v[18:21]
	v_mfma_f32_16x16x16_f16 v[18:21], v[24:25], v[12:13], v[18:21]
	ds_read2_b64 v[22:25], v30 offset0:48 offset1:52
	s_waitcnt lgkmcnt(0)
	v_mfma_f32_16x16x16_f16 v[18:21], v[22:23], v[6:7], v[18:21]
	v_mfma_f32_16x16x16_f16 v[18:21], v[24:25], v[8:9], v[18:21]
	;; [unrolled: 4-line block ×4, first 2 shown]
	s_nop 6
	ds_read2_b64 v[30:33], v116 offset0:72 offset1:76
	s_waitcnt lgkmcnt(0)
	v_mfma_f32_16x16x16_f16 v[22:25], v[30:31], v[10:11], v[22:25]
	v_mfma_f32_16x16x16_f16 v[22:25], v[32:33], v[12:13], v[22:25]
	ds_read2_b64 v[30:33], v116 offset0:80 offset1:84
	s_waitcnt lgkmcnt(0)
	v_mfma_f32_16x16x16_f16 v[22:25], v[30:31], v[6:7], v[22:25]
	v_mfma_f32_16x16x16_f16 v[22:25], v[32:33], v[8:9], v[22:25]
	;; [unrolled: 4-line block ×5, first 2 shown]
	s_nop 6
	ds_read2_b64 v[14:17], v156 offset0:112 offset1:116
	s_waitcnt lgkmcnt(0)
	v_mfma_f32_16x16x16_f16 v[10:13], v[14:15], v[6:7], v[10:13]
	v_mfma_f32_16x16x16_f16 v[6:9], v[16:17], v[8:9], v[10:13]
	s_nop 6
	ds_read2_b64 v[10:13], v156 offset0:120 offset1:124
	s_waitcnt lgkmcnt(0)
	v_mfma_f32_16x16x16_f16 v[6:9], v[10:11], v[2:3], v[6:9]
	s_barrier
	v_mfma_f32_16x16x16_f16 v[2:5], v[12:13], v[4:5], v[6:9]
	s_nop 5
	ds_read_b32 v6, v177 offset:17408
	s_waitcnt lgkmcnt(0)
	v_cvt_f32_f16_e32 v7, v6
	v_cvt_f32_f16_sdwa v6, v6 dst_sel:DWORD dst_unused:UNUSED_PAD src0_sel:WORD_1
	v_add_f32_e32 v26, v26, v7
	v_add_f32_e32 v27, v27, v6
	ds_read_b32 v6, v176 offset:17408
	s_waitcnt lgkmcnt(0)
	v_cvt_f32_f16_e32 v7, v6
	v_cvt_f32_f16_sdwa v6, v6 dst_sel:DWORD dst_unused:UNUSED_PAD src0_sel:WORD_1
	v_add_f32_e32 v30, v28, v7
	v_add_f32_e32 v16, v29, v6
	v_add_u32_e32 v6, 0x4400, v231
	ds_read2_b32 v[6:7], v6 offset1:1
	s_waitcnt lgkmcnt(0)
	v_cvt_f32_f16_e32 v8, v6
	v_cvt_f32_f16_sdwa v6, v6 dst_sel:DWORD dst_unused:UNUSED_PAD src0_sel:WORD_1
	v_add_f32_e32 v17, v18, v8
	v_add_f32_e32 v15, v19, v6
	v_cvt_f32_f16_e32 v6, v7
	v_cvt_f32_f16_sdwa v7, v7 dst_sel:DWORD dst_unused:UNUSED_PAD src0_sel:WORD_1
	v_add_f32_e32 v14, v20, v6
	v_add_u32_e32 v6, 0x4400, v232
	v_add_f32_e32 v13, v21, v7
	ds_read2_b32 v[6:7], v6 offset1:1
	s_waitcnt lgkmcnt(0)
	v_cvt_f32_f16_e32 v8, v6
	v_cvt_f32_f16_sdwa v6, v6 dst_sel:DWORD dst_unused:UNUSED_PAD src0_sel:WORD_1
	v_add_f32_e32 v12, v22, v8
	v_add_f32_e32 v10, v23, v6
	v_cvt_f32_f16_e32 v6, v7
	v_cvt_f32_f16_sdwa v7, v7 dst_sel:DWORD dst_unused:UNUSED_PAD src0_sel:WORD_1
	v_add_f32_e32 v9, v24, v6
	v_add_u32_e32 v6, 0x4400, v233
	v_add_f32_e32 v8, v25, v7
	ds_read2_b32 v[6:7], v6 offset1:1
	s_waitcnt lgkmcnt(0)
	v_cvt_f32_f16_e32 v11, v6
	v_cvt_f32_f16_sdwa v6, v6 dst_sel:DWORD dst_unused:UNUSED_PAD src0_sel:WORD_1
	v_add_f32_e32 v11, v2, v11
	v_add_f32_e32 v2, v3, v6
	v_cvt_f32_f16_e32 v3, v7
	v_cvt_f32_f16_sdwa v6, v7 dst_sel:DWORD dst_unused:UNUSED_PAD src0_sel:WORD_1
	v_add_f32_e32 v7, 0x40051340, v16
	v_add_f32_e32 v4, v4, v3
	;; [unrolled: 1-line block ×5, first 2 shown]
	v_max3_f32 v5, v205, v5, v6
	v_add_f32_e32 v6, 0x40051340, v30
	v_max3_f32 v5, v5, v6, v7
	v_add_f32_e32 v6, 0x40051340, v17
	v_add_f32_e32 v7, 0x40051340, v15
	v_max3_f32 v5, v5, v6, v7
	v_add_f32_e32 v6, 0x40051340, v14
	;; [unrolled: 3-line block ×6, first 2 shown]
	v_add_f32_e32 v7, 0x40051340, v3
	v_max3_f32 v5, v5, v6, v7
	v_cndmask_b32_e32 v6, v251, v204, vcc
	v_lshlrev_b32_e32 v28, 2, v6
	ds_bpermute_b32 v6, v28, v5
	v_cmp_lt_i32_e32 vcc, v207, v224
	s_waitcnt lgkmcnt(0)
	v_max_f32_e32 v6, v6, v6
	v_max_f32_e32 v5, v5, v6
	v_cndmask_b32_e32 v6, v251, v207, vcc
	v_lshlrev_b32_e32 v21, 2, v6
	ds_bpermute_b32 v6, v21, v5
	s_waitcnt lgkmcnt(0)
	v_max_f32_e32 v6, v6, v6
	v_max_f32_e32 v20, v5, v6
	v_sub_f32_e32 v5, v26, v20
	v_mul_f32_e32 v6, 0x3fb8aa3b, v5
	v_fma_f32 v7, v5, s39, -v6
	v_rndne_f32_e32 v18, v6
	v_fmac_f32_e32 v7, 0x32a5705f, v5
	v_sub_f32_e32 v6, v6, v18
	v_add_f32_e32 v6, v6, v7
	v_exp_f32_e32 v6, v6
	v_cvt_i32_f32_e32 v7, v18
	v_cmp_ngt_f32_e32 vcc, s60, v5
	v_sub_f32_e32 v16, v16, v20
	v_sub_f32_e32 v15, v15, v20
	v_ldexp_f32 v6, v6, v7
	v_cndmask_b32_e32 v6, 0, v6, vcc
	v_cmp_nlt_f32_e32 vcc, s61, v5
	v_sub_f32_e32 v5, v27, v20
	v_mul_f32_e32 v7, 0x3fb8aa3b, v5
	v_fma_f32 v18, v5, s39, -v7
	v_rndne_f32_e32 v19, v7
	v_fmac_f32_e32 v18, 0x32a5705f, v5
	v_sub_f32_e32 v7, v7, v19
	v_add_f32_e32 v7, v7, v18
	v_exp_f32_e32 v7, v7
	v_cvt_i32_f32_e32 v18, v19
	v_cndmask_b32_e32 v6, v252, v6, vcc
	v_cmp_ngt_f32_e32 vcc, s60, v5
	v_sub_f32_e32 v14, v14, v20
	v_ldexp_f32 v7, v7, v18
	v_sub_f32_e32 v18, v30, v20
	v_mul_f32_e32 v19, 0x3fb8aa3b, v18
	v_fma_f32 v22, v18, s39, -v19
	v_rndne_f32_e32 v23, v19
	v_fmac_f32_e32 v22, 0x32a5705f, v18
	v_sub_f32_e32 v19, v19, v23
	v_add_f32_e32 v19, v19, v22
	v_exp_f32_e32 v19, v19
	v_cvt_i32_f32_e32 v22, v23
	v_cndmask_b32_e32 v7, 0, v7, vcc
	v_cmp_nlt_f32_e32 vcc, s61, v5
	v_sub_f32_e32 v13, v13, v20
	v_ldexp_f32 v19, v19, v22
	v_cndmask_b32_e32 v7, v252, v7, vcc
	v_cmp_ngt_f32_e32 vcc, s60, v18
	v_sub_f32_e32 v12, v12, v20
	v_sub_f32_e32 v10, v10, v20
	v_cndmask_b32_e32 v19, 0, v19, vcc
	v_cmp_nlt_f32_e32 vcc, s61, v18
	v_sub_f32_e32 v9, v9, v20
	v_sub_f32_e32 v8, v8, v20
	v_cndmask_b32_e32 v18, v252, v19, vcc
	v_mul_f32_e32 v19, 0x3fb8aa3b, v16
	v_fma_f32 v22, v16, s39, -v19
	v_rndne_f32_e32 v23, v19
	v_fmac_f32_e32 v22, 0x32a5705f, v16
	v_sub_f32_e32 v19, v19, v23
	v_add_f32_e32 v19, v19, v22
	v_exp_f32_e32 v19, v19
	v_cvt_i32_f32_e32 v22, v23
	v_cmp_ngt_f32_e32 vcc, s60, v16
	v_add_f32_e32 v5, v6, v7
	v_sub_f32_e32 v2, v2, v20
	v_ldexp_f32 v19, v19, v22
	v_cndmask_b32_e32 v19, 0, v19, vcc
	v_cmp_nlt_f32_e32 vcc, s61, v16
	v_sub_f32_e32 v16, v17, v20
	v_mul_f32_e32 v17, 0x3fb8aa3b, v16
	v_fma_f32 v22, v16, s39, -v17
	v_rndne_f32_e32 v23, v17
	v_fmac_f32_e32 v22, 0x32a5705f, v16
	v_sub_f32_e32 v17, v17, v23
	v_add_f32_e32 v17, v17, v22
	v_exp_f32_e32 v17, v17
	v_cvt_i32_f32_e32 v22, v23
	v_cndmask_b32_e32 v19, v252, v19, vcc
	v_cmp_ngt_f32_e32 vcc, s60, v16
	v_add_f32_e32 v5, v18, v5
	v_ldexp_f32 v17, v17, v22
	v_cndmask_b32_e32 v17, 0, v17, vcc
	v_cmp_nlt_f32_e32 vcc, s61, v16
	v_mul_f32_e32 v16, 0x3fb8aa3b, v15
	v_rndne_f32_e32 v23, v16
	v_cndmask_b32_e32 v22, v252, v17, vcc
	v_fma_f32 v17, v15, s39, -v16
	v_fmac_f32_e32 v17, 0x32a5705f, v15
	v_sub_f32_e32 v16, v16, v23
	v_add_f32_e32 v16, v16, v17
	v_exp_f32_e32 v16, v16
	v_cvt_i32_f32_e32 v17, v23
	v_cmp_ngt_f32_e32 vcc, s60, v15
	v_add_f32_e32 v5, v19, v5
	v_add_f32_e32 v5, v22, v5
	v_ldexp_f32 v16, v16, v17
	v_cndmask_b32_e32 v16, 0, v16, vcc
	v_cmp_nlt_f32_e32 vcc, s61, v15
	v_mul_f32_e32 v15, 0x3fb8aa3b, v14
	v_rndne_f32_e32 v17, v15
	v_cndmask_b32_e32 v23, v252, v16, vcc
	v_fma_f32 v16, v14, s39, -v15
	v_fmac_f32_e32 v16, 0x32a5705f, v14
	v_sub_f32_e32 v15, v15, v17
	v_add_f32_e32 v15, v15, v16
	v_exp_f32_e32 v15, v15
	v_cvt_i32_f32_e32 v16, v17
	v_cmp_ngt_f32_e32 vcc, s60, v14
	v_add_f32_e32 v5, v23, v5
	v_sub_f32_e32 v4, v4, v20
	v_ldexp_f32 v15, v15, v16
	v_cndmask_b32_e32 v15, 0, v15, vcc
	v_cmp_nlt_f32_e32 vcc, s61, v14
	v_mul_f32_e32 v14, 0x3fb8aa3b, v13
	v_rndne_f32_e32 v16, v14
	v_cndmask_b32_e32 v24, v252, v15, vcc
	v_fma_f32 v15, v13, s39, -v14
	v_fmac_f32_e32 v15, 0x32a5705f, v13
	v_sub_f32_e32 v14, v14, v16
	v_add_f32_e32 v14, v14, v15
	v_exp_f32_e32 v14, v14
	v_cvt_i32_f32_e32 v15, v16
	v_cmp_ngt_f32_e32 vcc, s60, v13
	v_add_f32_e32 v5, v24, v5
	v_sub_f32_e32 v3, v3, v20
	v_ldexp_f32 v14, v14, v15
	v_cndmask_b32_e32 v14, 0, v14, vcc
	v_cmp_nlt_f32_e32 vcc, s61, v13
	v_mul_f32_e32 v13, 0x3fb8aa3b, v12
	v_rndne_f32_e32 v15, v13
	v_cndmask_b32_e32 v25, v252, v14, vcc
	v_fma_f32 v14, v12, s39, -v13
	v_fmac_f32_e32 v14, 0x32a5705f, v12
	v_sub_f32_e32 v13, v13, v15
	v_add_f32_e32 v13, v13, v14
	v_exp_f32_e32 v13, v13
	v_cvt_i32_f32_e32 v14, v15
	v_cmp_ngt_f32_e32 vcc, s60, v12
	v_add_f32_e32 v5, v25, v5
	v_cvt_pk_f16_f32 v25, v24, v25
	v_ldexp_f32 v13, v13, v14
	v_cndmask_b32_e32 v13, 0, v13, vcc
	v_cmp_nlt_f32_e32 vcc, s61, v12
	v_mul_f32_e32 v12, 0x3fb8aa3b, v10
	v_rndne_f32_e32 v14, v12
	v_cndmask_b32_e32 v30, v252, v13, vcc
	v_fma_f32 v13, v10, s39, -v12
	v_fmac_f32_e32 v13, 0x32a5705f, v10
	v_sub_f32_e32 v12, v12, v14
	v_add_f32_e32 v12, v12, v13
	v_exp_f32_e32 v12, v12
	v_cvt_i32_f32_e32 v13, v14
	v_cmp_ngt_f32_e32 vcc, s60, v10
	v_add_f32_e32 v5, v30, v5
	v_cvt_pk_f16_f32 v24, v22, v23
	;; [unrolled: 15-line block ×3, first 2 shown]
	v_ldexp_f32 v10, v10, v12
	v_cndmask_b32_e32 v10, 0, v10, vcc
	v_cmp_nlt_f32_e32 vcc, s61, v9
	v_mul_f32_e32 v9, 0x3fb8aa3b, v8
	v_rndne_f32_e32 v12, v9
	v_cndmask_b32_e32 v32, v252, v10, vcc
	v_fma_f32 v10, v8, s39, -v9
	v_fmac_f32_e32 v10, 0x32a5705f, v8
	v_sub_f32_e32 v9, v9, v12
	v_add_f32_e32 v9, v9, v10
	v_exp_f32_e32 v9, v9
	v_cvt_i32_f32_e32 v10, v12
	v_cmp_ngt_f32_e32 vcc, s60, v8
	v_add_f32_e32 v5, v32, v5
	v_ldexp_f32 v9, v9, v10
	v_cndmask_b32_e32 v9, 0, v9, vcc
	v_cmp_nlt_f32_e32 vcc, s61, v8
	v_sub_f32_e32 v8, v11, v20
	s_nop 0
	v_cndmask_b32_e32 v156, v252, v9, vcc
	v_mul_f32_e32 v9, 0x3fb8aa3b, v8
	v_fma_f32 v10, v8, s39, -v9
	v_rndne_f32_e32 v11, v9
	v_fmac_f32_e32 v10, 0x32a5705f, v8
	v_sub_f32_e32 v9, v9, v11
	v_add_f32_e32 v9, v9, v10
	v_exp_f32_e32 v9, v9
	v_cvt_i32_f32_e32 v10, v11
	v_cmp_ngt_f32_e32 vcc, s60, v8
	v_add_f32_e32 v5, v156, v5
	v_cvt_pk_f16_f32 v23, v32, v156
	v_ldexp_f32 v9, v9, v10
	v_cndmask_b32_e32 v9, 0, v9, vcc
	v_cmp_nlt_f32_e32 vcc, s61, v8
	v_mul_f32_e32 v8, 0x3fb8aa3b, v2
	v_rndne_f32_e32 v10, v8
	v_cndmask_b32_e32 v33, v252, v9, vcc
	v_fma_f32 v9, v2, s39, -v8
	v_fmac_f32_e32 v9, 0x32a5705f, v2
	v_sub_f32_e32 v8, v8, v10
	v_add_f32_e32 v8, v8, v9
	v_exp_f32_e32 v8, v8
	v_cvt_i32_f32_e32 v9, v10
	v_cmp_ngt_f32_e32 vcc, s60, v2
	v_add_f32_e32 v5, v33, v5
	v_ldexp_f32 v8, v8, v9
	v_cndmask_b32_e32 v8, 0, v8, vcc
	v_cmp_nlt_f32_e32 vcc, s61, v2
	s_nop 1
	v_cndmask_b32_e32 v157, v252, v8, vcc
	v_add_f32_e32 v2, v157, v5
	v_mul_f32_e32 v5, 0x3fb8aa3b, v4
	v_fma_f32 v8, v4, s39, -v5
	v_rndne_f32_e32 v9, v5
	v_fmac_f32_e32 v8, 0x32a5705f, v4
	v_sub_f32_e32 v5, v5, v9
	v_add_f32_e32 v5, v5, v8
	v_exp_f32_e32 v5, v5
	v_cvt_i32_f32_e32 v8, v9
	v_cmp_ngt_f32_e32 vcc, s60, v4
	v_ldexp_f32 v5, v5, v8
	s_nop 0
	v_cndmask_b32_e32 v5, 0, v5, vcc
	v_cmp_nlt_f32_e32 vcc, s61, v4
	v_mul_f32_e32 v4, 0x3fb8aa3b, v3
	v_rndne_f32_e32 v8, v4
	v_cndmask_b32_e32 v158, v252, v5, vcc
	v_fma_f32 v5, v3, s39, -v4
	v_fmac_f32_e32 v5, 0x32a5705f, v3
	v_sub_f32_e32 v4, v4, v8
	v_add_f32_e32 v4, v4, v5
	v_exp_f32_e32 v4, v4
	v_cvt_i32_f32_e32 v5, v8
	v_cmp_ngt_f32_e32 vcc, s60, v3
	v_add_f32_e32 v2, v158, v2
	v_ldexp_f32 v4, v4, v5
	v_cndmask_b32_e32 v4, 0, v4, vcc
	v_cmp_nlt_f32_e32 vcc, s61, v3
	s_nop 1
	v_cndmask_b32_e32 v159, v252, v4, vcc
	v_add_f32_e32 v29, v159, v2
	v_sub_f32_e32 v2, v205, v20
	v_mul_f32_e32 v3, 0x3fb8aa3b, v2
	v_fma_f32 v4, v2, s39, -v3
	v_rndne_f32_e32 v5, v3
	v_fmac_f32_e32 v4, 0x32a5705f, v2
	v_sub_f32_e32 v3, v3, v5
	v_add_f32_e32 v3, v3, v4
	v_exp_f32_e32 v3, v3
	v_cvt_i32_f32_e32 v4, v5
	v_cmp_ngt_f32_e32 vcc, s60, v2
	v_ldexp_f32 v3, v3, v4
	s_nop 0
	v_cndmask_b32_e32 v3, 0, v3, vcc
	v_cmp_nlt_f32_e32 vcc, s61, v2
	s_nop 1
	v_cndmask_b32_e32 v3, v252, v3, vcc
	v_cmp_le_f32_e32 vcc, s30, v2
	s_nop 1
	v_cndmask_b32_e32 v2, 0, v3, vcc
	v_fmac_f32_e32 v29, v203, v2
	v_cvt_f16_f32_e32 v2, v2
	v_cmp_eq_u64_e32 vcc, 0, v[136:137]
	s_and_b64 vcc, exec, vcc
	v_mul_u32_u24_e32 v2, 0x10001, v2
	v_pk_mul_f16 v27, v49, v2
	v_pk_mul_f16 v26, v48, v2
	;; [unrolled: 1-line block ×16, first 2 shown]
	v_lshl_add_u64 v[2:3], v[138:139], 0, s[4:5]
	v_lshl_add_u64 v[4:5], v[68:69], 2, v[2:3]
	;; [unrolled: 1-line block ×7, first 2 shown]
	global_load_dwordx4 v[2:5], v[4:5], off
	v_lshl_add_u64 v[36:37], v[36:37], 0, v[56:57]
	v_lshl_add_u64 v[38:39], v[38:39], 0, v[56:57]
	s_waitcnt vmcnt(0)
	ds_write_b128 v171, v[2:5]
	global_load_dwordx4 v[2:5], v[36:37], off
	v_add_u32_e32 v37, v178, v180
	s_waitcnt vmcnt(0)
	ds_write_b128 v228, v[2:5]
	global_load_dwordx4 v[2:5], v[38:39], off
	s_waitcnt vmcnt(0)
	ds_write_b128 v229, v[2:5]
	global_load_dwordx4 v[2:5], v[40:41], off
	v_cvt_f32_f16_sdwa v41, v8 dst_sel:DWORD dst_unused:UNUSED_PAD src0_sel:WORD_1
	s_waitcnt vmcnt(0)
	ds_write_b128 v230, v[2:5]
	s_waitcnt lgkmcnt(0)
	s_barrier
	ds_read_u16 v36, v179 offset:272
	ds_read_u16 v39, v179 offset:544
	v_cvt_f32_f16_e32 v4, v26
	v_cvt_f32_f16_sdwa v5, v26 dst_sel:DWORD dst_unused:UNUSED_PAD src0_sel:WORD_1
	ds_read_u16 v26, v179
	ds_read_u16 v40, v179 offset:32
	v_cvt_f32_f16_e32 v2, v27
	v_cvt_f32_f16_sdwa v3, v27 dst_sel:DWORD dst_unused:UNUSED_PAD src0_sel:WORD_1
	v_cvt_pk_f16_f32 v27, v18, v19
	s_waitcnt lgkmcnt(1)
	v_perm_b32 v38, v36, v26, s47
	ds_read_u16 v26, v37
	ds_read_u16 v36, v37 offset:32
	s_waitcnt lgkmcnt(1)
	v_perm_b32 v39, v26, v39, s47
	v_cvt_pk_f16_f32 v26, v6, v7
	ds_read_u16 v6, v179 offset:4352
	ds_read_u16 v7, v179 offset:4624
	;; [unrolled: 1-line block ×4, first 2 shown]
	v_mfma_f32_16x16x16_f16 v[2:5], v[38:39], v[26:27], v[2:5]
	s_waitcnt lgkmcnt(2)
	v_perm_b32 v6, v7, v6, s47
	s_waitcnt lgkmcnt(0)
	v_perm_b32 v7, v19, v18, s47
	v_cvt_f32_f16_e32 v38, v9
	s_nop 2
	v_cvt_f16_f32_e32 v2, v2
	v_cvt_f16_f32_e32 v3, v3
	v_cvt_f16_f32_e32 v4, v4
	v_cvt_f16_f32_e32 v5, v5
	v_cvt_f32_f16_e32 v2, v2
	v_cvt_f32_f16_e32 v3, v3
	;; [unrolled: 1-line block ×4, first 2 shown]
	v_cvt_f32_f16_sdwa v39, v9 dst_sel:DWORD dst_unused:UNUSED_PAD src0_sel:WORD_1
	s_nop 0
	v_mfma_f32_16x16x16_f16 v[2:5], v[6:7], v[24:25], v[2:5]
	ds_read_u16 v6, v179 offset:8704
	ds_read_u16 v7, v179 offset:8976
	;; [unrolled: 1-line block ×4, first 2 shown]
	s_nop 3
	v_cvt_f16_f32_e32 v2, v2
	v_cvt_f16_f32_e32 v3, v3
	;; [unrolled: 1-line block ×4, first 2 shown]
	s_waitcnt lgkmcnt(2)
	v_perm_b32 v6, v7, v6, s47
	s_waitcnt lgkmcnt(0)
	v_perm_b32 v7, v19, v18, s47
	v_cvt_f32_f16_e32 v2, v2
	v_cvt_f32_f16_e32 v3, v3
	;; [unrolled: 1-line block ×4, first 2 shown]
	s_nop 1
	v_mfma_f32_16x16x16_f16 v[2:5], v[6:7], v[22:23], v[2:5]
	ds_read_u16 v6, v179 offset:13056
	ds_read_u16 v7, v179 offset:13328
	;; [unrolled: 1-line block ×4, first 2 shown]
	s_nop 3
	v_cvt_f16_f32_e32 v2, v2
	v_cvt_f16_f32_e32 v3, v3
	;; [unrolled: 1-line block ×4, first 2 shown]
	s_waitcnt lgkmcnt(2)
	v_perm_b32 v6, v7, v6, s47
	s_waitcnt lgkmcnt(0)
	v_perm_b32 v7, v19, v18, s47
	v_cvt_f32_f16_e32 v2, v2
	v_cvt_f32_f16_e32 v3, v3
	;; [unrolled: 1-line block ×4, first 2 shown]
	v_cvt_pk_f16_f32 v19, v158, v159
	v_cvt_pk_f16_f32 v18, v33, v157
	ds_read_u16 v31, v179 offset:304
	ds_read_u16 v33, v179 offset:576
	v_mfma_f32_16x16x16_f16 v[2:5], v[6:7], v[18:19], v[2:5]
	v_cvt_f32_f16_e32 v6, v44
	v_cvt_f32_f16_sdwa v7, v44 dst_sel:DWORD dst_unused:UNUSED_PAD src0_sel:WORD_1
	s_waitcnt lgkmcnt(1)
	v_perm_b32 v32, v31, v40, s47
	s_waitcnt lgkmcnt(0)
	v_perm_b32 v33, v36, v33, s47
	v_cvt_f32_f16_e32 v40, v8
	s_nop 0
	v_cvt_f16_f32_e32 v4, v4
	v_cvt_f16_f32_e32 v5, v5
	v_perm_b32 v30, v5, v4, s47
	v_cvt_f32_f16_e32 v4, v45
	v_cvt_f32_f16_sdwa v5, v45 dst_sel:DWORD dst_unused:UNUSED_PAD src0_sel:WORD_1
	s_nop 1
	v_mfma_f32_16x16x16_f16 v[4:7], v[32:33], v[26:27], v[4:7]
	ds_read_u16 v31, v179 offset:4384
	ds_read_u16 v32, v179 offset:4656
	ds_read_u16 v33, v179 offset:4928
	ds_read_u16 v36, v37 offset:4384
	s_nop 3
	v_cvt_f16_f32_e32 v4, v4
	v_cvt_f16_f32_e32 v5, v5
	v_cvt_f16_f32_e32 v6, v6
	v_cvt_f16_f32_e32 v7, v7
	s_waitcnt lgkmcnt(2)
	v_perm_b32 v32, v32, v31, s47
	s_waitcnt lgkmcnt(0)
	v_perm_b32 v33, v36, v33, s47
	v_cvt_f32_f16_e32 v4, v4
	v_cvt_f32_f16_e32 v5, v5
	v_cvt_f32_f16_e32 v6, v6
	v_cvt_f32_f16_e32 v7, v7
	s_nop 1
	v_mfma_f32_16x16x16_f16 v[4:7], v[32:33], v[24:25], v[4:7]
	ds_read_u16 v31, v179 offset:8736
	ds_read_u16 v32, v179 offset:9008
	ds_read_u16 v33, v179 offset:9280
	ds_read_u16 v36, v37 offset:8736
	s_nop 3
	v_cvt_f16_f32_e32 v4, v4
	v_cvt_f16_f32_e32 v5, v5
	v_cvt_f16_f32_e32 v6, v6
	v_cvt_f16_f32_e32 v7, v7
	s_waitcnt lgkmcnt(2)
	v_perm_b32 v32, v32, v31, s47
	s_waitcnt lgkmcnt(0)
	v_perm_b32 v33, v36, v33, s47
	v_cvt_f32_f16_e32 v4, v4
	v_cvt_f32_f16_e32 v5, v5
	v_cvt_f32_f16_e32 v6, v6
	v_cvt_f32_f16_e32 v7, v7
	;; [unrolled: 19-line block ×3, first 2 shown]
	s_nop 1
	v_mfma_f32_16x16x16_f16 v[4:7], v[32:33], v[18:19], v[4:7]
	s_nop 7
	v_cvt_f16_f32_e32 v6, v6
	v_cvt_f16_f32_e32 v7, v7
	v_perm_b32 v31, v7, v6, s47
	ds_read_u16 v6, v179 offset:64
	ds_read_u16 v7, v179 offset:336
	;; [unrolled: 1-line block ×4, first 2 shown]
	s_waitcnt lgkmcnt(2)
	v_perm_b32 v6, v7, v6, s47
	s_waitcnt lgkmcnt(0)
	v_perm_b32 v7, v33, v32, s47
	s_nop 1
	v_mfma_f32_16x16x16_f16 v[6:9], v[6:7], v[26:27], v[38:41]
	ds_read_u16 v32, v179 offset:4416
	ds_read_u16 v33, v179 offset:4688
	;; [unrolled: 1-line block ×4, first 2 shown]
	v_cvt_f32_f16_sdwa v39, v11 dst_sel:DWORD dst_unused:UNUSED_PAD src0_sel:WORD_1
	v_cvt_f32_f16_e32 v40, v10
	s_nop 1
	v_cvt_f16_f32_e32 v6, v6
	v_cvt_f16_f32_e32 v7, v7
	;; [unrolled: 1-line block ×4, first 2 shown]
	s_waitcnt lgkmcnt(2)
	v_perm_b32 v32, v33, v32, s47
	s_waitcnt lgkmcnt(0)
	v_perm_b32 v33, v38, v36, s47
	v_cvt_f32_f16_e32 v6, v6
	v_cvt_f32_f16_e32 v7, v7
	v_cvt_f32_f16_e32 v8, v8
	v_cvt_f32_f16_e32 v9, v9
	v_cvt_f32_f16_sdwa v41, v10 dst_sel:DWORD dst_unused:UNUSED_PAD src0_sel:WORD_1
	s_nop 0
	v_mfma_f32_16x16x16_f16 v[6:9], v[32:33], v[24:25], v[6:9]
	ds_read_u16 v32, v179 offset:8768
	ds_read_u16 v33, v179 offset:9040
	;; [unrolled: 1-line block ×4, first 2 shown]
	s_nop 3
	v_cvt_f16_f32_e32 v6, v6
	v_cvt_f16_f32_e32 v7, v7
	;; [unrolled: 1-line block ×4, first 2 shown]
	s_waitcnt lgkmcnt(2)
	v_perm_b32 v32, v33, v32, s47
	s_waitcnt lgkmcnt(0)
	v_perm_b32 v33, v38, v36, s47
	v_cvt_f32_f16_e32 v6, v6
	v_cvt_f32_f16_e32 v7, v7
	;; [unrolled: 1-line block ×4, first 2 shown]
	s_nop 1
	v_mfma_f32_16x16x16_f16 v[6:9], v[32:33], v[22:23], v[6:9]
	ds_read_u16 v32, v179 offset:13120
	ds_read_u16 v33, v179 offset:13392
	;; [unrolled: 1-line block ×4, first 2 shown]
	s_nop 3
	v_cvt_f16_f32_e32 v6, v6
	v_cvt_f16_f32_e32 v7, v7
	;; [unrolled: 1-line block ×4, first 2 shown]
	s_waitcnt lgkmcnt(2)
	v_perm_b32 v32, v33, v32, s47
	s_waitcnt lgkmcnt(0)
	v_perm_b32 v33, v38, v36, s47
	v_cvt_f32_f16_e32 v6, v6
	v_cvt_f32_f16_e32 v7, v7
	;; [unrolled: 1-line block ×5, first 2 shown]
	s_nop 0
	v_mfma_f32_16x16x16_f16 v[6:9], v[32:33], v[18:19], v[6:9]
	s_nop 7
	v_cvt_f16_f32_e32 v8, v8
	v_cvt_f16_f32_e32 v9, v9
	v_perm_b32 v32, v9, v8, s47
	ds_read_u16 v8, v179 offset:96
	ds_read_u16 v9, v179 offset:368
	;; [unrolled: 1-line block ×4, first 2 shown]
	s_waitcnt lgkmcnt(2)
	v_perm_b32 v8, v9, v8, s47
	s_waitcnt lgkmcnt(0)
	v_perm_b32 v9, v36, v33, s47
	s_nop 1
	v_mfma_f32_16x16x16_f16 v[8:11], v[8:9], v[26:27], v[38:41]
	ds_read_u16 v33, v179 offset:4448
	ds_read_u16 v36, v179 offset:4720
	s_nop 0
	ds_read_u16 v39, v179 offset:4992
	ds_read_u16 v40, v37 offset:4448
	v_cvt_f32_f16_sdwa v41, v12 dst_sel:DWORD dst_unused:UNUSED_PAD src0_sel:WORD_1
	s_nop 1
	v_cvt_f16_f32_e32 v8, v8
	v_cvt_f16_f32_e32 v9, v9
	;; [unrolled: 1-line block ×4, first 2 shown]
	s_waitcnt lgkmcnt(2)
	v_perm_b32 v38, v36, v33, s47
	s_waitcnt lgkmcnt(0)
	v_perm_b32 v39, v40, v39, s47
	v_cvt_f32_f16_e32 v8, v8
	v_cvt_f32_f16_e32 v9, v9
	;; [unrolled: 1-line block ×4, first 2 shown]
	s_nop 1
	v_mfma_f32_16x16x16_f16 v[8:11], v[38:39], v[24:25], v[8:11]
	ds_read_u16 v33, v179 offset:8800
	ds_read_u16 v36, v179 offset:9072
	;; [unrolled: 1-line block ×4, first 2 shown]
	s_nop 3
	v_cvt_f16_f32_e32 v8, v8
	v_cvt_f16_f32_e32 v9, v9
	;; [unrolled: 1-line block ×4, first 2 shown]
	s_waitcnt lgkmcnt(2)
	v_perm_b32 v38, v36, v33, s47
	s_waitcnt lgkmcnt(0)
	v_perm_b32 v39, v40, v39, s47
	v_cvt_f32_f16_e32 v8, v8
	v_cvt_f32_f16_e32 v9, v9
	;; [unrolled: 1-line block ×4, first 2 shown]
	s_nop 1
	v_mfma_f32_16x16x16_f16 v[8:11], v[38:39], v[22:23], v[8:11]
	ds_read_u16 v33, v179 offset:13152
	ds_read_u16 v36, v179 offset:13424
	;; [unrolled: 1-line block ×4, first 2 shown]
	s_nop 3
	v_cvt_f16_f32_e32 v8, v8
	v_cvt_f16_f32_e32 v9, v9
	;; [unrolled: 1-line block ×4, first 2 shown]
	s_waitcnt lgkmcnt(2)
	v_perm_b32 v38, v36, v33, s47
	s_waitcnt lgkmcnt(0)
	v_perm_b32 v39, v40, v39, s47
	v_cvt_f32_f16_e32 v8, v8
	v_cvt_f32_f16_e32 v9, v9
	v_cvt_f32_f16_e32 v10, v10
	v_cvt_f32_f16_e32 v11, v11
	v_cvt_f32_f16_e32 v40, v12
	s_nop 0
	v_mfma_f32_16x16x16_f16 v[8:11], v[38:39], v[18:19], v[8:11]
	v_cvt_f32_f16_e32 v38, v13
	v_cvt_f32_f16_sdwa v39, v13 dst_sel:DWORD dst_unused:UNUSED_PAD src0_sel:WORD_1
	s_nop 5
	v_cvt_f16_f32_e32 v10, v10
	v_cvt_f16_f32_e32 v11, v11
	v_perm_b32 v33, v11, v10, s47
	ds_read_u16 v10, v179 offset:128
	ds_read_u16 v11, v179 offset:400
	;; [unrolled: 1-line block ×4, first 2 shown]
	s_waitcnt lgkmcnt(2)
	v_perm_b32 v10, v11, v10, s47
	s_waitcnt lgkmcnt(0)
	v_perm_b32 v11, v42, v36, s47
	s_nop 1
	v_mfma_f32_16x16x16_f16 v[10:13], v[10:11], v[26:27], v[38:41]
	ds_read_u16 v36, v179 offset:4480
	s_nop 1
	ds_read_u16 v38, v179 offset:4752
	ds_read_u16 v39, v179 offset:5024
	;; [unrolled: 1-line block ×3, first 2 shown]
	v_cvt_f32_f16_sdwa v41, v14 dst_sel:DWORD dst_unused:UNUSED_PAD src0_sel:WORD_1
	s_nop 0
	v_cvt_f16_f32_e32 v10, v10
	v_cvt_f16_f32_e32 v11, v11
	;; [unrolled: 1-line block ×4, first 2 shown]
	s_waitcnt lgkmcnt(2)
	v_perm_b32 v38, v38, v36, s47
	s_waitcnt lgkmcnt(0)
	v_perm_b32 v39, v40, v39, s47
	v_cvt_f32_f16_e32 v10, v10
	v_cvt_f32_f16_e32 v11, v11
	v_cvt_f32_f16_e32 v12, v12
	v_cvt_f32_f16_e32 v13, v13
	s_nop 1
	v_mfma_f32_16x16x16_f16 v[10:13], v[38:39], v[24:25], v[10:13]
	ds_read_u16 v36, v179 offset:8832
	ds_read_u16 v38, v179 offset:9104
	;; [unrolled: 1-line block ×4, first 2 shown]
	s_nop 3
	v_cvt_f16_f32_e32 v10, v10
	v_cvt_f16_f32_e32 v11, v11
	;; [unrolled: 1-line block ×4, first 2 shown]
	s_waitcnt lgkmcnt(2)
	v_perm_b32 v38, v38, v36, s47
	s_waitcnt lgkmcnt(0)
	v_perm_b32 v39, v40, v39, s47
	v_cvt_f32_f16_e32 v10, v10
	v_cvt_f32_f16_e32 v11, v11
	;; [unrolled: 1-line block ×4, first 2 shown]
	s_nop 1
	v_mfma_f32_16x16x16_f16 v[10:13], v[38:39], v[22:23], v[10:13]
	ds_read_u16 v36, v179 offset:13184
	ds_read_u16 v38, v179 offset:13456
	;; [unrolled: 1-line block ×4, first 2 shown]
	s_nop 3
	v_cvt_f16_f32_e32 v10, v10
	v_cvt_f16_f32_e32 v11, v11
	;; [unrolled: 1-line block ×4, first 2 shown]
	s_waitcnt lgkmcnt(2)
	v_perm_b32 v38, v38, v36, s47
	s_waitcnt lgkmcnt(0)
	v_perm_b32 v39, v40, v39, s47
	v_cvt_f32_f16_e32 v10, v10
	v_cvt_f32_f16_e32 v11, v11
	;; [unrolled: 1-line block ×5, first 2 shown]
	s_nop 0
	v_mfma_f32_16x16x16_f16 v[10:13], v[38:39], v[18:19], v[10:13]
	v_cvt_f32_f16_e32 v38, v15
	v_cvt_f32_f16_sdwa v39, v15 dst_sel:DWORD dst_unused:UNUSED_PAD src0_sel:WORD_1
	s_nop 5
	v_cvt_f16_f32_e32 v12, v12
	v_cvt_f16_f32_e32 v13, v13
	v_perm_b32 v36, v13, v12, s47
	ds_read_u16 v12, v179 offset:160
	ds_read_u16 v13, v179 offset:432
	;; [unrolled: 1-line block ×4, first 2 shown]
	s_waitcnt lgkmcnt(2)
	v_perm_b32 v12, v13, v12, s47
	s_waitcnt lgkmcnt(0)
	v_perm_b32 v13, v43, v42, s47
	v_cvt_f32_f16_e32 v42, v16
	s_nop 0
	v_mfma_f32_16x16x16_f16 v[12:15], v[12:13], v[26:27], v[38:41]
	s_nop 2
	ds_read_u16 v38, v179 offset:4512
	ds_read_u16 v39, v179 offset:4784
	;; [unrolled: 1-line block ×4, first 2 shown]
	v_cvt_f32_f16_sdwa v43, v16 dst_sel:DWORD dst_unused:UNUSED_PAD src0_sel:WORD_1
	v_cvt_f16_f32_e32 v12, v12
	v_cvt_f16_f32_e32 v13, v13
	;; [unrolled: 1-line block ×4, first 2 shown]
	s_waitcnt lgkmcnt(2)
	v_perm_b32 v38, v39, v38, s47
	s_waitcnt lgkmcnt(0)
	v_perm_b32 v39, v41, v40, s47
	v_cvt_f32_f16_e32 v12, v12
	v_cvt_f32_f16_e32 v13, v13
	;; [unrolled: 1-line block ×4, first 2 shown]
	s_nop 1
	v_mfma_f32_16x16x16_f16 v[12:15], v[38:39], v[24:25], v[12:15]
	ds_read_u16 v38, v179 offset:8864
	ds_read_u16 v39, v179 offset:9136
	;; [unrolled: 1-line block ×4, first 2 shown]
	s_nop 3
	v_cvt_f16_f32_e32 v12, v12
	v_cvt_f16_f32_e32 v13, v13
	;; [unrolled: 1-line block ×4, first 2 shown]
	s_waitcnt lgkmcnt(2)
	v_perm_b32 v38, v39, v38, s47
	s_waitcnt lgkmcnt(0)
	v_perm_b32 v39, v41, v40, s47
	v_cvt_f32_f16_e32 v12, v12
	v_cvt_f32_f16_e32 v13, v13
	;; [unrolled: 1-line block ×4, first 2 shown]
	s_nop 1
	v_mfma_f32_16x16x16_f16 v[12:15], v[38:39], v[22:23], v[12:15]
	ds_read_u16 v38, v179 offset:13216
	ds_read_u16 v39, v179 offset:13488
	;; [unrolled: 1-line block ×4, first 2 shown]
	s_nop 3
	v_cvt_f16_f32_e32 v12, v12
	v_cvt_f16_f32_e32 v13, v13
	;; [unrolled: 1-line block ×4, first 2 shown]
	s_waitcnt lgkmcnt(2)
	v_perm_b32 v38, v39, v38, s47
	s_waitcnt lgkmcnt(0)
	v_perm_b32 v39, v41, v40, s47
	v_cvt_f32_f16_e32 v12, v12
	v_cvt_f32_f16_e32 v13, v13
	;; [unrolled: 1-line block ×5, first 2 shown]
	v_cvt_f32_f16_sdwa v41, v17 dst_sel:DWORD dst_unused:UNUSED_PAD src0_sel:WORD_1
	v_mfma_f32_16x16x16_f16 v[12:15], v[38:39], v[18:19], v[12:15]
	s_nop 7
	v_cvt_f16_f32_e32 v14, v14
	v_cvt_f16_f32_e32 v15, v15
	v_perm_b32 v38, v15, v14, s47
	ds_read_u16 v14, v179 offset:192
	ds_read_u16 v15, v179 offset:464
	;; [unrolled: 1-line block ×4, first 2 shown]
	s_waitcnt lgkmcnt(2)
	v_perm_b32 v14, v15, v14, s47
	s_waitcnt lgkmcnt(0)
	v_perm_b32 v15, v44, v39, s47
	s_nop 1
	v_mfma_f32_16x16x16_f16 v[14:17], v[14:15], v[26:27], v[40:43]
	ds_read_u16 v39, v179 offset:4544
	s_nop 1
	ds_read_u16 v40, v179 offset:4816
	ds_read_u16 v41, v179 offset:5088
	ds_read_u16 v42, v37 offset:4544
	v_cvt_f32_f16_sdwa v43, v34 dst_sel:DWORD dst_unused:UNUSED_PAD src0_sel:WORD_1
	s_nop 0
	v_cvt_f16_f32_e32 v14, v14
	v_cvt_f16_f32_e32 v15, v15
	;; [unrolled: 1-line block ×4, first 2 shown]
	s_waitcnt lgkmcnt(2)
	v_perm_b32 v40, v40, v39, s47
	s_waitcnt lgkmcnt(0)
	v_perm_b32 v41, v42, v41, s47
	v_cvt_f32_f16_e32 v14, v14
	v_cvt_f32_f16_e32 v15, v15
	;; [unrolled: 1-line block ×4, first 2 shown]
	s_nop 1
	v_mfma_f32_16x16x16_f16 v[14:17], v[40:41], v[24:25], v[14:17]
	ds_read_u16 v39, v179 offset:8896
	ds_read_u16 v40, v179 offset:9168
	;; [unrolled: 1-line block ×4, first 2 shown]
	s_nop 3
	v_cvt_f16_f32_e32 v14, v14
	v_cvt_f16_f32_e32 v15, v15
	;; [unrolled: 1-line block ×4, first 2 shown]
	s_waitcnt lgkmcnt(2)
	v_perm_b32 v40, v40, v39, s47
	s_waitcnt lgkmcnt(0)
	v_perm_b32 v41, v42, v41, s47
	v_cvt_f32_f16_e32 v14, v14
	v_cvt_f32_f16_e32 v15, v15
	;; [unrolled: 1-line block ×4, first 2 shown]
	s_nop 1
	v_mfma_f32_16x16x16_f16 v[14:17], v[40:41], v[22:23], v[14:17]
	ds_read_u16 v39, v179 offset:13248
	ds_read_u16 v40, v179 offset:13520
	;; [unrolled: 1-line block ×4, first 2 shown]
	s_nop 3
	v_cvt_f16_f32_e32 v14, v14
	v_cvt_f16_f32_e32 v15, v15
	;; [unrolled: 1-line block ×4, first 2 shown]
	s_waitcnt lgkmcnt(2)
	v_perm_b32 v40, v40, v39, s47
	s_waitcnt lgkmcnt(0)
	v_perm_b32 v41, v42, v41, s47
	v_cvt_f32_f16_e32 v14, v14
	v_cvt_f32_f16_e32 v15, v15
	;; [unrolled: 1-line block ×5, first 2 shown]
	s_nop 0
	v_mfma_f32_16x16x16_f16 v[14:17], v[40:41], v[18:19], v[14:17]
	v_cvt_f32_f16_e32 v40, v35
	v_cvt_f32_f16_sdwa v41, v35 dst_sel:DWORD dst_unused:UNUSED_PAD src0_sel:WORD_1
	s_nop 5
	v_cvt_f16_f32_e32 v16, v16
	v_cvt_f16_f32_e32 v17, v17
	v_perm_b32 v39, v17, v16, s47
	ds_read_u16 v16, v179 offset:224
	ds_read_u16 v17, v179 offset:496
	;; [unrolled: 1-line block ×4, first 2 shown]
	s_waitcnt lgkmcnt(2)
	v_perm_b32 v16, v17, v16, s47
	s_waitcnt lgkmcnt(0)
	v_perm_b32 v17, v45, v44, s47
	ds_read_u16 v34, v179 offset:4576
	ds_read_u16 v35, v179 offset:4848
	;; [unrolled: 1-line block ×4, first 2 shown]
	v_mfma_f32_16x16x16_f16 v[40:43], v[16:17], v[26:27], v[40:43]
	s_nop 7
	v_cvt_f16_f32_e32 v16, v40
	v_cvt_f16_f32_e32 v17, v41
	v_cvt_f16_f32_e32 v26, v42
	v_cvt_f16_f32_e32 v27, v43
	v_cvt_f32_f16_e32 v40, v16
	v_cvt_f32_f16_e32 v41, v17
	s_waitcnt lgkmcnt(2)
	v_perm_b32 v16, v35, v34, s47
	s_waitcnt lgkmcnt(0)
	v_perm_b32 v17, v45, v44, s47
	v_cvt_f32_f16_e32 v42, v26
	v_cvt_f32_f16_e32 v43, v27
	s_nop 1
	v_mfma_f32_16x16x16_f16 v[24:27], v[16:17], v[24:25], v[40:43]
	ds_read_u16 v34, v179 offset:8928
	ds_read_u16 v35, v179 offset:9200
	s_nop 0
	ds_read_u16 v40, v179 offset:9472
	ds_read_u16 v41, v37 offset:8928
	s_nop 2
	v_cvt_f16_f32_e32 v16, v24
	v_cvt_f16_f32_e32 v17, v25
	;; [unrolled: 1-line block ×4, first 2 shown]
	v_cvt_f32_f16_e32 v24, v16
	v_cvt_f32_f16_e32 v25, v17
	s_waitcnt lgkmcnt(2)
	v_perm_b32 v16, v35, v34, s47
	s_waitcnt lgkmcnt(0)
	v_perm_b32 v17, v41, v40, s47
	v_cvt_f32_f16_e32 v26, v26
	v_cvt_f32_f16_e32 v27, v27
	s_nop 1
	v_mfma_f32_16x16x16_f16 v[22:25], v[16:17], v[22:23], v[24:27]
	s_nop 7
	v_cvt_f16_f32_e32 v16, v22
	v_cvt_f16_f32_e32 v17, v23
	;; [unrolled: 1-line block ×4, first 2 shown]
	ds_read_u16 v24, v179 offset:13280
	ds_read_u16 v25, v179 offset:13552
	;; [unrolled: 1-line block ×4, first 2 shown]
	v_cvt_f32_f16_e32 v40, v16
	v_cvt_f32_f16_e32 v41, v17
	s_waitcnt lgkmcnt(2)
	v_perm_b32 v16, v25, v24, s47
	v_cvt_f32_f16_e32 v42, v22
	s_waitcnt lgkmcnt(0)
	v_perm_b32 v17, v27, v26, s47
	v_cvt_f32_f16_e32 v43, v23
	s_barrier
	s_nop 0
	v_mfma_f32_16x16x16_f16 v[16:19], v[16:17], v[18:19], v[40:43]
	s_nop 7
	v_cvt_f16_f32_e32 v18, v18
	v_cvt_f16_f32_e32 v19, v19
	v_perm_b32 v18, v19, v18, s47
	ds_bpermute_b32 v19, v28, v29
	s_waitcnt lgkmcnt(0)
	v_add_f32_e32 v19, v29, v19
	ds_bpermute_b32 v21, v21, v19
	s_waitcnt lgkmcnt(0)
	v_add_f32_e32 v21, v19, v21
	s_cbranch_vccnz .LBB24_88
; %bb.87:                               ;   in Loop: Header=BB24_12 Depth=1
	v_lshlrev_b32_e32 v19, 2, v80
	v_readfirstlane_b32 s4, v136
	v_readfirstlane_b32 s5, v137
	v_cvt_pk_f16_f32 v2, v2, v3
	v_cvt_pk_f16_f32 v3, v4, v5
	;; [unrolled: 1-line block ×3, first 2 shown]
	v_max_f32_e32 v6, v20, v20
	v_cvt_pk_f16_f32 v22, v10, v11
	global_load_dword v19, v19, s[4:5]
	v_cvt_pk_f16_f32 v5, v8, v9
	v_cvt_pk_f16_f32 v12, v12, v13
	;; [unrolled: 1-line block ×4, first 2 shown]
	s_waitcnt vmcnt(0)
	v_max_f32_e32 v7, v19, v19
	v_max_f32_e32 v10, v6, v7
	v_sub_f32_e32 v6, v20, v10
	v_sub_f32_e32 v7, v19, v10
	v_mul_f32_e32 v8, 0x3fb8aa3b, v6
	v_mul_f32_e32 v9, 0x3fb8aa3b, v7
	v_fma_f32 v11, v6, s39, -v8
	v_rndne_f32_e32 v13, v8
	v_fma_f32 v19, v7, s39, -v9
	v_rndne_f32_e32 v20, v9
	v_fmac_f32_e32 v11, 0x32a5705f, v6
	v_sub_f32_e32 v8, v8, v13
	v_fmac_f32_e32 v19, 0x32a5705f, v7
	v_sub_f32_e32 v9, v9, v20
	v_add_f32_e32 v8, v8, v11
	v_cvt_i32_f32_e32 v13, v13
	v_add_f32_e32 v9, v9, v19
	v_exp_f32_e32 v8, v8
	v_cvt_i32_f32_e32 v20, v20
	v_exp_f32_e32 v9, v9
	v_cmp_ngt_f32_e32 vcc, s60, v6
	v_ldexp_f32 v8, v8, v13
	v_ldexp_f32 v9, v9, v20
	v_cndmask_b32_e32 v8, 0, v8, vcc
	v_cmp_ngt_f32_e32 vcc, s60, v7
	s_nop 1
	v_cndmask_b32_e32 v9, 0, v9, vcc
	v_cmp_nlt_f32_e32 vcc, s61, v6
	s_nop 1
	v_cndmask_b32_e32 v8, v252, v8, vcc
	v_cmp_le_f32_e32 vcc, s30, v6
	s_nop 1
	v_cndmask_b32_e32 v6, 0, v8, vcc
	v_cvt_f16_f32_e32 v8, v6
	v_cmp_nlt_f32_e32 vcc, s61, v7
	v_mul_u32_u24_e32 v13, 0x10001, v8
	s_nop 0
	v_cndmask_b32_e32 v11, v252, v9, vcc
	v_fmac_f32_e32 v11, v21, v6
	v_pk_mul_f16 v9, v2, v13
	v_pk_mul_f16 v30, v30, v13
	;; [unrolled: 1-line block ×16, first 2 shown]
	v_mov_b64_e32 v[20:21], v[10:11]
	s_branch .LBB24_89
.LBB24_88:                              ;   in Loop: Header=BB24_12 Depth=1
	v_cvt_f16_f32_e32 v19, v2
	v_cvt_f16_f32_e32 v22, v3
	v_cvt_f16_f32_e32 v23, v4
	v_cvt_f16_f32_e32 v24, v5
	v_cvt_f16_f32_e32 v25, v6
	v_cvt_f16_f32_e32 v7, v7
	v_cvt_f16_f32_e32 v6, v8
	v_cvt_f16_f32_e32 v8, v9
	v_cvt_f16_f32_e32 v5, v10
	v_cvt_f16_f32_e32 v4, v12
	v_cvt_f16_f32_e32 v3, v14
	v_cvt_f16_f32_e32 v2, v16
	v_cvt_f16_f32_e32 v9, v17
	v_cvt_f16_f32_e32 v10, v15
	v_cvt_f16_f32_e32 v12, v13
	v_cvt_f16_f32_e32 v11, v11
	v_perm_b32 v2, v9, v2, s47
	v_perm_b32 v3, v10, v3, s47
	;; [unrolled: 1-line block ×8, first 2 shown]
.LBB24_89:                              ;   in Loop: Header=BB24_12 Depth=1
	s_barrier
	s_mov_b64 s[4:5], exec
	v_readlane_b32 s6, v255, 13
	v_readlane_b32 s7, v255, 14
	s_and_b64 s[6:7], s[4:5], s[6:7]
	s_mov_b64 exec, s[6:7]
	s_cbranch_execz .LBB24_91
; %bb.90:                               ;   in Loop: Header=BB24_12 Depth=1
	global_store_dwordx2 v[74:75], v[20:21], off
.LBB24_91:                              ;   in Loop: Header=BB24_12 Depth=1
	s_or_b64 exec, exec, s[4:5]
	v_add_u32_e32 v10, v175, v188
	v_cmp_gt_i32_e64 s[4:5], s24, v83
	v_cmp_gt_i32_e64 s[6:7], s33, v87
	ds_write2_b32 v10, v9, v30 offset1:1
	ds_write2_b32 v10, v8, v31 offset0:8 offset1:9
	ds_write2_b32 v10, v7, v32 offset0:16 offset1:17
	;; [unrolled: 1-line block ×7, first 2 shown]
	v_cmp_le_i32_e32 vcc, s33, v87
	s_and_b64 s[6:7], s[4:5], s[6:7]
	v_mov_b32_e32 v2, 50
	s_waitcnt lgkmcnt(0)
	s_barrier
	s_and_saveexec_b64 s[4:5], s[6:7]
	s_cbranch_execz .LBB24_93
; %bb.92:                               ;   in Loop: Header=BB24_12 Depth=1
	v_add_u32_e32 v2, v192, v234
	ds_read_b32 v5, v2
	v_mad_u64_u32 v[2:3], s[6:7], v83, s25, v[50:51]
	v_lshl_add_u32 v2, v2, 6, v52
	v_ashrrev_i32_e32 v3, 31, v2
	s_waitcnt lgkmcnt(0)
	v_cvt_f32_f16_e32 v4, v5
	v_cvt_f32_f16_sdwa v5, v5 dst_sel:DWORD dst_unused:UNUSED_PAD src0_sel:WORD_1
	v_lshl_add_u64 v[2:3], v[2:3], 3, v[134:135]
	v_pk_add_f32 v[4:5], v[4:5], 0 op_sel_hi:[1,0]
	global_store_dwordx2 v[2:3], v[4:5], off
	v_mov_b32_e32 v2, 0
.LBB24_93:                              ;   in Loop: Header=BB24_12 Depth=1
	s_or_b64 exec, exec, s[4:5]
	v_cmp_gt_i32_e64 s[4:5], 50, v2
	s_mov_b64 s[6:7], -1
	s_and_saveexec_b64 s[52:53], s[4:5]
; %bb.94:                               ;   in Loop: Header=BB24_12 Depth=1
	v_cmp_eq_u32_e64 s[4:5], 0, v2
	s_orn2_b64 s[6:7], s[4:5], exec
; %bb.95:                               ;   in Loop: Header=BB24_12 Depth=1
	s_or_b64 exec, exec, s[52:53]
	s_mov_b64 s[70:71], 0
	s_mov_b64 s[68:69], 0
                                        ; implicit-def: $vgpr4_vgpr5
                                        ; implicit-def: $vgpr2
	s_and_saveexec_b64 s[72:73], s[6:7]
	s_cbranch_execz .LBB24_183
; %bb.96:                               ;   in Loop: Header=BB24_12 Depth=1
	v_cmp_gt_i32_e64 s[4:5], s24, v206
	v_cmp_gt_i32_e64 s[6:7], s33, v208
	s_and_b64 s[6:7], s[4:5], s[6:7]
	v_mov_b32_e32 v2, 50
	s_and_saveexec_b64 s[4:5], s[6:7]
	s_cbranch_execz .LBB24_98
; %bb.97:                               ;   in Loop: Header=BB24_12 Depth=1
	v_add_u32_e32 v2, v192, v182
	ds_read_b32 v5, v2
	v_mad_u64_u32 v[2:3], s[6:7], v206, s25, v[84:85]
	v_lshl_add_u32 v2, v2, 6, v52
	v_ashrrev_i32_e32 v3, 31, v2
	s_waitcnt lgkmcnt(0)
	v_cvt_f32_f16_e32 v4, v5
	v_cvt_f32_f16_sdwa v5, v5 dst_sel:DWORD dst_unused:UNUSED_PAD src0_sel:WORD_1
	v_lshl_add_u64 v[2:3], v[2:3], 3, v[134:135]
	v_pk_add_f32 v[4:5], v[4:5], 0 op_sel_hi:[1,0]
	global_store_dwordx2 v[2:3], v[4:5], off
	v_mov_b32_e32 v2, 0
.LBB24_98:                              ;   in Loop: Header=BB24_12 Depth=1
	s_or_b64 exec, exec, s[4:5]
	v_cmp_gt_i32_e64 s[4:5], 50, v2
	s_mov_b64 s[68:69], -1
	s_and_saveexec_b64 s[6:7], s[4:5]
; %bb.99:                               ;   in Loop: Header=BB24_12 Depth=1
	v_cmp_eq_u32_e64 s[4:5], 0, v2
	s_orn2_b64 s[68:69], s[4:5], exec
; %bb.100:                              ;   in Loop: Header=BB24_12 Depth=1
	s_or_b64 exec, exec, s[6:7]
	s_mov_b64 s[4:5], 0
                                        ; implicit-def: $vgpr4_vgpr5
                                        ; implicit-def: $vgpr2
	s_and_saveexec_b64 s[6:7], s[68:69]
	s_cbranch_execz .LBB24_182
; %bb.101:                              ;   in Loop: Header=BB24_12 Depth=1
	v_cmp_gt_i32_e64 s[4:5], s24, v210
	s_xor_b64 s[78:79], vcc, -1
	s_and_b64 s[52:53], s[4:5], s[78:79]
	v_mov_b32_e32 v2, 50
	s_and_saveexec_b64 s[4:5], s[52:53]
	s_cbranch_execz .LBB24_103
; %bb.102:                              ;   in Loop: Header=BB24_12 Depth=1
	v_add_u32_e32 v2, v192, v183
	ds_read_b32 v5, v2
	v_mad_u64_u32 v[2:3], s[52:53], v210, s25, v[50:51]
	v_lshl_add_u32 v2, v2, 6, v52
	v_ashrrev_i32_e32 v3, 31, v2
	s_waitcnt lgkmcnt(0)
	v_cvt_f32_f16_e32 v4, v5
	v_cvt_f32_f16_sdwa v5, v5 dst_sel:DWORD dst_unused:UNUSED_PAD src0_sel:WORD_1
	v_lshl_add_u64 v[2:3], v[2:3], 3, v[134:135]
	v_pk_add_f32 v[4:5], v[4:5], 0 op_sel_hi:[1,0]
	global_store_dwordx2 v[2:3], v[4:5], off
	v_mov_b32_e32 v2, 0
.LBB24_103:                             ;   in Loop: Header=BB24_12 Depth=1
	s_or_b64 exec, exec, s[4:5]
	v_cmp_gt_i32_e32 vcc, 50, v2
	s_mov_b64 s[74:75], -1
	s_and_saveexec_b64 s[4:5], vcc
; %bb.104:                              ;   in Loop: Header=BB24_12 Depth=1
	v_cmp_eq_u32_e32 vcc, 0, v2
	s_orn2_b64 s[74:75], vcc, exec
; %bb.105:                              ;   in Loop: Header=BB24_12 Depth=1
	s_or_b64 exec, exec, s[4:5]
	s_mov_b64 s[4:5], 0
                                        ; implicit-def: $vgpr4_vgpr5
                                        ; implicit-def: $vgpr2
	s_and_saveexec_b64 s[68:69], s[74:75]
	s_cbranch_execz .LBB24_181
; %bb.106:                              ;   in Loop: Header=BB24_12 Depth=1
	v_cmp_gt_i32_e32 vcc, s24, v209
	v_cmp_gt_i32_e64 s[4:5], s33, v212
	s_and_b64 s[52:53], vcc, s[4:5]
	v_mov_b32_e32 v2, 50
	s_and_saveexec_b64 s[4:5], s[52:53]
	s_cbranch_execz .LBB24_108
; %bb.107:                              ;   in Loop: Header=BB24_12 Depth=1
	v_add_u32_e32 v2, v192, v184
	ds_read_b32 v5, v2
	v_mad_u64_u32 v[2:3], s[52:53], v209, s25, v[88:89]
	v_lshl_add_u32 v2, v2, 6, v52
	v_ashrrev_i32_e32 v3, 31, v2
	s_waitcnt lgkmcnt(0)
	v_cvt_f32_f16_e32 v4, v5
	v_cvt_f32_f16_sdwa v5, v5 dst_sel:DWORD dst_unused:UNUSED_PAD src0_sel:WORD_1
	v_lshl_add_u64 v[2:3], v[2:3], 3, v[134:135]
	v_pk_add_f32 v[4:5], v[4:5], 0 op_sel_hi:[1,0]
	global_store_dwordx2 v[2:3], v[4:5], off
	v_mov_b32_e32 v2, 0
.LBB24_108:                             ;   in Loop: Header=BB24_12 Depth=1
	s_or_b64 exec, exec, s[4:5]
	v_cmp_gt_i32_e32 vcc, 50, v2
	s_mov_b64 s[76:77], -1
	s_and_saveexec_b64 s[4:5], vcc
; %bb.109:                              ;   in Loop: Header=BB24_12 Depth=1
	v_cmp_eq_u32_e32 vcc, 0, v2
	s_orn2_b64 s[76:77], vcc, exec
; %bb.110:                              ;   in Loop: Header=BB24_12 Depth=1
	s_or_b64 exec, exec, s[4:5]
	s_mov_b64 s[4:5], 0
                                        ; implicit-def: $vgpr4_vgpr5
                                        ; implicit-def: $vgpr2
	s_and_saveexec_b64 s[74:75], s[76:77]
	s_cbranch_execz .LBB24_180
; %bb.111:                              ;   in Loop: Header=BB24_12 Depth=1
	v_cmp_gt_i32_e32 vcc, s24, v214
	s_and_b64 s[52:53], vcc, s[78:79]
	v_mov_b32_e32 v2, 50
	s_and_saveexec_b64 s[4:5], s[52:53]
	s_cbranch_execz .LBB24_113
; %bb.112:                              ;   in Loop: Header=BB24_12 Depth=1
	scratch_load_dword v2, off, off offset:8 ; 4-byte Folded Reload
	s_waitcnt vmcnt(0)
	ds_read_b32 v5, v2
	v_mad_u64_u32 v[2:3], s[52:53], v214, s25, v[50:51]
	v_lshl_add_u32 v2, v2, 6, v52
	v_ashrrev_i32_e32 v3, 31, v2
	s_waitcnt lgkmcnt(0)
	v_cvt_f32_f16_e32 v4, v5
	v_cvt_f32_f16_sdwa v5, v5 dst_sel:DWORD dst_unused:UNUSED_PAD src0_sel:WORD_1
	v_lshl_add_u64 v[2:3], v[2:3], 3, v[134:135]
	v_pk_add_f32 v[4:5], v[4:5], 0 op_sel_hi:[1,0]
	global_store_dwordx2 v[2:3], v[4:5], off
	v_mov_b32_e32 v2, 0
.LBB24_113:                             ;   in Loop: Header=BB24_12 Depth=1
	s_or_b64 exec, exec, s[4:5]
	v_cmp_gt_i32_e32 vcc, 50, v2
	s_mov_b64 s[80:81], -1
	s_and_saveexec_b64 s[4:5], vcc
; %bb.114:                              ;   in Loop: Header=BB24_12 Depth=1
	v_cmp_eq_u32_e32 vcc, 0, v2
	s_orn2_b64 s[80:81], vcc, exec
; %bb.115:                              ;   in Loop: Header=BB24_12 Depth=1
	s_or_b64 exec, exec, s[4:5]
	s_mov_b64 s[4:5], 0
                                        ; implicit-def: $vgpr4_vgpr5
                                        ; implicit-def: $vgpr2
	s_and_saveexec_b64 s[76:77], s[80:81]
	s_cbranch_execz .LBB24_179
; %bb.116:                              ;   in Loop: Header=BB24_12 Depth=1
	v_cmp_gt_i32_e32 vcc, s24, v225
	v_cmp_gt_i32_e64 s[4:5], s33, v211
	s_and_b64 s[52:53], vcc, s[4:5]
	v_mov_b32_e32 v2, 50
	s_and_saveexec_b64 s[4:5], s[52:53]
	s_cbranch_execz .LBB24_118
; %bb.117:                              ;   in Loop: Header=BB24_12 Depth=1
	v_add_u32_e32 v2, v192, v184
	ds_read_b32 v5, v2 offset:2176
	v_mad_u64_u32 v[2:3], s[52:53], v225, s25, v[92:93]
	v_lshl_add_u32 v2, v2, 6, v52
	v_ashrrev_i32_e32 v3, 31, v2
	s_waitcnt lgkmcnt(0)
	v_cvt_f32_f16_e32 v4, v5
	v_cvt_f32_f16_sdwa v5, v5 dst_sel:DWORD dst_unused:UNUSED_PAD src0_sel:WORD_1
	v_lshl_add_u64 v[2:3], v[2:3], 3, v[134:135]
	v_pk_add_f32 v[4:5], v[4:5], 0 op_sel_hi:[1,0]
	global_store_dwordx2 v[2:3], v[4:5], off
	v_mov_b32_e32 v2, 0
.LBB24_118:                             ;   in Loop: Header=BB24_12 Depth=1
	s_or_b64 exec, exec, s[4:5]
	v_cmp_gt_i32_e32 vcc, 50, v2
	s_mov_b64 s[82:83], -1
	s_and_saveexec_b64 s[4:5], vcc
; %bb.119:                              ;   in Loop: Header=BB24_12 Depth=1
	v_cmp_eq_u32_e32 vcc, 0, v2
	s_orn2_b64 s[82:83], vcc, exec
; %bb.120:                              ;   in Loop: Header=BB24_12 Depth=1
	s_or_b64 exec, exec, s[4:5]
	s_mov_b64 s[4:5], 0
                                        ; implicit-def: $vgpr4_vgpr5
                                        ; implicit-def: $vgpr2
	s_and_saveexec_b64 s[80:81], s[82:83]
	s_cbranch_execz .LBB24_178
; %bb.121:                              ;   in Loop: Header=BB24_12 Depth=1
	v_cmp_gt_i32_e32 vcc, s24, v215
	s_and_b64 s[52:53], vcc, s[78:79]
	v_mov_b32_e32 v2, 50
	s_and_saveexec_b64 s[4:5], s[52:53]
	s_cbranch_execz .LBB24_123
; %bb.122:                              ;   in Loop: Header=BB24_12 Depth=1
	v_add_u32_e32 v2, v192, v184
	ds_read_b32 v5, v2 offset:3264
	v_mad_u64_u32 v[2:3], s[52:53], v215, s25, v[50:51]
	v_lshl_add_u32 v2, v2, 6, v52
	v_ashrrev_i32_e32 v3, 31, v2
	s_waitcnt lgkmcnt(0)
	v_cvt_f32_f16_e32 v4, v5
	v_cvt_f32_f16_sdwa v5, v5 dst_sel:DWORD dst_unused:UNUSED_PAD src0_sel:WORD_1
	v_lshl_add_u64 v[2:3], v[2:3], 3, v[134:135]
	v_pk_add_f32 v[4:5], v[4:5], 0 op_sel_hi:[1,0]
	global_store_dwordx2 v[2:3], v[4:5], off
	v_mov_b32_e32 v2, 0
.LBB24_123:                             ;   in Loop: Header=BB24_12 Depth=1
	s_or_b64 exec, exec, s[4:5]
	v_cmp_gt_i32_e32 vcc, 50, v2
	s_mov_b64 s[84:85], -1
	s_and_saveexec_b64 s[4:5], vcc
; %bb.124:                              ;   in Loop: Header=BB24_12 Depth=1
	v_cmp_eq_u32_e32 vcc, 0, v2
	s_orn2_b64 s[84:85], vcc, exec
; %bb.125:                              ;   in Loop: Header=BB24_12 Depth=1
	s_or_b64 exec, exec, s[4:5]
	s_mov_b64 s[4:5], 0
                                        ; implicit-def: $vgpr4_vgpr5
                                        ; implicit-def: $vgpr2
	s_and_saveexec_b64 s[82:83], s[84:85]
	s_cbranch_execz .LBB24_177
; %bb.126:                              ;   in Loop: Header=BB24_12 Depth=1
	v_cmp_gt_i32_e32 vcc, s24, v217
	v_cmp_gt_i32_e64 s[4:5], s33, v213
	s_and_b64 s[52:53], vcc, s[4:5]
	v_mov_b32_e32 v2, 50
	s_and_saveexec_b64 s[4:5], s[52:53]
	s_cbranch_execz .LBB24_128
; %bb.127:                              ;   in Loop: Header=BB24_12 Depth=1
	v_add_u32_e32 v2, v192, v184
	ds_read_b32 v5, v2 offset:4352
	v_mad_u64_u32 v[2:3], s[52:53], v217, s25, v[96:97]
	v_lshl_add_u32 v2, v2, 6, v52
	v_ashrrev_i32_e32 v3, 31, v2
	s_waitcnt lgkmcnt(0)
	v_cvt_f32_f16_e32 v4, v5
	v_cvt_f32_f16_sdwa v5, v5 dst_sel:DWORD dst_unused:UNUSED_PAD src0_sel:WORD_1
	v_lshl_add_u64 v[2:3], v[2:3], 3, v[134:135]
	v_pk_add_f32 v[4:5], v[4:5], 0 op_sel_hi:[1,0]
	global_store_dwordx2 v[2:3], v[4:5], off
	v_mov_b32_e32 v2, 0
.LBB24_128:                             ;   in Loop: Header=BB24_12 Depth=1
	s_or_b64 exec, exec, s[4:5]
	v_cmp_gt_i32_e32 vcc, 50, v2
	s_mov_b64 s[86:87], -1
	s_and_saveexec_b64 s[4:5], vcc
; %bb.129:                              ;   in Loop: Header=BB24_12 Depth=1
	v_cmp_eq_u32_e32 vcc, 0, v2
	s_orn2_b64 s[86:87], vcc, exec
; %bb.130:                              ;   in Loop: Header=BB24_12 Depth=1
	s_or_b64 exec, exec, s[4:5]
	s_mov_b64 s[4:5], 0
                                        ; implicit-def: $vgpr4_vgpr5
                                        ; implicit-def: $vgpr2
	s_and_saveexec_b64 s[84:85], s[86:87]
	s_cbranch_execz .LBB24_176
; %bb.131:                              ;   in Loop: Header=BB24_12 Depth=1
	v_cmp_gt_i32_e32 vcc, s24, v219
	s_and_b64 s[52:53], vcc, s[78:79]
	v_mov_b32_e32 v2, 50
	s_and_saveexec_b64 s[4:5], s[52:53]
	s_cbranch_execz .LBB24_133
; %bb.132:                              ;   in Loop: Header=BB24_12 Depth=1
	scratch_load_dword v2, off, off offset:32 ; 4-byte Folded Reload
	s_waitcnt vmcnt(0)
	ds_read_b32 v5, v2
	v_mad_u64_u32 v[2:3], s[52:53], v219, s25, v[50:51]
	v_lshl_add_u32 v2, v2, 6, v52
	v_ashrrev_i32_e32 v3, 31, v2
	s_waitcnt lgkmcnt(0)
	v_cvt_f32_f16_e32 v4, v5
	v_cvt_f32_f16_sdwa v5, v5 dst_sel:DWORD dst_unused:UNUSED_PAD src0_sel:WORD_1
	v_lshl_add_u64 v[2:3], v[2:3], 3, v[134:135]
	v_pk_add_f32 v[4:5], v[4:5], 0 op_sel_hi:[1,0]
	global_store_dwordx2 v[2:3], v[4:5], off
	v_mov_b32_e32 v2, 0
.LBB24_133:                             ;   in Loop: Header=BB24_12 Depth=1
	s_or_b64 exec, exec, s[4:5]
	v_cmp_gt_i32_e32 vcc, 50, v2
	s_mov_b64 s[88:89], -1
	s_and_saveexec_b64 s[4:5], vcc
; %bb.134:                              ;   in Loop: Header=BB24_12 Depth=1
	v_cmp_eq_u32_e32 vcc, 0, v2
	s_orn2_b64 s[88:89], vcc, exec
; %bb.135:                              ;   in Loop: Header=BB24_12 Depth=1
	s_or_b64 exec, exec, s[4:5]
	s_mov_b64 s[4:5], 0
                                        ; implicit-def: $vgpr4_vgpr5
                                        ; implicit-def: $vgpr2
	s_and_saveexec_b64 s[86:87], s[88:89]
	s_cbranch_execz .LBB24_175
; %bb.136:                              ;   in Loop: Header=BB24_12 Depth=1
	v_cmp_gt_i32_e32 vcc, s24, v221
	v_cmp_gt_i32_e64 s[4:5], s33, v216
	s_and_b64 s[52:53], vcc, s[4:5]
	v_mov_b32_e32 v2, 50
	s_and_saveexec_b64 s[4:5], s[52:53]
	s_cbranch_execz .LBB24_138
; %bb.137:                              ;   in Loop: Header=BB24_12 Depth=1
	v_add_u32_e32 v2, v192, v184
	ds_read_b32 v5, v2 offset:6528
	v_mad_u64_u32 v[2:3], s[52:53], v221, s25, v[100:101]
	v_lshl_add_u32 v2, v2, 6, v52
	v_ashrrev_i32_e32 v3, 31, v2
	s_waitcnt lgkmcnt(0)
	v_cvt_f32_f16_e32 v4, v5
	v_cvt_f32_f16_sdwa v5, v5 dst_sel:DWORD dst_unused:UNUSED_PAD src0_sel:WORD_1
	v_lshl_add_u64 v[2:3], v[2:3], 3, v[134:135]
	v_pk_add_f32 v[4:5], v[4:5], 0 op_sel_hi:[1,0]
	global_store_dwordx2 v[2:3], v[4:5], off
	v_mov_b32_e32 v2, 0
.LBB24_138:                             ;   in Loop: Header=BB24_12 Depth=1
	s_or_b64 exec, exec, s[4:5]
	v_cmp_gt_i32_e32 vcc, 50, v2
	s_mov_b64 s[90:91], -1
	s_and_saveexec_b64 s[4:5], vcc
; %bb.139:                              ;   in Loop: Header=BB24_12 Depth=1
	v_cmp_eq_u32_e32 vcc, 0, v2
	s_orn2_b64 s[90:91], vcc, exec
; %bb.140:                              ;   in Loop: Header=BB24_12 Depth=1
	s_or_b64 exec, exec, s[4:5]
	s_mov_b64 s[4:5], 0
                                        ; implicit-def: $vgpr4_vgpr5
                                        ; implicit-def: $vgpr2
	s_and_saveexec_b64 s[88:89], s[90:91]
	s_cbranch_execz .LBB24_174
; %bb.141:                              ;   in Loop: Header=BB24_12 Depth=1
	v_cmp_gt_i32_e32 vcc, s24, v218
	s_and_b64 s[52:53], vcc, s[78:79]
	v_mov_b32_e32 v2, 50
	s_and_saveexec_b64 s[4:5], s[52:53]
	s_cbranch_execz .LBB24_143
; %bb.142:                              ;   in Loop: Header=BB24_12 Depth=1
	v_add_u32_e32 v2, v192, v184
	ds_read_b32 v5, v2 offset:7616
	v_mad_u64_u32 v[2:3], s[52:53], v218, s25, v[50:51]
	v_lshl_add_u32 v2, v2, 6, v52
	v_ashrrev_i32_e32 v3, 31, v2
	s_waitcnt lgkmcnt(0)
	v_cvt_f32_f16_e32 v4, v5
	v_cvt_f32_f16_sdwa v5, v5 dst_sel:DWORD dst_unused:UNUSED_PAD src0_sel:WORD_1
	v_lshl_add_u64 v[2:3], v[2:3], 3, v[134:135]
	v_pk_add_f32 v[4:5], v[4:5], 0 op_sel_hi:[1,0]
	global_store_dwordx2 v[2:3], v[4:5], off
	v_mov_b32_e32 v2, 0
.LBB24_143:                             ;   in Loop: Header=BB24_12 Depth=1
	s_or_b64 exec, exec, s[4:5]
	v_cmp_gt_i32_e32 vcc, 50, v2
	s_mov_b64 s[92:93], -1
	s_and_saveexec_b64 s[4:5], vcc
; %bb.144:                              ;   in Loop: Header=BB24_12 Depth=1
	v_cmp_eq_u32_e32 vcc, 0, v2
	s_orn2_b64 s[92:93], vcc, exec
; %bb.145:                              ;   in Loop: Header=BB24_12 Depth=1
	s_or_b64 exec, exec, s[4:5]
	s_mov_b64 s[4:5], 0
                                        ; implicit-def: $vgpr4_vgpr5
                                        ; implicit-def: $vgpr2
	s_and_saveexec_b64 s[90:91], s[92:93]
	s_cbranch_execz .LBB24_173
; %bb.146:                              ;   in Loop: Header=BB24_12 Depth=1
	v_cmp_gt_i32_e32 vcc, s24, v254
	v_cmp_gt_i32_e64 s[4:5], s33, v220
	s_and_b64 s[52:53], vcc, s[4:5]
	v_mov_b32_e32 v2, 50
	s_and_saveexec_b64 s[4:5], s[52:53]
	s_cbranch_execz .LBB24_148
; %bb.147:                              ;   in Loop: Header=BB24_12 Depth=1
	v_add_u32_e32 v2, v192, v184
	ds_read_b32 v5, v2 offset:8704
	v_mad_u64_u32 v[2:3], s[52:53], v254, s25, v[104:105]
	v_lshl_add_u32 v2, v2, 6, v52
	v_ashrrev_i32_e32 v3, 31, v2
	s_waitcnt lgkmcnt(0)
	v_cvt_f32_f16_e32 v4, v5
	v_cvt_f32_f16_sdwa v5, v5 dst_sel:DWORD dst_unused:UNUSED_PAD src0_sel:WORD_1
	v_lshl_add_u64 v[2:3], v[2:3], 3, v[134:135]
	v_pk_add_f32 v[4:5], v[4:5], 0 op_sel_hi:[1,0]
	global_store_dwordx2 v[2:3], v[4:5], off
	v_mov_b32_e32 v2, 0
.LBB24_148:                             ;   in Loop: Header=BB24_12 Depth=1
	s_or_b64 exec, exec, s[4:5]
	v_cmp_gt_i32_e32 vcc, 50, v2
	s_mov_b64 s[94:95], -1
	s_and_saveexec_b64 s[4:5], vcc
; %bb.149:                              ;   in Loop: Header=BB24_12 Depth=1
	v_cmp_eq_u32_e32 vcc, 0, v2
	s_orn2_b64 s[94:95], vcc, exec
; %bb.150:                              ;   in Loop: Header=BB24_12 Depth=1
	s_or_b64 exec, exec, s[4:5]
	s_mov_b64 s[4:5], 0
                                        ; implicit-def: $vgpr4_vgpr5
                                        ; implicit-def: $vgpr2
	s_and_saveexec_b64 s[92:93], s[94:95]
	s_cbranch_execz .LBB24_172
; %bb.151:                              ;   in Loop: Header=BB24_12 Depth=1
	v_cmp_gt_i32_e32 vcc, s24, v253
	s_and_b64 s[52:53], vcc, s[78:79]
	v_mov_b32_e32 v2, 50
	s_and_saveexec_b64 s[4:5], s[52:53]
	s_cbranch_execz .LBB24_153
; %bb.152:                              ;   in Loop: Header=BB24_12 Depth=1
	scratch_load_dword v2, off, off offset:56 ; 4-byte Folded Reload
	s_waitcnt vmcnt(0)
	ds_read_b32 v5, v2
	v_mad_u64_u32 v[2:3], s[52:53], v253, s25, v[50:51]
	v_lshl_add_u32 v2, v2, 6, v52
	v_ashrrev_i32_e32 v3, 31, v2
	s_waitcnt lgkmcnt(0)
	v_cvt_f32_f16_e32 v4, v5
	v_cvt_f32_f16_sdwa v5, v5 dst_sel:DWORD dst_unused:UNUSED_PAD src0_sel:WORD_1
	v_lshl_add_u64 v[2:3], v[2:3], 3, v[134:135]
	v_pk_add_f32 v[4:5], v[4:5], 0 op_sel_hi:[1,0]
	global_store_dwordx2 v[2:3], v[4:5], off
	v_mov_b32_e32 v2, 0
.LBB24_153:                             ;   in Loop: Header=BB24_12 Depth=1
	s_or_b64 exec, exec, s[4:5]
	v_cmp_gt_i32_e32 vcc, 50, v2
	s_mov_b64 s[96:97], -1
	s_and_saveexec_b64 s[4:5], vcc
; %bb.154:                              ;   in Loop: Header=BB24_12 Depth=1
	v_cmp_eq_u32_e32 vcc, 0, v2
	s_orn2_b64 s[96:97], vcc, exec
; %bb.155:                              ;   in Loop: Header=BB24_12 Depth=1
	s_or_b64 exec, exec, s[4:5]
	s_mov_b64 s[4:5], 0
                                        ; implicit-def: $vgpr4_vgpr5
                                        ; implicit-def: $vgpr2
	s_and_saveexec_b64 s[94:95], s[96:97]
	s_cbranch_execz .LBB24_171
; %bb.156:                              ;   in Loop: Header=BB24_12 Depth=1
	v_cmp_gt_i32_e32 vcc, s24, v111
	v_cmp_gt_i32_e64 s[4:5], s33, v115
	s_and_b64 s[52:53], vcc, s[4:5]
	v_mov_b32_e32 v2, 50
	s_and_saveexec_b64 s[4:5], s[52:53]
	s_cbranch_execz .LBB24_158
; %bb.157:                              ;   in Loop: Header=BB24_12 Depth=1
	v_add_u32_e32 v2, v192, v184
	ds_read_b32 v5, v2 offset:10880
	v_mad_u64_u32 v[2:3], s[52:53], v111, s25, v[108:109]
	v_lshl_add_u32 v2, v2, 6, v52
	v_ashrrev_i32_e32 v3, 31, v2
	s_waitcnt lgkmcnt(0)
	v_cvt_f32_f16_e32 v4, v5
	v_cvt_f32_f16_sdwa v5, v5 dst_sel:DWORD dst_unused:UNUSED_PAD src0_sel:WORD_1
	v_lshl_add_u64 v[2:3], v[2:3], 3, v[134:135]
	v_pk_add_f32 v[4:5], v[4:5], 0 op_sel_hi:[1,0]
	global_store_dwordx2 v[2:3], v[4:5], off
	v_mov_b32_e32 v2, 0
.LBB24_158:                             ;   in Loop: Header=BB24_12 Depth=1
	s_or_b64 exec, exec, s[4:5]
	v_cmp_gt_i32_e32 vcc, 50, v2
	s_mov_b64 s[98:99], -1
	s_and_saveexec_b64 s[4:5], vcc
; %bb.159:                              ;   in Loop: Header=BB24_12 Depth=1
	v_cmp_eq_u32_e32 vcc, 0, v2
	s_orn2_b64 s[98:99], vcc, exec
; %bb.160:                              ;   in Loop: Header=BB24_12 Depth=1
	s_or_b64 exec, exec, s[4:5]
	s_mov_b64 s[4:5], 0
                                        ; implicit-def: $vgpr4_vgpr5
                                        ; implicit-def: $vgpr2
	s_and_saveexec_b64 s[96:97], s[98:99]
	s_cbranch_execz .LBB24_170
; %bb.161:                              ;   in Loop: Header=BB24_12 Depth=1
	v_cmp_gt_i32_e32 vcc, s24, v107
	s_and_b64 s[52:53], vcc, s[78:79]
	v_mov_b32_e32 v2, 50
	s_and_saveexec_b64 s[4:5], s[52:53]
	s_cbranch_execz .LBB24_163
; %bb.162:                              ;   in Loop: Header=BB24_12 Depth=1
	v_add_u32_e32 v2, v192, v184
	ds_read_b32 v5, v2 offset:11968
	v_mad_u64_u32 v[2:3], s[52:53], v107, s25, v[50:51]
	v_lshl_add_u32 v2, v2, 6, v52
	v_ashrrev_i32_e32 v3, 31, v2
	s_waitcnt lgkmcnt(0)
	v_cvt_f32_f16_e32 v4, v5
	v_cvt_f32_f16_sdwa v5, v5 dst_sel:DWORD dst_unused:UNUSED_PAD src0_sel:WORD_1
	v_lshl_add_u64 v[2:3], v[2:3], 3, v[134:135]
	v_pk_add_f32 v[4:5], v[4:5], 0 op_sel_hi:[1,0]
	global_store_dwordx2 v[2:3], v[4:5], off
	v_mov_b32_e32 v2, 0
.LBB24_163:                             ;   in Loop: Header=BB24_12 Depth=1
	s_or_b64 exec, exec, s[4:5]
	v_cmp_gt_i32_e32 vcc, 50, v2
	s_mov_b64 s[98:99], -1
	s_and_saveexec_b64 s[4:5], vcc
; %bb.164:                              ;   in Loop: Header=BB24_12 Depth=1
	v_cmp_eq_u32_e32 vcc, 0, v2
	s_orn2_b64 s[98:99], vcc, exec
; %bb.165:                              ;   in Loop: Header=BB24_12 Depth=1
	s_or_b64 exec, exec, s[4:5]
	s_mov_b64 s[4:5], 0
                                        ; implicit-def: $vgpr4_vgpr5
                                        ; implicit-def: $vgpr2
	s_and_saveexec_b64 s[78:79], s[98:99]
	s_cbranch_execz .LBB24_169
; %bb.166:                              ;   in Loop: Header=BB24_12 Depth=1
	v_cmp_gt_i32_e32 vcc, s24, v99
	v_cmp_gt_i32_e64 s[4:5], s33, v103
	s_and_b64 s[52:53], vcc, s[4:5]
	s_mov_b64 s[4:5], 0
                                        ; implicit-def: $vgpr4_vgpr5
                                        ; implicit-def: $vgpr2
	s_and_saveexec_b64 s[98:99], s[52:53]
	s_xor_b64 s[98:99], exec, s[98:99]
	s_cbranch_execz .LBB24_168
; %bb.167:                              ;   in Loop: Header=BB24_12 Depth=1
	v_mad_u64_u32 v[2:3], s[4:5], v99, s25, v[112:113]
	v_add_u32_e32 v3, v192, v184
	ds_read_b32 v3, v3 offset:13056
	s_mov_b64 s[4:5], exec
	s_waitcnt lgkmcnt(0)
	v_cvt_f32_f16_e32 v4, v3
	v_cvt_f32_f16_sdwa v5, v3 dst_sel:DWORD dst_unused:UNUSED_PAD src0_sel:WORD_1
	v_pk_add_f32 v[4:5], v[4:5], 0 op_sel_hi:[1,0]
.LBB24_168:                             ;   in Loop: Header=BB24_12 Depth=1
	s_or_b64 exec, exec, s[98:99]
	s_and_b64 s[4:5], s[4:5], exec
.LBB24_169:                             ;   in Loop: Header=BB24_12 Depth=1
	s_or_b64 exec, exec, s[78:79]
	s_and_b64 s[4:5], s[4:5], exec
.LBB24_170:                             ;   in Loop: Header=BB24_12 Depth=1
	s_or_b64 exec, exec, s[96:97]
	s_and_b64 s[4:5], s[4:5], exec
.LBB24_171:                             ;   in Loop: Header=BB24_12 Depth=1
	s_or_b64 exec, exec, s[94:95]
	s_and_b64 s[4:5], s[4:5], exec
.LBB24_172:                             ;   in Loop: Header=BB24_12 Depth=1
	s_or_b64 exec, exec, s[92:93]
	s_and_b64 s[4:5], s[4:5], exec
.LBB24_173:                             ;   in Loop: Header=BB24_12 Depth=1
	s_or_b64 exec, exec, s[90:91]
	s_and_b64 s[4:5], s[4:5], exec
.LBB24_174:                             ;   in Loop: Header=BB24_12 Depth=1
	s_or_b64 exec, exec, s[88:89]
	s_and_b64 s[4:5], s[4:5], exec
.LBB24_175:                             ;   in Loop: Header=BB24_12 Depth=1
	s_or_b64 exec, exec, s[86:87]
	s_and_b64 s[4:5], s[4:5], exec
.LBB24_176:                             ;   in Loop: Header=BB24_12 Depth=1
	s_or_b64 exec, exec, s[84:85]
	s_and_b64 s[4:5], s[4:5], exec
.LBB24_177:                             ;   in Loop: Header=BB24_12 Depth=1
	s_or_b64 exec, exec, s[82:83]
	s_and_b64 s[4:5], s[4:5], exec
.LBB24_178:                             ;   in Loop: Header=BB24_12 Depth=1
	s_or_b64 exec, exec, s[80:81]
	s_and_b64 s[4:5], s[4:5], exec
.LBB24_179:                             ;   in Loop: Header=BB24_12 Depth=1
	s_or_b64 exec, exec, s[76:77]
	s_and_b64 s[4:5], s[4:5], exec
.LBB24_180:                             ;   in Loop: Header=BB24_12 Depth=1
	s_or_b64 exec, exec, s[74:75]
	s_and_b64 s[4:5], s[4:5], exec
.LBB24_181:                             ;   in Loop: Header=BB24_12 Depth=1
	s_or_b64 exec, exec, s[68:69]
	s_and_b64 s[4:5], s[4:5], exec
.LBB24_182:                             ;   in Loop: Header=BB24_12 Depth=1
	s_or_b64 exec, exec, s[6:7]
	s_and_b64 s[68:69], s[4:5], exec
.LBB24_183:                             ;   in Loop: Header=BB24_12 Depth=1
	s_or_b64 exec, exec, s[72:73]
	s_and_b64 vcc, exec, s[70:71]
	s_cbranch_vccz .LBB24_353
.LBB24_184:                             ;   in Loop: Header=BB24_12 Depth=1
	v_cmp_gt_i32_e64 s[4:5], s24, v83
	v_cmp_gt_i32_e32 vcc, s33, v87
	s_and_b64 s[96:97], s[4:5], vcc
	s_xor_b64 s[4:5], s[96:97], -1
	s_and_saveexec_b64 s[6:7], s[4:5]
	s_xor_b64 s[4:5], exec, s[6:7]
; %bb.185:                              ;   in Loop: Header=BB24_12 Depth=1
	v_add_u32_e32 v2, v192, v234
	ds_write_b32 v2, v57
; %bb.186:                              ;   in Loop: Header=BB24_12 Depth=1
	s_andn2_saveexec_b64 s[4:5], s[4:5]
	s_cbranch_execz .LBB24_188
; %bb.187:                              ;   in Loop: Header=BB24_12 Depth=1
	v_mad_u64_u32 v[2:3], s[6:7], v83, s51, v[82:83]
	v_ashrrev_i32_e32 v3, 31, v2
	v_lshl_add_u64 v[2:3], v[2:3], 3, v[154:155]
	global_load_dwordx2 v[2:3], v[2:3], off
	s_waitcnt vmcnt(0)
	v_cvt_pk_f16_f32 v2, v2, v3
	v_pk_mul_f16 v2, v2, v227
	v_add_u32_e32 v3, v192, v234
	ds_write_b32 v3, v2
.LBB24_188:                             ;   in Loop: Header=BB24_12 Depth=1
	s_or_b64 exec, exec, s[4:5]
	v_add_u32_e32 v209, v235, v91
	v_or_b32_e32 v2, v84, v95
	v_cmp_gt_i32_e64 s[4:5], s24, v209
	v_cmp_gt_i32_e64 s[6:7], s33, v2
	s_and_b64 s[94:95], s[4:5], s[6:7]
	s_xor_b64 s[4:5], s[94:95], -1
	s_and_saveexec_b64 s[6:7], s[4:5]
	s_xor_b64 s[4:5], exec, s[6:7]
; %bb.189:                              ;   in Loop: Header=BB24_12 Depth=1
	v_add_u32_e32 v2, v192, v182
	ds_write_b32 v2, v57
; %bb.190:                              ;   in Loop: Header=BB24_12 Depth=1
	s_andn2_saveexec_b64 s[4:5], s[4:5]
	s_cbranch_execz .LBB24_192
; %bb.191:                              ;   in Loop: Header=BB24_12 Depth=1
	v_mad_u64_u32 v[2:3], s[6:7], v209, s51, v[86:87]
	v_ashrrev_i32_e32 v3, 31, v2
	v_lshl_add_u64 v[2:3], v[2:3], 3, v[154:155]
	global_load_dwordx2 v[2:3], v[2:3], off
	s_waitcnt vmcnt(0)
	v_cvt_pk_f16_f32 v2, v2, v3
	v_pk_mul_f16 v2, v2, v227
	v_add_u32_e32 v3, v192, v182
	ds_write_b32 v3, v2
.LBB24_192:                             ;   in Loop: Header=BB24_12 Depth=1
	s_or_b64 exec, exec, s[4:5]
	v_add_u32_e32 v163, v236, v91
	v_cmp_gt_i32_e64 s[4:5], s24, v163
	s_and_b64 s[92:93], s[4:5], vcc
	s_xor_b64 s[4:5], s[92:93], -1
	s_and_saveexec_b64 s[6:7], s[4:5]
	s_xor_b64 s[4:5], exec, s[6:7]
; %bb.193:                              ;   in Loop: Header=BB24_12 Depth=1
	v_add_u32_e32 v2, v192, v183
	ds_write_b32 v2, v57
; %bb.194:                              ;   in Loop: Header=BB24_12 Depth=1
	s_andn2_saveexec_b64 s[4:5], s[4:5]
	s_cbranch_execz .LBB24_196
; %bb.195:                              ;   in Loop: Header=BB24_12 Depth=1
	v_mad_u64_u32 v[2:3], s[6:7], v163, s51, v[82:83]
	v_ashrrev_i32_e32 v3, 31, v2
	v_lshl_add_u64 v[2:3], v[2:3], 3, v[154:155]
	global_load_dwordx2 v[2:3], v[2:3], off
	s_waitcnt vmcnt(0)
	v_cvt_pk_f16_f32 v2, v2, v3
	v_pk_mul_f16 v2, v2, v227
	v_add_u32_e32 v3, v192, v183
	ds_write_b32 v3, v2
.LBB24_196:                             ;   in Loop: Header=BB24_12 Depth=1
	s_or_b64 exec, exec, s[4:5]
	v_add_u32_e32 v162, v237, v91
	v_or_b32_e32 v2, v88, v95
	v_cmp_gt_i32_e64 s[4:5], s24, v162
	v_cmp_gt_i32_e64 s[6:7], s33, v2
	s_and_b64 s[90:91], s[4:5], s[6:7]
	s_xor_b64 s[4:5], s[90:91], -1
	s_and_saveexec_b64 s[6:7], s[4:5]
	s_xor_b64 s[4:5], exec, s[6:7]
; %bb.197:                              ;   in Loop: Header=BB24_12 Depth=1
	v_add_u32_e32 v2, v192, v184
	ds_write_b32 v2, v57
; %bb.198:                              ;   in Loop: Header=BB24_12 Depth=1
	s_andn2_saveexec_b64 s[4:5], s[4:5]
	s_cbranch_execz .LBB24_200
; %bb.199:                              ;   in Loop: Header=BB24_12 Depth=1
	v_mad_u64_u32 v[2:3], s[6:7], v162, s51, v[90:91]
	v_ashrrev_i32_e32 v3, 31, v2
	v_lshl_add_u64 v[2:3], v[2:3], 3, v[154:155]
	global_load_dwordx2 v[2:3], v[2:3], off
	s_waitcnt vmcnt(0)
	v_cvt_pk_f16_f32 v2, v2, v3
	v_pk_mul_f16 v2, v2, v227
	v_add_u32_e32 v3, v192, v184
	ds_write_b32 v3, v2
.LBB24_200:                             ;   in Loop: Header=BB24_12 Depth=1
	s_or_b64 exec, exec, s[4:5]
	v_add_u32_e32 v161, v238, v91
	v_cmp_gt_i32_e64 s[4:5], s24, v161
	;; [unrolled: 50-line block ×3, first 2 shown]
	s_and_b64 s[84:85], s[4:5], vcc
	s_xor_b64 s[4:5], s[84:85], -1
	s_and_saveexec_b64 s[6:7], s[4:5]
	s_xor_b64 s[4:5], exec, s[6:7]
; %bb.209:                              ;   in Loop: Header=BB24_12 Depth=1
	v_add_u32_e32 v2, v192, v187
	ds_write_b32 v2, v57
; %bb.210:                              ;   in Loop: Header=BB24_12 Depth=1
	s_andn2_saveexec_b64 s[4:5], s[4:5]
	s_cbranch_execz .LBB24_212
; %bb.211:                              ;   in Loop: Header=BB24_12 Depth=1
	v_mad_u64_u32 v[2:3], s[6:7], v159, s51, v[82:83]
	v_ashrrev_i32_e32 v3, 31, v2
	v_lshl_add_u64 v[2:3], v[2:3], 3, v[154:155]
	global_load_dwordx2 v[2:3], v[2:3], off
	s_waitcnt vmcnt(0)
	v_cvt_pk_f16_f32 v2, v2, v3
	v_pk_mul_f16 v2, v2, v227
	v_add_u32_e32 v3, v192, v187
	ds_write_b32 v3, v2
.LBB24_212:                             ;   in Loop: Header=BB24_12 Depth=1
	s_or_b64 exec, exec, s[4:5]
	v_add_u32_e32 v158, v241, v91
	v_or_b32_e32 v2, v96, v95
	v_cmp_gt_i32_e64 s[4:5], s24, v158
	v_cmp_gt_i32_e64 s[6:7], s33, v2
	s_and_b64 s[82:83], s[4:5], s[6:7]
	s_xor_b64 s[4:5], s[82:83], -1
	s_and_saveexec_b64 s[6:7], s[4:5]
	s_xor_b64 s[4:5], exec, s[6:7]
; %bb.213:                              ;   in Loop: Header=BB24_12 Depth=1
	v_add_u32_e32 v2, v192, v187
	ds_write_b32 v2, v57 offset:1088
; %bb.214:                              ;   in Loop: Header=BB24_12 Depth=1
	s_andn2_saveexec_b64 s[4:5], s[4:5]
	s_cbranch_execz .LBB24_216
; %bb.215:                              ;   in Loop: Header=BB24_12 Depth=1
	v_mad_u64_u32 v[2:3], s[6:7], v158, s51, v[98:99]
	v_ashrrev_i32_e32 v3, 31, v2
	v_lshl_add_u64 v[2:3], v[2:3], 3, v[154:155]
	global_load_dwordx2 v[2:3], v[2:3], off
	s_waitcnt vmcnt(0)
	v_cvt_pk_f16_f32 v2, v2, v3
	v_pk_mul_f16 v2, v2, v227
	v_add_u32_e32 v3, v192, v187
	ds_write_b32 v3, v2 offset:1088
.LBB24_216:                             ;   in Loop: Header=BB24_12 Depth=1
	s_or_b64 exec, exec, s[4:5]
	v_add_u32_e32 v157, v242, v91
	v_cmp_gt_i32_e64 s[4:5], s24, v157
	s_and_b64 s[80:81], s[4:5], vcc
	s_xor_b64 s[4:5], s[80:81], -1
	s_and_saveexec_b64 s[6:7], s[4:5]
	s_xor_b64 s[4:5], exec, s[6:7]
; %bb.217:                              ;   in Loop: Header=BB24_12 Depth=1
	v_add_u32_e32 v2, v192, v187
	ds_write_b32 v2, v57 offset:2176
; %bb.218:                              ;   in Loop: Header=BB24_12 Depth=1
	s_andn2_saveexec_b64 s[4:5], s[4:5]
	s_cbranch_execz .LBB24_220
; %bb.219:                              ;   in Loop: Header=BB24_12 Depth=1
	v_mad_u64_u32 v[2:3], s[6:7], v157, s51, v[82:83]
	v_ashrrev_i32_e32 v3, 31, v2
	v_lshl_add_u64 v[2:3], v[2:3], 3, v[154:155]
	global_load_dwordx2 v[2:3], v[2:3], off
	s_waitcnt vmcnt(0)
	v_cvt_pk_f16_f32 v2, v2, v3
	v_pk_mul_f16 v2, v2, v227
	v_add_u32_e32 v3, v192, v187
	ds_write_b32 v3, v2 offset:2176
.LBB24_220:                             ;   in Loop: Header=BB24_12 Depth=1
	s_or_b64 exec, exec, s[4:5]
	v_add_u32_e32 v156, v243, v91
	v_or_b32_e32 v2, v100, v95
	v_cmp_gt_i32_e64 s[4:5], s24, v156
	v_cmp_gt_i32_e64 s[6:7], s33, v2
	s_and_b64 s[78:79], s[4:5], s[6:7]
	s_xor_b64 s[4:5], s[78:79], -1
	s_and_saveexec_b64 s[6:7], s[4:5]
	s_xor_b64 s[4:5], exec, s[6:7]
; %bb.221:                              ;   in Loop: Header=BB24_12 Depth=1
	v_add_u32_e32 v2, v192, v187
	ds_write_b32 v2, v57 offset:3264
; %bb.222:                              ;   in Loop: Header=BB24_12 Depth=1
	s_andn2_saveexec_b64 s[4:5], s[4:5]
	s_cbranch_execz .LBB24_224
; %bb.223:                              ;   in Loop: Header=BB24_12 Depth=1
	v_mad_u64_u32 v[2:3], s[6:7], v156, s51, v[102:103]
	v_ashrrev_i32_e32 v3, 31, v2
	v_lshl_add_u64 v[2:3], v[2:3], 3, v[154:155]
	global_load_dwordx2 v[2:3], v[2:3], off
	s_waitcnt vmcnt(0)
	v_cvt_pk_f16_f32 v2, v2, v3
	v_pk_mul_f16 v2, v2, v227
	v_add_u32_e32 v3, v192, v187
	ds_write_b32 v3, v2 offset:3264
.LBB24_224:                             ;   in Loop: Header=BB24_12 Depth=1
	s_or_b64 exec, exec, s[4:5]
	v_add_u32_e32 v115, v244, v91
	v_cmp_gt_i32_e64 s[4:5], s24, v115
	s_and_b64 s[76:77], s[4:5], vcc
	s_xor_b64 s[4:5], s[76:77], -1
	s_and_saveexec_b64 s[6:7], s[4:5]
	s_xor_b64 s[4:5], exec, s[6:7]
; %bb.225:                              ;   in Loop: Header=BB24_12 Depth=1
	v_add_u32_e32 v2, v192, v187
	ds_write_b32 v2, v57 offset:4352
; %bb.226:                              ;   in Loop: Header=BB24_12 Depth=1
	s_andn2_saveexec_b64 s[4:5], s[4:5]
	s_cbranch_execz .LBB24_228
; %bb.227:                              ;   in Loop: Header=BB24_12 Depth=1
	v_mad_u64_u32 v[2:3], s[6:7], v115, s51, v[82:83]
	v_ashrrev_i32_e32 v3, 31, v2
	v_lshl_add_u64 v[2:3], v[2:3], 3, v[154:155]
	global_load_dwordx2 v[2:3], v[2:3], off
	s_waitcnt vmcnt(0)
	v_cvt_pk_f16_f32 v2, v2, v3
	v_pk_mul_f16 v2, v2, v227
	v_add_u32_e32 v3, v192, v187
	ds_write_b32 v3, v2 offset:4352
.LBB24_228:                             ;   in Loop: Header=BB24_12 Depth=1
	s_or_b64 exec, exec, s[4:5]
	v_add_u32_e32 v111, v245, v91
	v_or_b32_e32 v2, v104, v95
	v_cmp_gt_i32_e64 s[4:5], s24, v111
	v_cmp_gt_i32_e64 s[6:7], s33, v2
	s_and_b64 s[74:75], s[4:5], s[6:7]
	s_xor_b64 s[4:5], s[74:75], -1
	s_and_saveexec_b64 s[6:7], s[4:5]
	s_xor_b64 s[4:5], exec, s[6:7]
; %bb.229:                              ;   in Loop: Header=BB24_12 Depth=1
	v_add_u32_e32 v2, v192, v187
	ds_write_b32 v2, v57 offset:5440
; %bb.230:                              ;   in Loop: Header=BB24_12 Depth=1
	s_andn2_saveexec_b64 s[4:5], s[4:5]
	s_cbranch_execz .LBB24_232
; %bb.231:                              ;   in Loop: Header=BB24_12 Depth=1
	v_mad_u64_u32 v[2:3], s[6:7], v111, s51, v[106:107]
	v_ashrrev_i32_e32 v3, 31, v2
	v_lshl_add_u64 v[2:3], v[2:3], 3, v[154:155]
	global_load_dwordx2 v[2:3], v[2:3], off
	s_waitcnt vmcnt(0)
	v_cvt_pk_f16_f32 v2, v2, v3
	v_pk_mul_f16 v2, v2, v227
	v_add_u32_e32 v3, v192, v187
	ds_write_b32 v3, v2 offset:5440
.LBB24_232:                             ;   in Loop: Header=BB24_12 Depth=1
	s_or_b64 exec, exec, s[4:5]
	v_add_u32_e32 v107, v246, v91
	v_cmp_gt_i32_e64 s[4:5], s24, v107
	s_and_b64 s[72:73], s[4:5], vcc
	s_xor_b64 s[4:5], s[72:73], -1
	s_and_saveexec_b64 s[6:7], s[4:5]
	s_xor_b64 s[4:5], exec, s[6:7]
; %bb.233:                              ;   in Loop: Header=BB24_12 Depth=1
	v_add_u32_e32 v2, v192, v187
	ds_write_b32 v2, v57 offset:6528
; %bb.234:                              ;   in Loop: Header=BB24_12 Depth=1
	s_andn2_saveexec_b64 s[4:5], s[4:5]
	s_cbranch_execz .LBB24_236
; %bb.235:                              ;   in Loop: Header=BB24_12 Depth=1
	v_mad_u64_u32 v[2:3], s[6:7], v107, s51, v[82:83]
	v_ashrrev_i32_e32 v3, 31, v2
	v_lshl_add_u64 v[2:3], v[2:3], 3, v[154:155]
	global_load_dwordx2 v[2:3], v[2:3], off
	s_waitcnt vmcnt(0)
	v_cvt_pk_f16_f32 v2, v2, v3
	v_pk_mul_f16 v2, v2, v227
	v_add_u32_e32 v3, v192, v187
	ds_write_b32 v3, v2 offset:6528
.LBB24_236:                             ;   in Loop: Header=BB24_12 Depth=1
	s_or_b64 exec, exec, s[4:5]
	v_add_u32_e32 v103, v247, v91
	v_or_b32_e32 v2, v108, v95
	v_cmp_gt_i32_e64 s[4:5], s24, v103
	v_cmp_gt_i32_e64 s[6:7], s33, v2
	s_and_b64 s[70:71], s[4:5], s[6:7]
	s_xor_b64 s[4:5], s[70:71], -1
	s_and_saveexec_b64 s[6:7], s[4:5]
	s_xor_b64 s[4:5], exec, s[6:7]
; %bb.237:                              ;   in Loop: Header=BB24_12 Depth=1
	v_add_u32_e32 v2, v192, v187
	ds_write_b32 v2, v57 offset:7616
; %bb.238:                              ;   in Loop: Header=BB24_12 Depth=1
	s_andn2_saveexec_b64 s[4:5], s[4:5]
	s_cbranch_execz .LBB24_240
; %bb.239:                              ;   in Loop: Header=BB24_12 Depth=1
	v_mad_u64_u32 v[2:3], s[6:7], v103, s51, v[110:111]
	v_ashrrev_i32_e32 v3, 31, v2
	v_lshl_add_u64 v[2:3], v[2:3], 3, v[154:155]
	global_load_dwordx2 v[2:3], v[2:3], off
	s_waitcnt vmcnt(0)
	v_cvt_pk_f16_f32 v2, v2, v3
	v_pk_mul_f16 v2, v2, v227
	v_add_u32_e32 v3, v192, v187
	ds_write_b32 v3, v2 offset:7616
.LBB24_240:                             ;   in Loop: Header=BB24_12 Depth=1
	s_or_b64 exec, exec, s[4:5]
	v_add_u32_e32 v99, v248, v91
	v_cmp_gt_i32_e64 s[4:5], s24, v99
	s_and_b64 s[6:7], s[4:5], vcc
	s_xor_b64 s[4:5], s[6:7], -1
	s_and_saveexec_b64 s[52:53], s[4:5]
	s_xor_b64 s[4:5], exec, s[52:53]
; %bb.241:                              ;   in Loop: Header=BB24_12 Depth=1
	v_add_u32_e32 v2, v192, v187
	ds_write_b32 v2, v57 offset:8704
; %bb.242:                              ;   in Loop: Header=BB24_12 Depth=1
	s_andn2_saveexec_b64 s[4:5], s[4:5]
	s_cbranch_execz .LBB24_244
; %bb.243:                              ;   in Loop: Header=BB24_12 Depth=1
	v_mad_u64_u32 v[2:3], s[52:53], v99, s51, v[82:83]
	v_ashrrev_i32_e32 v3, 31, v2
	v_lshl_add_u64 v[2:3], v[2:3], 3, v[154:155]
	global_load_dwordx2 v[2:3], v[2:3], off
	s_waitcnt vmcnt(0)
	v_cvt_pk_f16_f32 v2, v2, v3
	v_pk_mul_f16 v2, v2, v227
	v_add_u32_e32 v3, v192, v187
	ds_write_b32 v3, v2 offset:8704
.LBB24_244:                             ;   in Loop: Header=BB24_12 Depth=1
	s_or_b64 exec, exec, s[4:5]
	v_add_u32_e32 v87, v249, v91
	v_or_b32_e32 v2, v112, v95
	v_cmp_gt_i32_e32 vcc, s24, v87
	v_cmp_gt_i32_e64 s[4:5], s33, v2
	s_and_b64 s[4:5], vcc, s[4:5]
	s_xor_b64 s[52:53], s[4:5], -1
	s_and_saveexec_b64 s[98:99], s[52:53]
	s_xor_b64 s[52:53], exec, s[98:99]
; %bb.245:                              ;   in Loop: Header=BB24_12 Depth=1
	v_add_u32_e32 v2, v192, v187
	ds_write_b32 v2, v57 offset:9792
                                        ; implicit-def: $vgpr154_vgpr155
; %bb.246:                              ;   in Loop: Header=BB24_12 Depth=1
	s_andn2_saveexec_b64 s[98:99], s[52:53]
	s_cbranch_execz .LBB24_248
; %bb.247:                              ;   in Loop: Header=BB24_12 Depth=1
	v_mad_u64_u32 v[2:3], s[52:53], v87, s51, v[114:115]
	v_ashrrev_i32_e32 v3, 31, v2
	v_lshl_add_u64 v[2:3], v[2:3], 3, v[154:155]
	global_load_dwordx2 v[2:3], v[2:3], off
	s_waitcnt vmcnt(0)
	v_cvt_pk_f16_f32 v2, v2, v3
	v_pk_mul_f16 v2, v2, v227
	v_add_u32_e32 v3, v192, v187
	ds_write_b32 v3, v2 offset:9792
.LBB24_248:                             ;   in Loop: Header=BB24_12 Depth=1
	s_or_b64 exec, exec, s[98:99]
	s_waitcnt lgkmcnt(0)
	s_barrier
	ds_read2_b64 v[14:17], v53 offset1:4
	ds_read2_b64 v[10:13], v53 offset0:8 offset1:12
	ds_read2_b64 v[6:9], v53 offset0:16 offset1:20
	;; [unrolled: 1-line block ×3, first 2 shown]
	s_cmp_gt_i32 s35, 1
	s_mov_b64 s[98:99], -1
	s_waitcnt lgkmcnt(0)
	s_barrier
                                        ; implicit-def: $vgpr95
                                        ; implicit-def: $vgpr154
                                        ; implicit-def: $vgpr155
                                        ; implicit-def: $vgpr204
	s_cbranch_scc1 .LBB24_250
; %bb.249:                              ;   in Loop: Header=BB24_12 Depth=1
	v_mbcnt_hi_u32_b32 v95, -1, v250
	v_and_b32_e32 v18, 64, v95
	v_add_u32_e32 v154, 64, v18
	v_xor_b32_e32 v155, 32, v95
	v_xor_b32_e32 v204, 16, v95
	s_mov_b64 s[98:99], 0
.LBB24_250:                             ;   in Loop: Header=BB24_12 Depth=1
	v_add_u32_e32 v18, v91, v55
	v_mul_hi_u32 v19, s40, v18
	v_add_u32_e32 v19, v18, v19
	v_lshrrev_b32_e32 v19, s41, v19
	v_mul_lo_u32 v19, v19, s24
	s_andn2_b64 vcc, exec, s[98:99]
	v_sub_u32_e32 v56, v18, v19
	s_cbranch_vccnz .LBB24_254
; %bb.251:                              ;   in Loop: Header=BB24_12 Depth=1
	v_mbcnt_hi_u32_b32 v95, -1, v250
	v_and_b32_e32 v18, 64, v95
	v_add_u32_e32 v154, 64, v18
	v_xor_b32_e32 v155, 32, v95
	v_cmp_lt_i32_e32 vcc, v155, v154
	v_xor_b32_e32 v204, 16, v95
	v_readlane_b32 s52, v255, 19
	v_cndmask_b32_e32 v18, v95, v155, vcc
	v_cmp_lt_i32_e32 vcc, v204, v154
	v_lshlrev_b32_e32 v199, 2, v18
	v_readlane_b32 s53, v255, 20
	v_cndmask_b32_e32 v18, v95, v204, vcc
	v_lshlrev_b32_e32 v201, 2, v18
	v_mad_i64_i32 v[18:19], s[52:53], s52, v56, v[148:149]
	v_lshl_add_u64 v[34:35], v[190:191], 0, v[18:19]
	v_lshl_add_u64 v[18:19], v[150:151], 0, v[152:153]
	s_add_i32 s35, s35, -1
	v_lshl_add_u64 v[36:37], v[168:169], 0, v[18:19]
	v_lshl_add_u64 v[38:39], v[120:121], 0, v[18:19]
	;; [unrolled: 1-line block ×9, first 2 shown]
	v_mov_b32_e32 v146, 0
	v_mov_b32_e32 v91, 0xfeffffff
	;; [unrolled: 1-line block ×3, first 2 shown]
	s_mov_b32 s52, s35
	v_mov_b32_e32 v147, 0
	v_mov_b32_e32 v149, 0
	;; [unrolled: 1-line block ×15, first 2 shown]
.LBB24_252:                             ;   Parent Loop BB24_12 Depth=1
                                        ; =>  This Inner Loop Header: Depth=2
	global_load_dword v18, v[34:35], off
	v_lshl_add_u64 v[22:23], v[46:47], 0, v[78:79]
	v_lshl_add_u64 v[24:25], v[48:49], 0, v[78:79]
	v_lshl_add_u64 v[26:27], v[144:145], 0, v[78:79]
	v_add_u32_e32 v30, 0x1000, v222
	v_mov_b32_e32 v200, v91
	v_add_u32_e32 v91, 0x2000, v222
	v_mov_b32_e32 v197, v150
	s_add_i32 s52, s52, -1
	s_mov_b64 s[98:99], 0x80
	v_lshl_add_u64 v[34:35], v[34:35], 0, s[98:99]
	v_lshl_add_u64 v[46:47], v[46:47], 0, s[66:67]
	;; [unrolled: 1-line block ×4, first 2 shown]
	s_cmp_lg_u32 s52, 0
	s_waitcnt vmcnt(0)
	ds_write_b32 v59, v18 offset:17408
	v_lshl_add_u64 v[18:19], v[44:45], 0, v[78:79]
	global_load_dwordx4 v[18:21], v[18:19], off
	v_lshl_add_u64 v[44:45], v[44:45], 0, s[66:67]
	s_waitcnt vmcnt(0)
	ds_write_b128 v171, v[18:21]
	global_load_dwordx4 v[18:21], v[22:23], off
	s_waitcnt vmcnt(0)
	ds_write_b128 v228, v[18:21]
	global_load_dwordx4 v[18:21], v[24:25], off
	;; [unrolled: 3-line block ×3, first 2 shown]
	s_waitcnt vmcnt(0)
	ds_write_b128 v230, v[18:21]
	s_waitcnt lgkmcnt(0)
	s_barrier
	ds_read2_b64 v[18:21], v222 offset1:4
	s_waitcnt lgkmcnt(0)
	v_mfma_f32_16x16x16_f16 v[22:25], v[18:19], v[14:15], 0
	v_mfma_f32_16x16x16_f16 v[18:21], v[20:21], v[16:17], v[22:25]
	s_nop 6
	ds_read2_b64 v[22:25], v222 offset0:8 offset1:12
	s_waitcnt lgkmcnt(0)
	v_mfma_f32_16x16x16_f16 v[18:21], v[22:23], v[10:11], v[18:21]
	v_mfma_f32_16x16x16_f16 v[18:21], v[24:25], v[12:13], v[18:21]
	ds_read2_b64 v[22:25], v222 offset0:16 offset1:20
	s_waitcnt lgkmcnt(0)
	v_mfma_f32_16x16x16_f16 v[18:21], v[22:23], v[6:7], v[18:21]
	v_mfma_f32_16x16x16_f16 v[18:21], v[24:25], v[8:9], v[18:21]
	;; [unrolled: 4-line block ×3, first 2 shown]
	s_nop 6
	ds_read2_b64 v[18:21], v30 offset0:32 offset1:36
	s_waitcnt lgkmcnt(0)
	v_mfma_f32_16x16x16_f16 v[22:25], v[18:19], v[14:15], 0
	v_mfma_f32_16x16x16_f16 v[18:21], v[20:21], v[16:17], v[22:25]
	s_nop 6
	ds_read2_b64 v[22:25], v30 offset0:40 offset1:44
	s_waitcnt lgkmcnt(0)
	v_mfma_f32_16x16x16_f16 v[18:21], v[22:23], v[10:11], v[18:21]
	v_mfma_f32_16x16x16_f16 v[18:21], v[24:25], v[12:13], v[18:21]
	ds_read2_b64 v[22:25], v30 offset0:48 offset1:52
	s_waitcnt lgkmcnt(0)
	v_mfma_f32_16x16x16_f16 v[18:21], v[22:23], v[6:7], v[18:21]
	v_mfma_f32_16x16x16_f16 v[18:21], v[24:25], v[8:9], v[18:21]
	;; [unrolled: 4-line block ×4, first 2 shown]
	s_nop 6
	ds_read2_b64 v[30:33], v91 offset0:72 offset1:76
	s_waitcnt lgkmcnt(0)
	v_mfma_f32_16x16x16_f16 v[22:25], v[30:31], v[10:11], v[22:25]
	v_mfma_f32_16x16x16_f16 v[22:25], v[32:33], v[12:13], v[22:25]
	ds_read2_b64 v[30:33], v91 offset0:80 offset1:84
	s_waitcnt lgkmcnt(0)
	v_mfma_f32_16x16x16_f16 v[22:25], v[30:31], v[6:7], v[22:25]
	v_mfma_f32_16x16x16_f16 v[22:25], v[32:33], v[8:9], v[22:25]
	ds_read2_b64 v[30:33], v91 offset0:88 offset1:92
	v_add_u32_e32 v91, 0x3000, v222
	s_waitcnt lgkmcnt(0)
	v_mfma_f32_16x16x16_f16 v[22:25], v[30:31], v[2:3], v[22:25]
	v_mfma_f32_16x16x16_f16 v[22:25], v[32:33], v[4:5], v[22:25]
	ds_read2_b64 v[30:33], v91 offset0:96 offset1:100
	s_waitcnt lgkmcnt(0)
	v_mfma_f32_16x16x16_f16 v[214:217], v[30:31], v[14:15], 0
	v_mfma_f32_16x16x16_f16 v[30:33], v[32:33], v[16:17], v[214:217]
	s_nop 6
	ds_read2_b64 v[214:217], v91 offset0:104 offset1:108
	s_waitcnt lgkmcnt(0)
	v_mfma_f32_16x16x16_f16 v[30:33], v[214:215], v[10:11], v[30:33]
	v_mfma_f32_16x16x16_f16 v[30:33], v[216:217], v[12:13], v[30:33]
	ds_read2_b64 v[214:217], v91 offset0:112 offset1:116
	s_waitcnt lgkmcnt(0)
	v_mfma_f32_16x16x16_f16 v[30:33], v[214:215], v[6:7], v[30:33]
	v_mfma_f32_16x16x16_f16 v[30:33], v[216:217], v[8:9], v[30:33]
	ds_read2_b64 v[214:217], v91 offset0:120 offset1:124
	s_waitcnt lgkmcnt(0)
	s_barrier
	ds_read_b32 v91, v177 offset:17408
	v_mfma_f32_16x16x16_f16 v[30:33], v[214:215], v[2:3], v[30:33]
	s_waitcnt lgkmcnt(0)
	v_cvt_f32_f16_e32 v116, v91
	v_cvt_f32_f16_sdwa v91, v91 dst_sel:DWORD dst_unused:UNUSED_PAD src0_sel:WORD_1
	v_add_f32_e32 v116, v26, v116
	ds_read_b32 v26, v176 offset:17408
	v_add_f32_e32 v117, v27, v91
	v_mfma_f32_16x16x16_f16 v[30:33], v[216:217], v[4:5], v[30:33]
	s_waitcnt lgkmcnt(0)
	v_cvt_f32_f16_e32 v27, v26
	v_cvt_f32_f16_sdwa v26, v26 dst_sel:DWORD dst_unused:UNUSED_PAD src0_sel:WORD_1
	v_add_f32_e32 v28, v28, v27
	v_add_f32_e32 v29, v29, v26
	v_add_u32_e32 v26, 0x4400, v231
	ds_read2_b32 v[26:27], v26 offset1:1
	s_waitcnt lgkmcnt(0)
	v_cvt_f32_f16_e32 v91, v26
	v_cvt_f32_f16_sdwa v26, v26 dst_sel:DWORD dst_unused:UNUSED_PAD src0_sel:WORD_1
	v_add_f32_e32 v118, v18, v91
	v_cvt_f32_f16_e32 v18, v27
	v_add_f32_e32 v26, v19, v26
	v_cvt_f32_f16_sdwa v19, v27 dst_sel:DWORD dst_unused:UNUSED_PAD src0_sel:WORD_1
	v_add_f32_e32 v27, v20, v18
	v_add_u32_e32 v18, 0x4400, v232
	v_add_f32_e32 v119, v21, v19
	ds_read2_b32 v[18:19], v18 offset1:1
	s_waitcnt lgkmcnt(0)
	v_cvt_f32_f16_e32 v20, v18
	v_cvt_f32_f16_sdwa v18, v18 dst_sel:DWORD dst_unused:UNUSED_PAD src0_sel:WORD_1
	v_add_f32_e32 v150, v22, v20
	v_add_f32_e32 v194, v23, v18
	v_cvt_f32_f16_e32 v18, v19
	v_cvt_f32_f16_sdwa v19, v19 dst_sel:DWORD dst_unused:UNUSED_PAD src0_sel:WORD_1
	v_add_f32_e32 v195, v24, v18
	v_add_u32_e32 v18, 0x4400, v233
	v_add_f32_e32 v196, v25, v19
	ds_read2_b32 v[18:19], v18 offset1:1
	s_waitcnt lgkmcnt(0)
	v_cvt_f32_f16_e32 v20, v18
	v_cvt_f32_f16_sdwa v18, v18 dst_sel:DWORD dst_unused:UNUSED_PAD src0_sel:WORD_1
	v_add_f32_e32 v30, v30, v20
	v_add_f32_e32 v31, v31, v18
	v_cvt_f32_f16_e32 v18, v19
	v_cvt_f32_f16_sdwa v19, v19 dst_sel:DWORD dst_unused:UNUSED_PAD src0_sel:WORD_1
	v_add_f32_e32 v20, 0x40051340, v29
	v_add_f32_e32 v32, v32, v18
	;; [unrolled: 1-line block ×5, first 2 shown]
	v_max3_f32 v18, v200, v18, v19
	v_add_f32_e32 v19, 0x40051340, v28
	v_max3_f32 v18, v18, v19, v20
	v_add_f32_e32 v19, 0x40051340, v118
	v_add_f32_e32 v20, 0x40051340, v26
	v_max3_f32 v18, v18, v19, v20
	v_add_f32_e32 v19, 0x40051340, v27
	;; [unrolled: 3-line block ×6, first 2 shown]
	v_add_f32_e32 v20, 0x40051340, v33
	v_max3_f32 v18, v18, v19, v20
	ds_bpermute_b32 v19, v199, v18
	s_waitcnt lgkmcnt(0)
	v_max_f32_e32 v19, v19, v19
	v_max_f32_e32 v18, v18, v19
	ds_bpermute_b32 v19, v201, v18
	s_waitcnt lgkmcnt(0)
	v_max_f32_e32 v19, v19, v19
	v_max_f32_e32 v91, v18, v19
	v_sub_f32_e32 v18, v116, v91
	v_mul_f32_e32 v19, 0x3fb8aa3b, v18
	v_fma_f32 v20, v18, s39, -v19
	v_rndne_f32_e32 v21, v19
	v_fmac_f32_e32 v20, 0x32a5705f, v18
	v_sub_f32_e32 v19, v19, v21
	v_add_f32_e32 v19, v19, v20
	v_exp_f32_e32 v19, v19
	v_cvt_i32_f32_e32 v20, v21
	v_cmp_ngt_f32_e32 vcc, s60, v18
	v_sub_f32_e32 v31, v31, v91
	v_ldexp_f32 v19, v19, v20
	v_cndmask_b32_e32 v19, 0, v19, vcc
	v_cmp_nlt_f32_e32 vcc, s61, v18
	s_nop 1
	v_cndmask_b32_e32 v18, v252, v19, vcc
	v_sub_f32_e32 v19, v117, v91
	v_mul_f32_e32 v20, 0x3fb8aa3b, v19
	v_fma_f32 v21, v19, s39, -v20
	v_rndne_f32_e32 v22, v20
	v_fmac_f32_e32 v21, 0x32a5705f, v19
	v_sub_f32_e32 v20, v20, v22
	v_add_f32_e32 v20, v20, v21
	v_exp_f32_e32 v20, v20
	v_cvt_i32_f32_e32 v21, v22
	v_cmp_ngt_f32_e32 vcc, s60, v19
	v_ldexp_f32 v20, v20, v21
	s_nop 0
	v_cndmask_b32_e32 v20, 0, v20, vcc
	v_cmp_nlt_f32_e32 vcc, s61, v19
	s_nop 1
	v_cndmask_b32_e32 v19, v252, v20, vcc
	v_sub_f32_e32 v20, v28, v91
	v_mul_f32_e32 v22, 0x3fb8aa3b, v20
	v_fma_f32 v23, v20, s39, -v22
	v_rndne_f32_e32 v24, v22
	v_fmac_f32_e32 v23, 0x32a5705f, v20
	v_sub_f32_e32 v22, v22, v24
	v_add_f32_e32 v22, v22, v23
	v_exp_f32_e32 v22, v22
	v_cvt_i32_f32_e32 v23, v24
	v_cmp_ngt_f32_e32 vcc, s60, v20
	v_add_f32_e32 v21, v18, v19
	v_ldexp_f32 v22, v22, v23
	v_cndmask_b32_e32 v22, 0, v22, vcc
	v_cmp_nlt_f32_e32 vcc, s61, v20
	s_nop 1
	v_cndmask_b32_e32 v20, v252, v22, vcc
	v_sub_f32_e32 v22, v29, v91
	v_mul_f32_e32 v23, 0x3fb8aa3b, v22
	v_fma_f32 v24, v22, s39, -v23
	v_rndne_f32_e32 v25, v23
	v_fmac_f32_e32 v24, 0x32a5705f, v22
	v_sub_f32_e32 v23, v23, v25
	v_add_f32_e32 v23, v23, v24
	v_exp_f32_e32 v23, v23
	v_cvt_i32_f32_e32 v24, v25
	v_cmp_ngt_f32_e32 vcc, s60, v22
	v_add_f32_e32 v21, v20, v21
	v_ldexp_f32 v23, v23, v24
	v_cndmask_b32_e32 v23, 0, v23, vcc
	v_cmp_nlt_f32_e32 vcc, s61, v22
	s_nop 1
	v_cndmask_b32_e32 v22, v252, v23, vcc
	v_add_f32_e32 v23, v22, v21
	v_sub_f32_e32 v21, v118, v91
	v_mul_f32_e32 v24, 0x3fb8aa3b, v21
	v_fma_f32 v25, v21, s39, -v24
	v_rndne_f32_e32 v28, v24
	v_fmac_f32_e32 v25, 0x32a5705f, v21
	v_sub_f32_e32 v24, v24, v28
	v_add_f32_e32 v24, v24, v25
	v_exp_f32_e32 v24, v24
	v_cvt_i32_f32_e32 v25, v28
	v_cmp_ngt_f32_e32 vcc, s60, v21
	v_ldexp_f32 v24, v24, v25
	s_nop 0
	v_cndmask_b32_e32 v24, 0, v24, vcc
	v_cmp_nlt_f32_e32 vcc, s61, v21
	s_nop 1
	v_cndmask_b32_e32 v21, v252, v24, vcc
	v_add_f32_e32 v24, v21, v23
	v_sub_f32_e32 v23, v26, v91
	v_mul_f32_e32 v25, 0x3fb8aa3b, v23
	v_fma_f32 v26, v23, s39, -v25
	v_rndne_f32_e32 v28, v25
	v_fmac_f32_e32 v26, 0x32a5705f, v23
	v_sub_f32_e32 v25, v25, v28
	v_add_f32_e32 v25, v25, v26
	v_exp_f32_e32 v25, v25
	v_cvt_i32_f32_e32 v26, v28
	v_cmp_ngt_f32_e32 vcc, s60, v23
	v_ldexp_f32 v25, v25, v26
	s_nop 0
	v_cndmask_b32_e32 v25, 0, v25, vcc
	v_cmp_nlt_f32_e32 vcc, s61, v23
	s_nop 1
	v_cndmask_b32_e32 v23, v252, v25, vcc
	v_add_f32_e32 v25, v23, v24
	v_sub_f32_e32 v24, v27, v91
	v_mul_f32_e32 v26, 0x3fb8aa3b, v24
	v_fma_f32 v27, v24, s39, -v26
	v_rndne_f32_e32 v28, v26
	v_fmac_f32_e32 v27, 0x32a5705f, v24
	v_sub_f32_e32 v26, v26, v28
	v_add_f32_e32 v26, v26, v27
	v_exp_f32_e32 v26, v26
	v_cvt_i32_f32_e32 v27, v28
	v_cmp_ngt_f32_e32 vcc, s60, v24
	v_ldexp_f32 v26, v26, v27
	s_nop 0
	v_cndmask_b32_e32 v26, 0, v26, vcc
	v_cmp_nlt_f32_e32 vcc, s61, v24
	s_nop 1
	v_cndmask_b32_e32 v24, v252, v26, vcc
	v_sub_f32_e32 v26, v119, v91
	v_mul_f32_e32 v27, 0x3fb8aa3b, v26
	v_fma_f32 v28, v26, s39, -v27
	v_rndne_f32_e32 v29, v27
	v_fmac_f32_e32 v28, 0x32a5705f, v26
	v_sub_f32_e32 v27, v27, v29
	v_add_f32_e32 v27, v27, v28
	v_exp_f32_e32 v27, v27
	v_cvt_i32_f32_e32 v28, v29
	v_cmp_ngt_f32_e32 vcc, s60, v26
	v_add_f32_e32 v25, v24, v25
	v_ldexp_f32 v27, v27, v28
	v_cndmask_b32_e32 v27, 0, v27, vcc
	v_cmp_nlt_f32_e32 vcc, s61, v26
	s_nop 1
	v_cndmask_b32_e32 v26, v252, v27, vcc
	v_add_f32_e32 v27, v26, v25
	v_sub_f32_e32 v25, v150, v91
	v_mul_f32_e32 v28, 0x3fb8aa3b, v25
	v_fma_f32 v29, v25, s39, -v28
	v_rndne_f32_e32 v116, v28
	v_fmac_f32_e32 v29, 0x32a5705f, v25
	v_sub_f32_e32 v28, v28, v116
	v_add_f32_e32 v28, v28, v29
	v_exp_f32_e32 v28, v28
	v_cvt_i32_f32_e32 v29, v116
	v_cmp_ngt_f32_e32 vcc, s60, v25
	v_ldexp_f32 v28, v28, v29
	s_nop 0
	v_cndmask_b32_e32 v28, 0, v28, vcc
	v_cmp_nlt_f32_e32 vcc, s61, v25
	s_nop 1
	v_cndmask_b32_e32 v25, v252, v28, vcc
	v_add_f32_e32 v28, v25, v27
	v_sub_f32_e32 v27, v194, v91
	v_mul_f32_e32 v29, 0x3fb8aa3b, v27
	v_fma_f32 v116, v27, s39, -v29
	v_rndne_f32_e32 v117, v29
	v_fmac_f32_e32 v116, 0x32a5705f, v27
	v_sub_f32_e32 v29, v29, v117
	v_add_f32_e32 v29, v29, v116
	v_exp_f32_e32 v29, v29
	v_cvt_i32_f32_e32 v116, v117
	v_cmp_ngt_f32_e32 vcc, s60, v27
	v_ldexp_f32 v29, v29, v116
	s_nop 0
	v_cndmask_b32_e32 v29, 0, v29, vcc
	v_cmp_nlt_f32_e32 vcc, s61, v27
	s_nop 1
	v_cndmask_b32_e32 v27, v252, v29, vcc
	v_add_f32_e32 v29, v27, v28
	v_sub_f32_e32 v28, v195, v91
	v_mul_f32_e32 v116, 0x3fb8aa3b, v28
	v_fma_f32 v117, v28, s39, -v116
	v_rndne_f32_e32 v118, v116
	v_fmac_f32_e32 v117, 0x32a5705f, v28
	v_sub_f32_e32 v116, v116, v118
	v_add_f32_e32 v116, v116, v117
	v_exp_f32_e32 v116, v116
	v_cvt_i32_f32_e32 v117, v118
	v_cmp_ngt_f32_e32 vcc, s60, v28
	v_lshl_add_u64 v[194:195], v[42:43], 0, v[78:79]
	v_lshl_add_u64 v[42:43], v[42:43], 0, s[64:65]
	v_ldexp_f32 v116, v116, v117
	v_cndmask_b32_e32 v116, 0, v116, vcc
	v_cmp_nlt_f32_e32 vcc, s61, v28
	s_nop 1
	v_cndmask_b32_e32 v28, v252, v116, vcc
	v_sub_f32_e32 v116, v196, v91
	v_mul_f32_e32 v117, 0x3fb8aa3b, v116
	v_fma_f32 v118, v116, s39, -v117
	v_rndne_f32_e32 v119, v117
	v_fmac_f32_e32 v118, 0x32a5705f, v116
	v_sub_f32_e32 v117, v117, v119
	v_add_f32_e32 v117, v117, v118
	v_exp_f32_e32 v117, v117
	v_cvt_i32_f32_e32 v118, v119
	v_cmp_ngt_f32_e32 vcc, s60, v116
	v_add_f32_e32 v29, v28, v29
	v_ldexp_f32 v117, v117, v118
	v_cndmask_b32_e32 v117, 0, v117, vcc
	v_cmp_nlt_f32_e32 vcc, s61, v116
	s_nop 1
	v_cndmask_b32_e32 v214, v252, v117, vcc
	v_add_f32_e32 v116, v214, v29
	v_sub_f32_e32 v29, v30, v91
	v_mul_f32_e32 v30, 0x3fb8aa3b, v29
	v_fma_f32 v117, v29, s39, -v30
	v_rndne_f32_e32 v118, v30
	v_fmac_f32_e32 v117, 0x32a5705f, v29
	v_sub_f32_e32 v30, v30, v118
	v_add_f32_e32 v30, v30, v117
	v_exp_f32_e32 v30, v30
	v_cvt_i32_f32_e32 v117, v118
	v_cmp_ngt_f32_e32 vcc, s60, v29
	v_ldexp_f32 v30, v30, v117
	s_nop 0
	v_cndmask_b32_e32 v30, 0, v30, vcc
	v_cmp_nlt_f32_e32 vcc, s61, v29
	s_nop 1
	v_cndmask_b32_e32 v29, v252, v30, vcc
	v_add_f32_e32 v30, v29, v116
	v_mul_f32_e32 v116, 0x3fb8aa3b, v31
	v_fma_f32 v117, v31, s39, -v116
	v_rndne_f32_e32 v118, v116
	v_fmac_f32_e32 v117, 0x32a5705f, v31
	v_sub_f32_e32 v116, v116, v118
	v_add_f32_e32 v116, v116, v117
	v_exp_f32_e32 v116, v116
	v_cvt_i32_f32_e32 v117, v118
	v_cmp_ngt_f32_e32 vcc, s60, v31
	v_lshl_add_u64 v[118:119], v[40:41], 0, v[78:79]
	v_lshl_add_u64 v[40:41], v[40:41], 0, s[64:65]
	v_ldexp_f32 v116, v116, v117
	v_cndmask_b32_e32 v116, 0, v116, vcc
	v_cmp_nlt_f32_e32 vcc, s61, v31
	v_sub_f32_e32 v31, v32, v91
	v_mul_f32_e32 v32, 0x3fb8aa3b, v31
	v_cndmask_b32_e32 v215, v252, v116, vcc
	v_fma_f32 v116, v31, s39, -v32
	v_rndne_f32_e32 v117, v32
	v_fmac_f32_e32 v116, 0x32a5705f, v31
	v_sub_f32_e32 v32, v32, v117
	v_add_f32_e32 v32, v32, v116
	v_exp_f32_e32 v32, v32
	v_cvt_i32_f32_e32 v116, v117
	v_cmp_ngt_f32_e32 vcc, s60, v31
	v_add_f32_e32 v30, v215, v30
	v_ldexp_f32 v32, v32, v116
	v_cndmask_b32_e32 v32, 0, v32, vcc
	v_cmp_nlt_f32_e32 vcc, s61, v31
	v_sub_f32_e32 v31, v33, v91
	s_nop 0
	v_cndmask_b32_e32 v216, v252, v32, vcc
	v_mul_f32_e32 v32, 0x3fb8aa3b, v31
	v_fma_f32 v33, v31, s39, -v32
	v_rndne_f32_e32 v116, v32
	v_fmac_f32_e32 v33, 0x32a5705f, v31
	v_sub_f32_e32 v32, v32, v116
	v_add_f32_e32 v32, v32, v33
	v_exp_f32_e32 v32, v32
	v_cvt_i32_f32_e32 v33, v116
	v_cmp_ngt_f32_e32 vcc, s60, v31
	v_add_f32_e32 v30, v216, v30
	v_lshl_add_u64 v[116:117], v[38:39], 0, v[78:79]
	v_ldexp_f32 v32, v32, v33
	v_cndmask_b32_e32 v32, 0, v32, vcc
	v_cmp_nlt_f32_e32 vcc, s61, v31
	v_lshl_add_u64 v[38:39], v[38:39], 0, s[64:65]
	s_nop 0
	v_cndmask_b32_e32 v217, v252, v32, vcc
	v_add_f32_e32 v150, v217, v30
	v_sub_f32_e32 v30, v200, v91
	v_mul_f32_e32 v31, 0x3fb8aa3b, v30
	v_fma_f32 v32, v30, s39, -v31
	v_rndne_f32_e32 v33, v31
	v_fmac_f32_e32 v32, 0x32a5705f, v30
	v_sub_f32_e32 v31, v31, v33
	v_add_f32_e32 v31, v31, v32
	v_exp_f32_e32 v31, v31
	v_cvt_i32_f32_e32 v32, v33
	v_cmp_ngt_f32_e32 vcc, s60, v30
	v_ldexp_f32 v31, v31, v32
	s_nop 0
	v_cndmask_b32_e32 v31, 0, v31, vcc
	v_cmp_nlt_f32_e32 vcc, s61, v30
	s_nop 1
	v_cndmask_b32_e32 v31, v252, v31, vcc
	v_cmp_le_f32_e32 vcc, s30, v30
	s_nop 1
	v_cndmask_b32_e32 v30, 0, v31, vcc
	v_fmac_f32_e32 v150, v197, v30
	v_cvt_f16_f32_e32 v30, v30
	v_mul_u32_u24_e32 v32, 0x10001, v30
	v_pk_mul_f16 v31, v213, v32
	v_pk_mul_f16 v30, v212, v32
	;; [unrolled: 1-line block ×16, first 2 shown]
	v_lshl_add_u64 v[32:33], v[36:37], 0, v[78:79]
	global_load_dwordx4 v[146:149], v[32:33], off
	v_cvt_f32_f16_e32 v218, v205
	v_cvt_f32_f16_sdwa v219, v205 dst_sel:DWORD dst_unused:UNUSED_PAD src0_sel:WORD_1
	v_cvt_f32_f16_e32 v220, v203
	v_cvt_f32_f16_sdwa v221, v203 dst_sel:DWORD dst_unused:UNUSED_PAD src0_sel:WORD_1
	v_lshl_add_u64 v[36:37], v[36:37], 0, s[64:65]
	s_waitcnt vmcnt(0)
	ds_write_b128 v171, v[146:149]
	global_load_dwordx4 v[146:149], v[116:117], off
	s_waitcnt vmcnt(0)
	ds_write_b128 v228, v[146:149]
	global_load_dwordx4 v[146:149], v[118:119], off
	;; [unrolled: 3-line block ×3, first 2 shown]
	s_waitcnt vmcnt(0)
	ds_write_b128 v230, v[146:149]
	s_waitcnt lgkmcnt(0)
	s_barrier
	ds_read_u16 v32, v179 offset:272
	ds_read_u16 v33, v179 offset:544
	v_cvt_f32_f16_e32 v148, v30
	v_cvt_f32_f16_sdwa v149, v30 dst_sel:DWORD dst_unused:UNUSED_PAD src0_sel:WORD_1
	ds_read_u16 v30, v181
	ds_read_u16 v116, v181 offset:32
	v_cvt_f32_f16_e32 v146, v31
	v_cvt_f32_f16_sdwa v147, v31 dst_sel:DWORD dst_unused:UNUSED_PAD src0_sel:WORD_1
	v_cvt_pk_f16_f32 v31, v20, v22
	s_waitcnt lgkmcnt(1)
	v_perm_b32 v33, v30, v33, s47
	ds_read_u16 v30, v179
	ds_read_u16 v117, v179 offset:32
	s_waitcnt lgkmcnt(1)
	v_perm_b32 v32, v32, v30, s47
	v_cvt_pk_f16_f32 v30, v18, v19
	s_nop 1
	v_mfma_f32_16x16x16_f16 v[146:149], v[32:33], v[30:31], v[146:149]
	ds_read_u16 v32, v179 offset:4352
	ds_read_u16 v33, v179 offset:4624
	;; [unrolled: 1-line block ×4, first 2 shown]
	s_nop 3
	v_cvt_f16_f32_e32 v18, v146
	v_cvt_f16_f32_e32 v19, v147
	;; [unrolled: 1-line block ×4, first 2 shown]
	v_cvt_f32_f16_e32 v146, v18
	v_cvt_f32_f16_e32 v147, v19
	s_waitcnt lgkmcnt(0)
	v_perm_b32 v19, v119, v118, s47
	v_perm_b32 v18, v33, v32, s47
	v_cvt_f32_f16_e32 v148, v20
	v_cvt_f32_f16_e32 v149, v22
	v_cvt_pk_f16_f32 v33, v24, v26
	v_cvt_pk_f16_f32 v32, v21, v23
	ds_read_u16 v22, v179 offset:8704
	ds_read_u16 v24, v179 offset:8976
	;; [unrolled: 1-line block ×4, first 2 shown]
	v_mfma_f32_16x16x16_f16 v[18:21], v[18:19], v[32:33], v[146:149]
	s_waitcnt lgkmcnt(2)
	v_perm_b32 v22, v24, v22, s47
	s_waitcnt lgkmcnt(0)
	v_perm_b32 v23, v26, v23, s47
	v_cvt_pk_f16_f32 v147, v28, v214
	s_nop 2
	v_cvt_f16_f32_e32 v18, v18
	v_cvt_f16_f32_e32 v19, v19
	v_cvt_f16_f32_e32 v20, v20
	v_cvt_f16_f32_e32 v21, v21
	v_cvt_f32_f16_e32 v18, v18
	v_cvt_f32_f16_e32 v19, v19
	;; [unrolled: 1-line block ×4, first 2 shown]
	v_cvt_pk_f16_f32 v146, v25, v27
	v_cvt_pk_f16_f32 v149, v216, v217
	;; [unrolled: 1-line block ×3, first 2 shown]
	v_mfma_f32_16x16x16_f16 v[18:21], v[22:23], v[146:147], v[18:21]
	ds_read_u16 v22, v179 offset:13056
	ds_read_u16 v24, v179 offset:13328
	;; [unrolled: 1-line block ×6, first 2 shown]
	v_cvt_f32_f16_e32 v214, v208
	s_nop 0
	v_cvt_f16_f32_e32 v18, v18
	v_cvt_f16_f32_e32 v19, v19
	;; [unrolled: 1-line block ×4, first 2 shown]
	s_waitcnt lgkmcnt(2)
	v_perm_b32 v23, v25, v23, s47
	v_perm_b32 v22, v24, v22, s47
	v_cvt_f32_f16_e32 v18, v18
	v_cvt_f32_f16_e32 v19, v19
	;; [unrolled: 1-line block ×4, first 2 shown]
	s_waitcnt lgkmcnt(0)
	v_perm_b32 v27, v116, v27, s47
	v_perm_b32 v26, v26, v117, s47
	v_mfma_f32_16x16x16_f16 v[18:21], v[22:23], v[148:149], v[18:21]
	v_cvt_f32_f16_e32 v22, v213
	v_cvt_f32_f16_sdwa v23, v213 dst_sel:DWORD dst_unused:UNUSED_PAD src0_sel:WORD_1
	v_cvt_f32_f16_e32 v24, v200
	v_cvt_f32_f16_sdwa v25, v200 dst_sel:DWORD dst_unused:UNUSED_PAD src0_sel:WORD_1
	v_cvt_f32_f16_sdwa v213, v210 dst_sel:DWORD dst_unused:UNUSED_PAD src0_sel:WORD_1
	;; [unrolled: 1-line block ×3, first 2 shown]
	v_mfma_f32_16x16x16_f16 v[22:25], v[26:27], v[30:31], v[22:25]
	ds_read_u16 v26, v179 offset:4384
	ds_read_u16 v28, v179 offset:4656
	ds_read_u16 v27, v179 offset:4928
	ds_read_u16 v29, v181 offset:4384
	v_cvt_f32_f16_e32 v216, v206
	v_cvt_f32_f16_sdwa v217, v206 dst_sel:DWORD dst_unused:UNUSED_PAD src0_sel:WORD_1
	s_nop 1
	v_cvt_f16_f32_e32 v22, v22
	v_cvt_f16_f32_e32 v23, v23
	v_cvt_f16_f32_e32 v24, v24
	v_cvt_f16_f32_e32 v25, v25
	s_waitcnt lgkmcnt(0)
	v_perm_b32 v27, v29, v27, s47
	v_perm_b32 v26, v28, v26, s47
	v_cvt_f32_f16_e32 v22, v22
	v_cvt_f32_f16_e32 v23, v23
	v_cvt_f32_f16_e32 v24, v24
	v_cvt_f32_f16_e32 v25, v25
	s_nop 1
	v_mfma_f32_16x16x16_f16 v[22:25], v[26:27], v[32:33], v[22:25]
	ds_read_u16 v26, v179 offset:8736
	ds_read_u16 v28, v179 offset:9008
	;; [unrolled: 1-line block ×4, first 2 shown]
	s_nop 3
	v_cvt_f16_f32_e32 v22, v22
	v_cvt_f16_f32_e32 v23, v23
	;; [unrolled: 1-line block ×4, first 2 shown]
	s_waitcnt lgkmcnt(0)
	v_perm_b32 v27, v29, v27, s47
	v_perm_b32 v26, v28, v26, s47
	v_cvt_f32_f16_e32 v22, v22
	v_cvt_f32_f16_e32 v23, v23
	v_cvt_f32_f16_e32 v24, v24
	v_cvt_f32_f16_e32 v25, v25
	s_nop 1
	v_mfma_f32_16x16x16_f16 v[22:25], v[26:27], v[146:147], v[22:25]
	ds_read_u16 v26, v179 offset:13088
	ds_read_u16 v28, v179 offset:13360
	;; [unrolled: 1-line block ×8, first 2 shown]
	v_cvt_f16_f32_e32 v22, v22
	v_cvt_f16_f32_e32 v23, v23
	;; [unrolled: 1-line block ×4, first 2 shown]
	s_waitcnt lgkmcnt(4)
	v_perm_b32 v27, v29, v27, s47
	v_perm_b32 v26, v28, v26, s47
	v_cvt_f32_f16_e32 v22, v22
	v_cvt_f32_f16_e32 v23, v23
	;; [unrolled: 1-line block ×4, first 2 shown]
	s_waitcnt lgkmcnt(0)
	v_perm_b32 v117, v119, v117, s47
	v_perm_b32 v116, v118, v116, s47
	v_mfma_f32_16x16x16_f16 v[22:25], v[26:27], v[148:149], v[22:25]
	v_cvt_f32_f16_e32 v26, v212
	v_cvt_f32_f16_sdwa v27, v212 dst_sel:DWORD dst_unused:UNUSED_PAD src0_sel:WORD_1
	v_cvt_f32_f16_e32 v28, v211
	v_cvt_f32_f16_sdwa v29, v211 dst_sel:DWORD dst_unused:UNUSED_PAD src0_sel:WORD_1
	v_cvt_f32_f16_e32 v212, v210
	s_nop 0
	v_mfma_f32_16x16x16_f16 v[26:29], v[116:117], v[30:31], v[26:29]
	ds_read_u16 v116, v179 offset:4416
	ds_read_u16 v118, v179 offset:4688
	ds_read_u16 v117, v179 offset:4960
	ds_read_u16 v119, v181 offset:4416
	s_nop 3
	v_cvt_f16_f32_e32 v26, v26
	v_cvt_f16_f32_e32 v27, v27
	v_cvt_f16_f32_e32 v28, v28
	v_cvt_f16_f32_e32 v29, v29
	s_waitcnt lgkmcnt(0)
	v_perm_b32 v117, v119, v117, s47
	v_perm_b32 v116, v118, v116, s47
	v_cvt_f32_f16_e32 v26, v26
	v_cvt_f32_f16_e32 v27, v27
	v_cvt_f32_f16_e32 v28, v28
	v_cvt_f32_f16_e32 v29, v29
	s_nop 1
	v_mfma_f32_16x16x16_f16 v[26:29], v[116:117], v[32:33], v[26:29]
	ds_read_u16 v116, v179 offset:8768
	ds_read_u16 v118, v179 offset:9040
	ds_read_u16 v117, v179 offset:9312
	ds_read_u16 v119, v181 offset:8768
	s_nop 3
	v_cvt_f16_f32_e32 v26, v26
	v_cvt_f16_f32_e32 v27, v27
	v_cvt_f16_f32_e32 v28, v28
	v_cvt_f16_f32_e32 v29, v29
	s_waitcnt lgkmcnt(0)
	v_perm_b32 v117, v119, v117, s47
	v_perm_b32 v116, v118, v116, s47
	v_cvt_f32_f16_e32 v26, v26
	v_cvt_f32_f16_e32 v27, v27
	v_cvt_f32_f16_e32 v28, v28
	v_cvt_f32_f16_e32 v29, v29
	s_nop 1
	v_mfma_f32_16x16x16_f16 v[26:29], v[116:117], v[146:147], v[26:29]
	ds_read_u16 v116, v179 offset:13120
	ds_read_u16 v118, v179 offset:13392
	ds_read_u16 v117, v179 offset:13664
	ds_read_u16 v119, v181 offset:13120
	s_nop 3
	v_cvt_f16_f32_e32 v26, v26
	v_cvt_f16_f32_e32 v27, v27
	v_cvt_f16_f32_e32 v28, v28
	v_cvt_f16_f32_e32 v29, v29
	s_waitcnt lgkmcnt(0)
	v_perm_b32 v117, v119, v117, s47
	v_perm_b32 v116, v118, v116, s47
	v_cvt_f32_f16_e32 v26, v26
	v_cvt_f32_f16_e32 v27, v27
	v_cvt_f32_f16_e32 v28, v28
	v_cvt_f32_f16_e32 v29, v29
	s_nop 1
	v_mfma_f32_16x16x16_f16 v[26:29], v[116:117], v[148:149], v[26:29]
	ds_read_u16 v116, v179 offset:96
	ds_read_u16 v118, v179 offset:368
	;; [unrolled: 1-line block ×8, first 2 shown]
	s_waitcnt lgkmcnt(6)
	v_perm_b32 v116, v118, v116, s47
	v_cvt_pk_f16_f32 v208, v26, v27
	s_waitcnt lgkmcnt(4)
	v_perm_b32 v117, v119, v117, s47
	s_nop 1
	v_mfma_f32_16x16x16_f16 v[210:213], v[116:117], v[30:31], v[212:215]
	s_nop 2
	v_cvt_f32_f16_e32 v214, v207
	v_cvt_f32_f16_sdwa v215, v207 dst_sel:DWORD dst_unused:UNUSED_PAD src0_sel:WORD_1
	s_nop 2
	v_cvt_f16_f32_e32 v116, v210
	v_cvt_f16_f32_e32 v117, v211
	;; [unrolled: 1-line block ×4, first 2 shown]
	v_cvt_f32_f16_e32 v210, v116
	v_cvt_f32_f16_e32 v211, v117
	s_waitcnt lgkmcnt(0)
	v_perm_b32 v117, v200, v196, s47
	v_perm_b32 v116, v195, v194, s47
	v_cvt_f32_f16_e32 v212, v118
	v_cvt_f32_f16_e32 v213, v119
	ds_read_u16 v194, v179 offset:8800
	ds_read_u16 v195, v179 offset:9072
	;; [unrolled: 1-line block ×4, first 2 shown]
	v_mfma_f32_16x16x16_f16 v[210:213], v[116:117], v[32:33], v[210:213]
	v_cvt_pk_f16_f32 v207, v28, v29
	s_nop 6
	v_cvt_f16_f32_e32 v116, v210
	v_cvt_f16_f32_e32 v117, v211
	;; [unrolled: 1-line block ×4, first 2 shown]
	v_cvt_f32_f16_e32 v210, v116
	v_cvt_f32_f16_e32 v211, v117
	s_waitcnt lgkmcnt(0)
	v_perm_b32 v117, v200, v196, s47
	v_perm_b32 v116, v195, v194, s47
	v_cvt_f32_f16_e32 v212, v118
	v_cvt_f32_f16_e32 v213, v119
	ds_read_u16 v194, v179 offset:13152
	ds_read_u16 v195, v179 offset:13424
	;; [unrolled: 1-line block ×4, first 2 shown]
	v_mfma_f32_16x16x16_f16 v[210:213], v[116:117], v[146:147], v[210:213]
	s_nop 7
	v_cvt_f16_f32_e32 v116, v210
	v_cvt_f16_f32_e32 v117, v211
	;; [unrolled: 1-line block ×4, first 2 shown]
	v_cvt_f32_f16_e32 v210, v116
	v_cvt_f32_f16_e32 v211, v117
	s_waitcnt lgkmcnt(0)
	v_perm_b32 v117, v200, v196, s47
	v_perm_b32 v116, v195, v194, s47
	v_cvt_f32_f16_e32 v212, v118
	v_cvt_f32_f16_e32 v213, v119
	s_nop 1
	v_mfma_f32_16x16x16_f16 v[210:213], v[116:117], v[148:149], v[210:213]
	ds_read_u16 v116, v179 offset:128
	ds_read_u16 v118, v179 offset:400
	;; [unrolled: 1-line block ×8, first 2 shown]
	s_waitcnt lgkmcnt(6)
	v_perm_b32 v116, v118, v116, s47
	v_cvt_pk_f16_f32 v206, v210, v211
	s_waitcnt lgkmcnt(4)
	v_perm_b32 v117, v119, v117, s47
	v_cvt_pk_f16_f32 v211, v22, v23
	v_cvt_pk_f16_f32 v210, v24, v25
	v_mfma_f32_16x16x16_f16 v[214:217], v[116:117], v[30:31], v[214:217]
	s_nop 7
	v_cvt_f16_f32_e32 v116, v214
	v_cvt_f16_f32_e32 v117, v215
	;; [unrolled: 1-line block ×4, first 2 shown]
	v_cvt_f32_f16_e32 v214, v116
	v_cvt_f32_f16_e32 v215, v117
	s_waitcnt lgkmcnt(0)
	v_perm_b32 v117, v200, v196, s47
	v_perm_b32 v116, v195, v194, s47
	v_cvt_f32_f16_e32 v216, v118
	v_cvt_f32_f16_e32 v217, v119
	ds_read_u16 v194, v179 offset:8832
	ds_read_u16 v195, v179 offset:9104
	;; [unrolled: 1-line block ×4, first 2 shown]
	v_mfma_f32_16x16x16_f16 v[214:217], v[116:117], v[32:33], v[214:217]
	s_nop 7
	v_cvt_f16_f32_e32 v116, v214
	v_cvt_f16_f32_e32 v117, v215
	v_cvt_f16_f32_e32 v118, v216
	v_cvt_f16_f32_e32 v119, v217
	v_cvt_f32_f16_e32 v214, v116
	v_cvt_f32_f16_e32 v215, v117
	s_waitcnt lgkmcnt(0)
	v_perm_b32 v117, v200, v196, s47
	v_perm_b32 v116, v195, v194, s47
	v_cvt_f32_f16_e32 v216, v118
	v_cvt_f32_f16_e32 v217, v119
	ds_read_u16 v194, v179 offset:13184
	ds_read_u16 v195, v179 offset:13456
	;; [unrolled: 1-line block ×4, first 2 shown]
	v_mfma_f32_16x16x16_f16 v[214:217], v[116:117], v[146:147], v[214:217]
	s_nop 7
	v_cvt_f16_f32_e32 v116, v214
	v_cvt_f16_f32_e32 v117, v215
	;; [unrolled: 1-line block ×4, first 2 shown]
	v_cvt_f32_f16_e32 v214, v116
	v_cvt_f32_f16_e32 v215, v117
	s_waitcnt lgkmcnt(0)
	v_perm_b32 v117, v200, v196, s47
	v_perm_b32 v116, v195, v194, s47
	v_cvt_f32_f16_e32 v216, v118
	v_cvt_f32_f16_e32 v217, v119
	s_nop 1
	v_mfma_f32_16x16x16_f16 v[214:217], v[116:117], v[148:149], v[214:217]
	ds_read_u16 v116, v179 offset:160
	ds_read_u16 v118, v179 offset:432
	;; [unrolled: 1-line block ×8, first 2 shown]
	s_waitcnt lgkmcnt(6)
	v_perm_b32 v116, v118, v116, s47
	s_waitcnt lgkmcnt(4)
	v_perm_b32 v117, v119, v117, s47
	s_nop 1
	v_mfma_f32_16x16x16_f16 v[218:221], v[116:117], v[30:31], v[218:221]
	s_nop 7
	v_cvt_f16_f32_e32 v116, v218
	v_cvt_f16_f32_e32 v117, v219
	;; [unrolled: 1-line block ×4, first 2 shown]
	v_cvt_f32_f16_e32 v218, v116
	v_cvt_f32_f16_e32 v219, v117
	s_waitcnt lgkmcnt(0)
	v_perm_b32 v117, v200, v196, s47
	v_perm_b32 v116, v195, v194, s47
	v_cvt_f32_f16_e32 v220, v118
	v_cvt_f32_f16_e32 v221, v119
	ds_read_u16 v194, v179 offset:8864
	ds_read_u16 v195, v179 offset:9136
	;; [unrolled: 1-line block ×4, first 2 shown]
	v_mfma_f32_16x16x16_f16 v[218:221], v[116:117], v[32:33], v[218:221]
	s_nop 7
	v_cvt_f16_f32_e32 v116, v218
	v_cvt_f16_f32_e32 v117, v219
	v_cvt_f16_f32_e32 v118, v220
	v_cvt_f16_f32_e32 v119, v221
	v_cvt_f32_f16_e32 v218, v116
	v_cvt_f32_f16_e32 v219, v117
	s_waitcnt lgkmcnt(0)
	v_perm_b32 v117, v200, v196, s47
	v_perm_b32 v116, v195, v194, s47
	v_cvt_f32_f16_e32 v220, v118
	v_cvt_f32_f16_e32 v221, v119
	ds_read_u16 v194, v179 offset:13216
	ds_read_u16 v195, v179 offset:13488
	;; [unrolled: 1-line block ×4, first 2 shown]
	v_mfma_f32_16x16x16_f16 v[218:221], v[116:117], v[146:147], v[218:221]
	s_nop 7
	v_cvt_f16_f32_e32 v116, v218
	v_cvt_f16_f32_e32 v117, v219
	;; [unrolled: 1-line block ×4, first 2 shown]
	v_cvt_f32_f16_e32 v218, v116
	v_cvt_f32_f16_e32 v219, v117
	s_waitcnt lgkmcnt(0)
	v_perm_b32 v117, v200, v196, s47
	v_perm_b32 v116, v195, v194, s47
	ds_read_u16 v194, v179 offset:192
	ds_read_u16 v196, v179 offset:464
	;; [unrolled: 1-line block ×4, first 2 shown]
	v_cvt_f32_f16_e32 v220, v118
	v_cvt_f32_f16_e32 v221, v119
	s_waitcnt lgkmcnt(2)
	v_perm_b32 v194, v196, v194, s47
	v_cvt_f32_f16_e32 v118, v153
	s_waitcnt lgkmcnt(0)
	v_perm_b32 v195, v200, v195, s47
	v_mfma_f32_16x16x16_f16 v[218:221], v[116:117], v[148:149], v[218:221]
	v_cvt_f32_f16_e32 v116, v197
	v_cvt_f32_f16_sdwa v117, v197 dst_sel:DWORD dst_unused:UNUSED_PAD src0_sel:WORD_1
	v_cvt_f32_f16_sdwa v119, v153 dst_sel:DWORD dst_unused:UNUSED_PAD src0_sel:WORD_1
	;; [unrolled: 1-line block ×3, first 2 shown]
	s_nop 0
	v_mfma_f32_16x16x16_f16 v[116:119], v[194:195], v[30:31], v[116:119]
	ds_read_u16 v153, v179 offset:4544
	ds_read_u16 v194, v179 offset:4816
	;; [unrolled: 1-line block ×4, first 2 shown]
	s_nop 3
	v_cvt_f16_f32_e32 v116, v116
	v_cvt_f16_f32_e32 v117, v117
	;; [unrolled: 1-line block ×4, first 2 shown]
	s_waitcnt lgkmcnt(0)
	v_perm_b32 v195, v196, v195, s47
	v_perm_b32 v194, v194, v153, s47
	v_cvt_f32_f16_e32 v116, v116
	v_cvt_f32_f16_e32 v117, v117
	;; [unrolled: 1-line block ×4, first 2 shown]
	s_nop 1
	v_mfma_f32_16x16x16_f16 v[116:119], v[194:195], v[32:33], v[116:119]
	ds_read_u16 v153, v179 offset:8896
	ds_read_u16 v194, v179 offset:9168
	;; [unrolled: 1-line block ×4, first 2 shown]
	s_nop 3
	v_cvt_f16_f32_e32 v116, v116
	v_cvt_f16_f32_e32 v117, v117
	;; [unrolled: 1-line block ×4, first 2 shown]
	s_waitcnt lgkmcnt(0)
	v_perm_b32 v195, v196, v195, s47
	v_perm_b32 v194, v194, v153, s47
	v_cvt_f32_f16_e32 v116, v116
	v_cvt_f32_f16_e32 v117, v117
	;; [unrolled: 1-line block ×4, first 2 shown]
	s_nop 1
	v_mfma_f32_16x16x16_f16 v[116:119], v[194:195], v[146:147], v[116:119]
	ds_read_u16 v153, v179 offset:13248
	ds_read_u16 v194, v179 offset:13520
	;; [unrolled: 1-line block ×4, first 2 shown]
	s_nop 3
	v_cvt_f16_f32_e32 v116, v116
	v_cvt_f16_f32_e32 v117, v117
	;; [unrolled: 1-line block ×4, first 2 shown]
	s_waitcnt lgkmcnt(0)
	v_perm_b32 v195, v196, v195, s47
	v_perm_b32 v194, v194, v153, s47
	ds_read_u16 v200, v179 offset:224
	ds_read_u16 v203, v179 offset:496
	;; [unrolled: 1-line block ×4, first 2 shown]
	v_cvt_f32_f16_e32 v116, v116
	v_cvt_f32_f16_e32 v117, v117
	;; [unrolled: 1-line block ×4, first 2 shown]
	s_waitcnt lgkmcnt(0)
	v_perm_b32 v153, v205, v153, s47
	v_cvt_f32_f16_e32 v196, v151
	v_mfma_f32_16x16x16_f16 v[116:119], v[194:195], v[148:149], v[116:119]
	v_cvt_f32_f16_e32 v194, v152
	v_cvt_f32_f16_sdwa v195, v152 dst_sel:DWORD dst_unused:UNUSED_PAD src0_sel:WORD_1
	v_perm_b32 v152, v203, v200, s47
	s_nop 1
	v_mfma_f32_16x16x16_f16 v[194:197], v[152:153], v[30:31], v[194:197]
	ds_read_u16 v153, v179 offset:4576
	ds_read_u16 v200, v179 offset:4848
	;; [unrolled: 1-line block ×4, first 2 shown]
	s_nop 3
	v_cvt_f16_f32_e32 v30, v194
	v_cvt_f16_f32_e32 v31, v195
	;; [unrolled: 1-line block ×4, first 2 shown]
	v_cvt_f32_f16_e32 v194, v30
	v_cvt_f32_f16_e32 v195, v31
	s_waitcnt lgkmcnt(0)
	v_perm_b32 v31, v205, v203, s47
	v_perm_b32 v30, v200, v153, s47
	v_cvt_f32_f16_e32 v196, v151
	v_cvt_f32_f16_e32 v197, v152
	v_cvt_pk_f16_f32 v203, v214, v215
	v_cvt_pk_f16_f32 v205, v212, v213
	v_mfma_f32_16x16x16_f16 v[30:33], v[30:31], v[32:33], v[194:197]
	ds_read_u16 v151, v179 offset:8928
	ds_read_u16 v152, v179 offset:9200
	;; [unrolled: 1-line block ×4, first 2 shown]
	v_cvt_pk_f16_f32 v213, v18, v19
	v_cvt_pk_f16_f32 v212, v20, v21
	s_nop 1
	v_cvt_f16_f32_e32 v30, v30
	v_cvt_f16_f32_e32 v31, v31
	;; [unrolled: 1-line block ×4, first 2 shown]
	s_waitcnt lgkmcnt(0)
	v_perm_b32 v153, v194, v153, s47
	v_perm_b32 v152, v152, v151, s47
	v_cvt_f32_f16_e32 v30, v30
	v_cvt_f32_f16_e32 v31, v31
	;; [unrolled: 1-line block ×4, first 2 shown]
	s_nop 1
	v_mfma_f32_16x16x16_f16 v[30:33], v[152:153], v[146:147], v[30:33]
	ds_read_u16 v146, v179 offset:13280
	ds_read_u16 v151, v179 offset:13552
	;; [unrolled: 1-line block ×4, first 2 shown]
	v_cvt_pk_f16_f32 v153, v216, v217
	s_waitcnt lgkmcnt(0)
	s_nop 1
	v_cvt_f16_f32_e32 v30, v30
	v_cvt_f16_f32_e32 v31, v31
	v_cvt_f16_f32_e32 v32, v32
	v_cvt_f16_f32_e32 v33, v33
	v_perm_b32 v147, v152, v147, s47
	v_perm_b32 v146, v151, v146, s47
	v_cvt_f32_f16_e32 v30, v30
	v_cvt_f32_f16_e32 v31, v31
	;; [unrolled: 1-line block ×4, first 2 shown]
	v_cvt_pk_f16_f32 v152, v218, v219
	v_cvt_pk_f16_f32 v151, v220, v221
	v_mfma_f32_16x16x16_f16 v[30:33], v[146:147], v[148:149], v[30:33]
	v_cvt_pk_f16_f32 v149, v116, v117
	v_cvt_pk_f16_f32 v148, v118, v119
	s_barrier
	s_nop 4
	v_cvt_pk_f16_f32 v146, v30, v31
	v_cvt_pk_f16_f32 v147, v32, v33
	s_cbranch_scc1 .LBB24_252
; %bb.253:                              ;   in Loop: Header=BB24_12 Depth=1
	v_readlane_b32 s52, v255, 11
	v_readlane_b32 s53, v255, 12
	s_lshl_b32 s98, s35, 6
	s_mov_b32 s35, s53
	v_writelane_b32 v255, s34, 11
	s_mov_b32 s99, s53
	s_nop 0
	v_writelane_b32 v255, s35, 12
	s_branch .LBB24_255
.LBB24_254:                             ;   in Loop: Header=BB24_12 Depth=1
	v_mov_b32_e32 v91, 0xfeffffff
	v_mov_b32_e32 v150, 0
	s_mov_b64 s[98:99], 0
	v_mov_b32_e32 v212, 0
	v_mov_b32_e32 v213, 0
	;; [unrolled: 1-line block ×16, first 2 shown]
.LBB24_255:                             ;   in Loop: Header=BB24_12 Depth=1
	v_mad_i64_i32 v[18:19], s[52:53], v56, s38, 0
	s_lshl_b64 s[52:53], s[98:99], 1
	s_nop 0
	v_lshl_add_u64 v[20:21], v[142:143], 0, s[52:53]
	v_lshl_add_u64 v[18:19], v[18:19], 1, v[20:21]
	v_lshlrev_b32_e32 v56, 1, v54
	v_lshl_add_u64 v[18:19], v[18:19], 0, v[56:57]
	global_load_dword v18, v[18:19], off
	s_mul_i32 s35, s98, s27
	s_mul_hi_u32 s52, s98, s26
	s_add_i32 s53, s52, s35
	s_mul_i32 s52, s98, s26
	s_lshl_b64 s[52:53], s[52:53], 2
	v_lshlrev_b32_e32 v56, 2, v58
	v_add_u32_e32 v30, 0x1000, v222
	v_add_u32_e32 v34, 0x2000, v222
	;; [unrolled: 1-line block ×3, first 2 shown]
	v_cmp_lt_i32_e32 vcc, v155, v154
	s_mul_i32 s35, s98, s37
	s_waitcnt vmcnt(0)
	ds_write_b32 v59, v18 offset:17408
	v_lshl_add_u64 v[18:19], v[140:141], 0, s[52:53]
	v_lshl_add_u64 v[20:21], v[60:61], 2, v[18:19]
	;; [unrolled: 1-line block ×7, first 2 shown]
	global_load_dwordx4 v[18:21], v[20:21], off
	v_lshl_add_u64 v[22:23], v[22:23], 0, v[56:57]
	v_lshl_add_u64 v[24:25], v[24:25], 0, v[56:57]
	s_mul_hi_u32 s52, s98, s36
	s_add_i32 s53, s52, s35
	s_mul_i32 s52, s98, s36
	s_lshl_b64 s[52:53], s[52:53], 2
	s_waitcnt vmcnt(0)
	ds_write_b128 v171, v[18:21]
	global_load_dwordx4 v[18:21], v[22:23], off
	s_waitcnt vmcnt(0)
	ds_write_b128 v228, v[18:21]
	global_load_dwordx4 v[18:21], v[24:25], off
	;; [unrolled: 3-line block ×3, first 2 shown]
	s_waitcnt vmcnt(0)
	ds_write_b128 v230, v[18:21]
	s_waitcnt lgkmcnt(0)
	s_barrier
	ds_read2_b64 v[18:21], v222 offset1:4
	s_waitcnt lgkmcnt(0)
	v_mfma_f32_16x16x16_f16 v[22:25], v[18:19], v[14:15], 0
	v_mfma_f32_16x16x16_f16 v[18:21], v[20:21], v[16:17], v[22:25]
	s_nop 6
	ds_read2_b64 v[22:25], v222 offset0:8 offset1:12
	s_waitcnt lgkmcnt(0)
	v_mfma_f32_16x16x16_f16 v[18:21], v[22:23], v[10:11], v[18:21]
	v_mfma_f32_16x16x16_f16 v[18:21], v[24:25], v[12:13], v[18:21]
	ds_read2_b64 v[22:25], v222 offset0:16 offset1:20
	s_waitcnt lgkmcnt(0)
	v_mfma_f32_16x16x16_f16 v[18:21], v[22:23], v[6:7], v[18:21]
	v_mfma_f32_16x16x16_f16 v[18:21], v[24:25], v[8:9], v[18:21]
	;; [unrolled: 4-line block ×3, first 2 shown]
	s_nop 6
	ds_read2_b64 v[18:21], v30 offset0:32 offset1:36
	s_waitcnt lgkmcnt(0)
	v_mfma_f32_16x16x16_f16 v[22:25], v[18:19], v[14:15], 0
	v_mfma_f32_16x16x16_f16 v[18:21], v[20:21], v[16:17], v[22:25]
	s_nop 6
	ds_read2_b64 v[22:25], v30 offset0:40 offset1:44
	s_waitcnt lgkmcnt(0)
	v_mfma_f32_16x16x16_f16 v[18:21], v[22:23], v[10:11], v[18:21]
	v_mfma_f32_16x16x16_f16 v[18:21], v[24:25], v[12:13], v[18:21]
	ds_read2_b64 v[22:25], v30 offset0:48 offset1:52
	s_waitcnt lgkmcnt(0)
	v_mfma_f32_16x16x16_f16 v[18:21], v[22:23], v[6:7], v[18:21]
	v_mfma_f32_16x16x16_f16 v[18:21], v[24:25], v[8:9], v[18:21]
	;; [unrolled: 4-line block ×4, first 2 shown]
	s_nop 6
	ds_read2_b64 v[30:33], v34 offset0:72 offset1:76
	s_waitcnt lgkmcnt(0)
	v_mfma_f32_16x16x16_f16 v[22:25], v[30:31], v[10:11], v[22:25]
	v_mfma_f32_16x16x16_f16 v[22:25], v[32:33], v[12:13], v[22:25]
	ds_read2_b64 v[30:33], v34 offset0:80 offset1:84
	s_waitcnt lgkmcnt(0)
	v_mfma_f32_16x16x16_f16 v[22:25], v[30:31], v[6:7], v[22:25]
	v_mfma_f32_16x16x16_f16 v[22:25], v[32:33], v[8:9], v[22:25]
	;; [unrolled: 4-line block ×4, first 2 shown]
	ds_read2_b64 v[30:33], v38 offset0:104 offset1:108
	s_waitcnt lgkmcnt(0)
	v_mfma_f32_16x16x16_f16 v[14:17], v[30:31], v[10:11], v[14:17]
	s_nop 3
	v_add_u32_e32 v37, v178, v180
	v_mfma_f32_16x16x16_f16 v[10:13], v[32:33], v[12:13], v[14:17]
	s_nop 2
	ds_read2_b64 v[14:17], v38 offset0:112 offset1:116
	s_waitcnt lgkmcnt(0)
	v_mfma_f32_16x16x16_f16 v[10:13], v[14:15], v[6:7], v[10:13]
	v_mfma_f32_16x16x16_f16 v[6:9], v[16:17], v[8:9], v[10:13]
	s_nop 6
	ds_read2_b64 v[10:13], v38 offset0:120 offset1:124
	s_waitcnt lgkmcnt(0)
	v_mfma_f32_16x16x16_f16 v[6:9], v[10:11], v[2:3], v[6:9]
	s_barrier
	v_mfma_f32_16x16x16_f16 v[2:5], v[12:13], v[4:5], v[6:9]
	s_nop 5
	ds_read_b32 v6, v177 offset:17408
	s_waitcnt lgkmcnt(0)
	v_cvt_f32_f16_e32 v7, v6
	v_cvt_f32_f16_sdwa v6, v6 dst_sel:DWORD dst_unused:UNUSED_PAD src0_sel:WORD_1
	v_add_f32_e32 v17, v26, v7
	v_add_f32_e32 v26, v27, v6
	ds_read_b32 v6, v176 offset:17408
	s_waitcnt lgkmcnt(0)
	v_cvt_f32_f16_e32 v7, v6
	v_cvt_f32_f16_sdwa v6, v6 dst_sel:DWORD dst_unused:UNUSED_PAD src0_sel:WORD_1
	v_add_f32_e32 v27, v28, v7
	v_add_f32_e32 v16, v29, v6
	v_add_u32_e32 v6, 0x4400, v231
	ds_read2_b32 v[6:7], v6 offset1:1
	s_waitcnt lgkmcnt(0)
	v_cvt_f32_f16_e32 v8, v6
	v_cvt_f32_f16_sdwa v6, v6 dst_sel:DWORD dst_unused:UNUSED_PAD src0_sel:WORD_1
	v_add_f32_e32 v29, v18, v8
	v_add_f32_e32 v15, v19, v6
	v_cvt_f32_f16_e32 v6, v7
	v_cvt_f32_f16_sdwa v7, v7 dst_sel:DWORD dst_unused:UNUSED_PAD src0_sel:WORD_1
	v_add_f32_e32 v14, v20, v6
	v_add_u32_e32 v6, 0x4400, v232
	v_add_f32_e32 v13, v21, v7
	ds_read2_b32 v[6:7], v6 offset1:1
	s_waitcnt lgkmcnt(0)
	v_cvt_f32_f16_e32 v8, v6
	v_cvt_f32_f16_sdwa v6, v6 dst_sel:DWORD dst_unused:UNUSED_PAD src0_sel:WORD_1
	v_add_f32_e32 v12, v22, v8
	v_add_f32_e32 v10, v23, v6
	v_cvt_f32_f16_e32 v6, v7
	v_cvt_f32_f16_sdwa v7, v7 dst_sel:DWORD dst_unused:UNUSED_PAD src0_sel:WORD_1
	v_add_f32_e32 v9, v24, v6
	v_add_u32_e32 v6, 0x4400, v233
	v_add_f32_e32 v8, v25, v7
	ds_read2_b32 v[6:7], v6 offset1:1
	s_waitcnt lgkmcnt(0)
	v_cvt_f32_f16_e32 v11, v6
	v_cvt_f32_f16_sdwa v6, v6 dst_sel:DWORD dst_unused:UNUSED_PAD src0_sel:WORD_1
	v_add_f32_e32 v11, v2, v11
	v_add_f32_e32 v2, v3, v6
	v_cvt_f32_f16_e32 v3, v7
	v_cvt_f32_f16_sdwa v6, v7 dst_sel:DWORD dst_unused:UNUSED_PAD src0_sel:WORD_1
	v_add_f32_e32 v7, 0x40051340, v16
	v_add_f32_e32 v4, v4, v3
	;; [unrolled: 1-line block ×5, first 2 shown]
	v_max3_f32 v5, v91, v5, v6
	v_add_f32_e32 v6, 0x40051340, v27
	v_max3_f32 v5, v5, v6, v7
	v_add_f32_e32 v6, 0x40051340, v29
	v_add_f32_e32 v7, 0x40051340, v15
	v_max3_f32 v5, v5, v6, v7
	v_add_f32_e32 v6, 0x40051340, v14
	;; [unrolled: 3-line block ×6, first 2 shown]
	v_add_f32_e32 v7, 0x40051340, v3
	v_max3_f32 v5, v5, v6, v7
	v_cndmask_b32_e32 v6, v95, v155, vcc
	v_lshlrev_b32_e32 v28, 2, v6
	ds_bpermute_b32 v6, v28, v5
	v_cmp_lt_i32_e32 vcc, v204, v154
	s_waitcnt lgkmcnt(0)
	v_max_f32_e32 v6, v6, v6
	v_max_f32_e32 v5, v5, v6
	v_cndmask_b32_e32 v6, v95, v204, vcc
	v_lshlrev_b32_e32 v21, 2, v6
	ds_bpermute_b32 v6, v21, v5
	s_waitcnt lgkmcnt(0)
	v_max_f32_e32 v6, v6, v6
	v_max_f32_e32 v20, v5, v6
	v_sub_f32_e32 v5, v17, v20
	v_mul_f32_e32 v6, 0x3fb8aa3b, v5
	v_fma_f32 v7, v5, s39, -v6
	v_rndne_f32_e32 v17, v6
	v_fmac_f32_e32 v7, 0x32a5705f, v5
	v_sub_f32_e32 v6, v6, v17
	v_add_f32_e32 v6, v6, v7
	v_exp_f32_e32 v6, v6
	v_cvt_i32_f32_e32 v7, v17
	v_cmp_ngt_f32_e32 vcc, s60, v5
	v_sub_f32_e32 v16, v16, v20
	v_sub_f32_e32 v15, v15, v20
	v_ldexp_f32 v6, v6, v7
	v_cndmask_b32_e32 v6, 0, v6, vcc
	v_cmp_nlt_f32_e32 vcc, s61, v5
	v_sub_f32_e32 v5, v26, v20
	v_mul_f32_e32 v7, 0x3fb8aa3b, v5
	v_fma_f32 v17, v5, s39, -v7
	v_rndne_f32_e32 v18, v7
	v_fmac_f32_e32 v17, 0x32a5705f, v5
	v_sub_f32_e32 v7, v7, v18
	v_add_f32_e32 v7, v7, v17
	v_exp_f32_e32 v7, v7
	v_cvt_i32_f32_e32 v17, v18
	v_cndmask_b32_e32 v6, v252, v6, vcc
	v_cmp_ngt_f32_e32 vcc, s60, v5
	v_sub_f32_e32 v14, v14, v20
	v_ldexp_f32 v7, v7, v17
	v_sub_f32_e32 v17, v27, v20
	v_mul_f32_e32 v18, 0x3fb8aa3b, v17
	v_fma_f32 v19, v17, s39, -v18
	v_rndne_f32_e32 v22, v18
	v_fmac_f32_e32 v19, 0x32a5705f, v17
	v_sub_f32_e32 v18, v18, v22
	v_add_f32_e32 v18, v18, v19
	v_exp_f32_e32 v18, v18
	v_cvt_i32_f32_e32 v19, v22
	v_cndmask_b32_e32 v7, 0, v7, vcc
	v_cmp_nlt_f32_e32 vcc, s61, v5
	v_sub_f32_e32 v13, v13, v20
	v_ldexp_f32 v18, v18, v19
	v_cndmask_b32_e32 v7, v252, v7, vcc
	v_cmp_ngt_f32_e32 vcc, s60, v17
	v_sub_f32_e32 v12, v12, v20
	v_sub_f32_e32 v10, v10, v20
	v_cndmask_b32_e32 v18, 0, v18, vcc
	v_cmp_nlt_f32_e32 vcc, s61, v17
	v_mul_f32_e32 v17, 0x3fb8aa3b, v16
	v_fma_f32 v19, v16, s39, -v17
	v_rndne_f32_e32 v22, v17
	v_fmac_f32_e32 v19, 0x32a5705f, v16
	v_sub_f32_e32 v17, v17, v22
	v_add_f32_e32 v17, v17, v19
	v_exp_f32_e32 v17, v17
	v_cvt_i32_f32_e32 v19, v22
	v_cndmask_b32_e32 v18, v252, v18, vcc
	v_cmp_ngt_f32_e32 vcc, s60, v16
	v_sub_f32_e32 v9, v9, v20
	v_ldexp_f32 v17, v17, v19
	v_cndmask_b32_e32 v17, 0, v17, vcc
	v_cmp_nlt_f32_e32 vcc, s61, v16
	v_sub_f32_e32 v16, v29, v20
	v_sub_f32_e32 v8, v8, v20
	v_cndmask_b32_e32 v19, v252, v17, vcc
	v_mul_f32_e32 v17, 0x3fb8aa3b, v16
	v_fma_f32 v22, v16, s39, -v17
	v_rndne_f32_e32 v23, v17
	v_fmac_f32_e32 v22, 0x32a5705f, v16
	v_sub_f32_e32 v17, v17, v23
	v_add_f32_e32 v17, v17, v22
	v_exp_f32_e32 v17, v17
	v_cvt_i32_f32_e32 v22, v23
	v_cmp_ngt_f32_e32 vcc, s60, v16
	v_add_f32_e32 v5, v6, v7
	v_sub_f32_e32 v2, v2, v20
	v_ldexp_f32 v17, v17, v22
	v_cndmask_b32_e32 v17, 0, v17, vcc
	v_cmp_nlt_f32_e32 vcc, s61, v16
	v_mul_f32_e32 v16, 0x3fb8aa3b, v15
	v_rndne_f32_e32 v23, v16
	v_cndmask_b32_e32 v22, v252, v17, vcc
	v_fma_f32 v17, v15, s39, -v16
	v_fmac_f32_e32 v17, 0x32a5705f, v15
	v_sub_f32_e32 v16, v16, v23
	v_add_f32_e32 v16, v16, v17
	v_exp_f32_e32 v16, v16
	v_cvt_i32_f32_e32 v17, v23
	v_cmp_ngt_f32_e32 vcc, s60, v15
	v_add_f32_e32 v5, v18, v5
	v_add_f32_e32 v5, v19, v5
	v_ldexp_f32 v16, v16, v17
	v_cndmask_b32_e32 v16, 0, v16, vcc
	v_cmp_nlt_f32_e32 vcc, s61, v15
	v_mul_f32_e32 v15, 0x3fb8aa3b, v14
	v_rndne_f32_e32 v17, v15
	v_cndmask_b32_e32 v23, v252, v16, vcc
	v_fma_f32 v16, v14, s39, -v15
	v_fmac_f32_e32 v16, 0x32a5705f, v14
	v_sub_f32_e32 v15, v15, v17
	v_add_f32_e32 v15, v15, v16
	v_exp_f32_e32 v15, v15
	v_cvt_i32_f32_e32 v16, v17
	v_cmp_ngt_f32_e32 vcc, s60, v14
	v_add_f32_e32 v5, v22, v5
	v_add_f32_e32 v5, v23, v5
	v_ldexp_f32 v15, v15, v16
	v_cndmask_b32_e32 v15, 0, v15, vcc
	v_cmp_nlt_f32_e32 vcc, s61, v14
	v_mul_f32_e32 v14, 0x3fb8aa3b, v13
	v_rndne_f32_e32 v16, v14
	v_cndmask_b32_e32 v24, v252, v15, vcc
	v_fma_f32 v15, v13, s39, -v14
	v_fmac_f32_e32 v15, 0x32a5705f, v13
	v_sub_f32_e32 v14, v14, v16
	v_add_f32_e32 v14, v14, v15
	v_exp_f32_e32 v14, v14
	v_cvt_i32_f32_e32 v15, v16
	v_cmp_ngt_f32_e32 vcc, s60, v13
	v_add_f32_e32 v5, v24, v5
	v_sub_f32_e32 v4, v4, v20
	v_ldexp_f32 v14, v14, v15
	v_cndmask_b32_e32 v14, 0, v14, vcc
	v_cmp_nlt_f32_e32 vcc, s61, v13
	v_mul_f32_e32 v13, 0x3fb8aa3b, v12
	v_rndne_f32_e32 v15, v13
	v_cndmask_b32_e32 v25, v252, v14, vcc
	v_fma_f32 v14, v12, s39, -v13
	v_fmac_f32_e32 v14, 0x32a5705f, v12
	v_sub_f32_e32 v13, v13, v15
	v_add_f32_e32 v13, v13, v14
	v_exp_f32_e32 v13, v13
	v_cvt_i32_f32_e32 v14, v15
	v_cmp_ngt_f32_e32 vcc, s60, v12
	v_add_f32_e32 v5, v25, v5
	v_sub_f32_e32 v3, v3, v20
	v_ldexp_f32 v13, v13, v14
	v_cndmask_b32_e32 v13, 0, v13, vcc
	v_cmp_nlt_f32_e32 vcc, s61, v12
	v_mul_f32_e32 v12, 0x3fb8aa3b, v10
	v_rndne_f32_e32 v14, v12
	v_cndmask_b32_e32 v30, v252, v13, vcc
	v_fma_f32 v13, v10, s39, -v12
	v_fmac_f32_e32 v13, 0x32a5705f, v10
	v_sub_f32_e32 v12, v12, v14
	v_add_f32_e32 v12, v12, v13
	v_exp_f32_e32 v12, v12
	v_cvt_i32_f32_e32 v13, v14
	v_cmp_ngt_f32_e32 vcc, s60, v10
	v_add_f32_e32 v5, v30, v5
	v_cvt_pk_f16_f32 v25, v24, v25
	v_ldexp_f32 v12, v12, v13
	v_cndmask_b32_e32 v12, 0, v12, vcc
	v_cmp_nlt_f32_e32 vcc, s61, v10
	v_mul_f32_e32 v10, 0x3fb8aa3b, v9
	v_rndne_f32_e32 v13, v10
	v_cndmask_b32_e32 v31, v252, v12, vcc
	v_fma_f32 v12, v9, s39, -v10
	v_fmac_f32_e32 v12, 0x32a5705f, v9
	v_sub_f32_e32 v10, v10, v13
	v_add_f32_e32 v10, v10, v12
	v_exp_f32_e32 v10, v10
	v_cvt_i32_f32_e32 v12, v13
	v_cmp_ngt_f32_e32 vcc, s60, v9
	v_add_f32_e32 v5, v31, v5
	v_cvt_pk_f16_f32 v24, v22, v23
	v_ldexp_f32 v10, v10, v12
	v_cndmask_b32_e32 v10, 0, v10, vcc
	v_cmp_nlt_f32_e32 vcc, s61, v9
	v_mul_f32_e32 v9, 0x3fb8aa3b, v8
	v_rndne_f32_e32 v12, v9
	v_cndmask_b32_e32 v32, v252, v10, vcc
	v_fma_f32 v10, v8, s39, -v9
	v_fmac_f32_e32 v10, 0x32a5705f, v8
	v_sub_f32_e32 v9, v9, v12
	v_add_f32_e32 v9, v9, v10
	v_exp_f32_e32 v9, v9
	v_cvt_i32_f32_e32 v10, v12
	v_cmp_ngt_f32_e32 vcc, s60, v8
	v_add_f32_e32 v5, v32, v5
	v_cvt_pk_f16_f32 v22, v30, v31
	v_ldexp_f32 v9, v9, v10
	v_cndmask_b32_e32 v9, 0, v9, vcc
	v_cmp_nlt_f32_e32 vcc, s61, v8
	v_sub_f32_e32 v8, v11, v20
	s_nop 0
	v_cndmask_b32_e32 v36, v252, v9, vcc
	v_mul_f32_e32 v9, 0x3fb8aa3b, v8
	v_fma_f32 v10, v8, s39, -v9
	v_rndne_f32_e32 v11, v9
	v_fmac_f32_e32 v10, 0x32a5705f, v8
	v_sub_f32_e32 v9, v9, v11
	v_add_f32_e32 v9, v9, v10
	v_exp_f32_e32 v9, v9
	v_cvt_i32_f32_e32 v10, v11
	v_cmp_ngt_f32_e32 vcc, s60, v8
	v_add_f32_e32 v5, v36, v5
	v_cvt_pk_f16_f32 v23, v32, v36
	v_ldexp_f32 v9, v9, v10
	v_cndmask_b32_e32 v9, 0, v9, vcc
	v_cmp_nlt_f32_e32 vcc, s61, v8
	v_mul_f32_e32 v8, 0x3fb8aa3b, v2
	v_rndne_f32_e32 v10, v8
	v_cndmask_b32_e32 v33, v252, v9, vcc
	v_fma_f32 v9, v2, s39, -v8
	v_fmac_f32_e32 v9, 0x32a5705f, v2
	v_sub_f32_e32 v8, v8, v10
	v_add_f32_e32 v8, v8, v9
	v_exp_f32_e32 v8, v8
	v_cvt_i32_f32_e32 v9, v10
	v_cmp_ngt_f32_e32 vcc, s60, v2
	v_add_f32_e32 v5, v33, v5
	v_ldexp_f32 v8, v8, v9
	v_cndmask_b32_e32 v8, 0, v8, vcc
	v_cmp_nlt_f32_e32 vcc, s61, v2
	s_nop 1
	v_cndmask_b32_e32 v38, v252, v8, vcc
	v_add_f32_e32 v2, v38, v5
	v_mul_f32_e32 v5, 0x3fb8aa3b, v4
	v_fma_f32 v8, v4, s39, -v5
	v_rndne_f32_e32 v9, v5
	v_fmac_f32_e32 v8, 0x32a5705f, v4
	v_sub_f32_e32 v5, v5, v9
	v_add_f32_e32 v5, v5, v8
	v_exp_f32_e32 v5, v5
	v_cvt_i32_f32_e32 v8, v9
	v_cmp_ngt_f32_e32 vcc, s60, v4
	v_ldexp_f32 v5, v5, v8
	s_nop 0
	v_cndmask_b32_e32 v5, 0, v5, vcc
	v_cmp_nlt_f32_e32 vcc, s61, v4
	v_mul_f32_e32 v4, 0x3fb8aa3b, v3
	v_rndne_f32_e32 v8, v4
	v_cndmask_b32_e32 v39, v252, v5, vcc
	v_fma_f32 v5, v3, s39, -v4
	v_fmac_f32_e32 v5, 0x32a5705f, v3
	v_sub_f32_e32 v4, v4, v8
	v_add_f32_e32 v4, v4, v5
	v_exp_f32_e32 v4, v4
	v_cvt_i32_f32_e32 v5, v8
	v_cmp_ngt_f32_e32 vcc, s60, v3
	v_add_f32_e32 v2, v39, v2
	v_ldexp_f32 v4, v4, v5
	v_cndmask_b32_e32 v4, 0, v4, vcc
	v_cmp_nlt_f32_e32 vcc, s61, v3
	s_nop 1
	v_cndmask_b32_e32 v40, v252, v4, vcc
	v_add_f32_e32 v29, v40, v2
	v_sub_f32_e32 v2, v91, v20
	v_mul_f32_e32 v3, 0x3fb8aa3b, v2
	v_fma_f32 v4, v2, s39, -v3
	v_rndne_f32_e32 v5, v3
	v_fmac_f32_e32 v4, 0x32a5705f, v2
	v_sub_f32_e32 v3, v3, v5
	v_add_f32_e32 v3, v3, v4
	v_exp_f32_e32 v3, v3
	v_cvt_i32_f32_e32 v4, v5
	v_cmp_ngt_f32_e32 vcc, s60, v2
	v_ldexp_f32 v3, v3, v4
	s_nop 0
	v_cndmask_b32_e32 v3, 0, v3, vcc
	v_cmp_nlt_f32_e32 vcc, s61, v2
	s_nop 1
	v_cndmask_b32_e32 v3, v252, v3, vcc
	v_cmp_le_f32_e32 vcc, s30, v2
	s_nop 1
	v_cndmask_b32_e32 v2, 0, v3, vcc
	v_fmac_f32_e32 v29, v150, v2
	v_cvt_f16_f32_e32 v2, v2
	v_cmp_eq_u64_e32 vcc, 0, v[136:137]
	s_and_b64 vcc, exec, vcc
	v_mul_u32_u24_e32 v2, 0x10001, v2
	v_pk_mul_f16 v27, v213, v2
	v_pk_mul_f16 v26, v212, v2
	;; [unrolled: 1-line block ×16, first 2 shown]
	v_lshl_add_u64 v[2:3], v[138:139], 0, s[52:53]
	v_lshl_add_u64 v[4:5], v[68:69], 2, v[2:3]
	;; [unrolled: 1-line block ×7, first 2 shown]
	global_load_dwordx4 v[2:5], v[4:5], off
	v_lshl_add_u64 v[44:45], v[44:45], 0, v[56:57]
	v_lshl_add_u64 v[46:47], v[46:47], 0, v[56:57]
	s_waitcnt vmcnt(0)
	ds_write_b128 v171, v[2:5]
	global_load_dwordx4 v[2:5], v[44:45], off
	s_waitcnt vmcnt(0)
	ds_write_b128 v228, v[2:5]
	global_load_dwordx4 v[2:5], v[46:47], off
	;; [unrolled: 3-line block ×3, first 2 shown]
	s_waitcnt vmcnt(0)
	ds_write_b128 v230, v[2:5]
	s_waitcnt lgkmcnt(0)
	s_barrier
	ds_read_u16 v43, v179 offset:272
	ds_read_u16 v45, v179 offset:544
	v_cvt_f32_f16_e32 v4, v26
	v_cvt_f32_f16_sdwa v5, v26 dst_sel:DWORD dst_unused:UNUSED_PAD src0_sel:WORD_1
	ds_read_u16 v26, v179
	ds_read_u16 v46, v179 offset:32
	v_cvt_f32_f16_e32 v2, v27
	v_cvt_f32_f16_sdwa v3, v27 dst_sel:DWORD dst_unused:UNUSED_PAD src0_sel:WORD_1
	v_cvt_pk_f16_f32 v27, v18, v19
	s_waitcnt lgkmcnt(1)
	v_perm_b32 v44, v43, v26, s47
	ds_read_u16 v26, v37
	ds_read_u16 v43, v37 offset:32
	s_waitcnt lgkmcnt(1)
	v_perm_b32 v45, v26, v45, s47
	v_cvt_pk_f16_f32 v26, v6, v7
	ds_read_u16 v6, v179 offset:4352
	ds_read_u16 v7, v179 offset:4624
	;; [unrolled: 1-line block ×4, first 2 shown]
	v_mfma_f32_16x16x16_f16 v[2:5], v[44:45], v[26:27], v[2:5]
	s_waitcnt lgkmcnt(2)
	v_perm_b32 v6, v7, v6, s47
	s_waitcnt lgkmcnt(0)
	v_perm_b32 v7, v19, v18, s47
	s_nop 3
	v_cvt_f16_f32_e32 v2, v2
	v_cvt_f16_f32_e32 v3, v3
	;; [unrolled: 1-line block ×4, first 2 shown]
	v_cvt_f32_f16_e32 v2, v2
	v_cvt_f32_f16_e32 v3, v3
	;; [unrolled: 1-line block ×4, first 2 shown]
	s_nop 1
	v_mfma_f32_16x16x16_f16 v[2:5], v[6:7], v[24:25], v[2:5]
	ds_read_u16 v6, v179 offset:8704
	ds_read_u16 v7, v179 offset:8976
	;; [unrolled: 1-line block ×4, first 2 shown]
	s_nop 3
	v_cvt_f16_f32_e32 v2, v2
	v_cvt_f16_f32_e32 v3, v3
	;; [unrolled: 1-line block ×4, first 2 shown]
	s_waitcnt lgkmcnt(2)
	v_perm_b32 v6, v7, v6, s47
	s_waitcnt lgkmcnt(0)
	v_perm_b32 v7, v19, v18, s47
	v_cvt_f32_f16_e32 v2, v2
	v_cvt_f32_f16_e32 v3, v3
	;; [unrolled: 1-line block ×4, first 2 shown]
	s_nop 1
	v_mfma_f32_16x16x16_f16 v[2:5], v[6:7], v[22:23], v[2:5]
	ds_read_u16 v6, v179 offset:13056
	ds_read_u16 v7, v179 offset:13328
	;; [unrolled: 1-line block ×4, first 2 shown]
	s_nop 3
	v_cvt_f16_f32_e32 v2, v2
	v_cvt_f16_f32_e32 v3, v3
	;; [unrolled: 1-line block ×4, first 2 shown]
	s_waitcnt lgkmcnt(2)
	v_perm_b32 v6, v7, v6, s47
	s_waitcnt lgkmcnt(0)
	v_perm_b32 v7, v19, v18, s47
	v_cvt_f32_f16_e32 v2, v2
	v_cvt_f32_f16_e32 v3, v3
	;; [unrolled: 1-line block ×4, first 2 shown]
	v_cvt_pk_f16_f32 v19, v39, v40
	v_cvt_pk_f16_f32 v18, v33, v38
	ds_read_u16 v31, v179 offset:304
	ds_read_u16 v33, v179 offset:576
	v_mfma_f32_16x16x16_f16 v[2:5], v[6:7], v[18:19], v[2:5]
	v_cvt_f32_f16_e32 v6, v41
	v_cvt_f32_f16_sdwa v7, v41 dst_sel:DWORD dst_unused:UNUSED_PAD src0_sel:WORD_1
	s_waitcnt lgkmcnt(1)
	v_perm_b32 v32, v31, v46, s47
	s_waitcnt lgkmcnt(0)
	v_perm_b32 v33, v43, v33, s47
	v_cvt_f32_f16_e32 v38, v9
	s_nop 0
	v_cvt_f16_f32_e32 v4, v4
	v_cvt_f16_f32_e32 v5, v5
	v_cvt_f32_f16_sdwa v39, v9 dst_sel:DWORD dst_unused:UNUSED_PAD src0_sel:WORD_1
	v_cvt_f32_f16_e32 v40, v8
	v_cvt_f32_f16_sdwa v41, v8 dst_sel:DWORD dst_unused:UNUSED_PAD src0_sel:WORD_1
	v_perm_b32 v30, v5, v4, s47
	v_cvt_f32_f16_e32 v4, v42
	v_cvt_f32_f16_sdwa v5, v42 dst_sel:DWORD dst_unused:UNUSED_PAD src0_sel:WORD_1
	s_nop 1
	v_mfma_f32_16x16x16_f16 v[4:7], v[32:33], v[26:27], v[4:7]
	ds_read_u16 v31, v179 offset:4384
	ds_read_u16 v32, v179 offset:4656
	ds_read_u16 v33, v179 offset:4928
	ds_read_u16 v36, v37 offset:4384
	s_nop 3
	v_cvt_f16_f32_e32 v4, v4
	v_cvt_f16_f32_e32 v5, v5
	v_cvt_f16_f32_e32 v6, v6
	v_cvt_f16_f32_e32 v7, v7
	s_waitcnt lgkmcnt(2)
	v_perm_b32 v32, v32, v31, s47
	s_waitcnt lgkmcnt(0)
	v_perm_b32 v33, v36, v33, s47
	v_cvt_f32_f16_e32 v4, v4
	v_cvt_f32_f16_e32 v5, v5
	v_cvt_f32_f16_e32 v6, v6
	v_cvt_f32_f16_e32 v7, v7
	s_nop 1
	v_mfma_f32_16x16x16_f16 v[4:7], v[32:33], v[24:25], v[4:7]
	ds_read_u16 v31, v179 offset:8736
	ds_read_u16 v32, v179 offset:9008
	ds_read_u16 v33, v179 offset:9280
	ds_read_u16 v36, v37 offset:8736
	s_nop 3
	v_cvt_f16_f32_e32 v4, v4
	v_cvt_f16_f32_e32 v5, v5
	v_cvt_f16_f32_e32 v6, v6
	v_cvt_f16_f32_e32 v7, v7
	s_waitcnt lgkmcnt(2)
	v_perm_b32 v32, v32, v31, s47
	s_waitcnt lgkmcnt(0)
	v_perm_b32 v33, v36, v33, s47
	v_cvt_f32_f16_e32 v4, v4
	v_cvt_f32_f16_e32 v5, v5
	v_cvt_f32_f16_e32 v6, v6
	v_cvt_f32_f16_e32 v7, v7
	;; [unrolled: 19-line block ×3, first 2 shown]
	s_nop 1
	v_mfma_f32_16x16x16_f16 v[4:7], v[32:33], v[18:19], v[4:7]
	s_nop 7
	v_cvt_f16_f32_e32 v6, v6
	v_cvt_f16_f32_e32 v7, v7
	v_perm_b32 v31, v7, v6, s47
	ds_read_u16 v6, v179 offset:64
	ds_read_u16 v7, v179 offset:336
	;; [unrolled: 1-line block ×4, first 2 shown]
	s_waitcnt lgkmcnt(2)
	v_perm_b32 v6, v7, v6, s47
	s_waitcnt lgkmcnt(0)
	v_perm_b32 v7, v33, v32, s47
	s_nop 1
	v_mfma_f32_16x16x16_f16 v[6:9], v[6:7], v[26:27], v[38:41]
	ds_read_u16 v32, v179 offset:4416
	ds_read_u16 v33, v179 offset:4688
	;; [unrolled: 1-line block ×4, first 2 shown]
	v_cvt_f32_f16_sdwa v39, v11 dst_sel:DWORD dst_unused:UNUSED_PAD src0_sel:WORD_1
	v_cvt_f32_f16_e32 v40, v10
	s_nop 1
	v_cvt_f16_f32_e32 v6, v6
	v_cvt_f16_f32_e32 v7, v7
	;; [unrolled: 1-line block ×4, first 2 shown]
	s_waitcnt lgkmcnt(2)
	v_perm_b32 v32, v33, v32, s47
	s_waitcnt lgkmcnt(0)
	v_perm_b32 v33, v38, v36, s47
	v_cvt_f32_f16_e32 v6, v6
	v_cvt_f32_f16_e32 v7, v7
	;; [unrolled: 1-line block ×4, first 2 shown]
	v_cvt_f32_f16_sdwa v41, v10 dst_sel:DWORD dst_unused:UNUSED_PAD src0_sel:WORD_1
	s_nop 0
	v_mfma_f32_16x16x16_f16 v[6:9], v[32:33], v[24:25], v[6:9]
	ds_read_u16 v32, v179 offset:8768
	ds_read_u16 v33, v179 offset:9040
	;; [unrolled: 1-line block ×4, first 2 shown]
	s_nop 3
	v_cvt_f16_f32_e32 v6, v6
	v_cvt_f16_f32_e32 v7, v7
	;; [unrolled: 1-line block ×4, first 2 shown]
	s_waitcnt lgkmcnt(2)
	v_perm_b32 v32, v33, v32, s47
	s_waitcnt lgkmcnt(0)
	v_perm_b32 v33, v38, v36, s47
	v_cvt_f32_f16_e32 v6, v6
	v_cvt_f32_f16_e32 v7, v7
	;; [unrolled: 1-line block ×4, first 2 shown]
	s_nop 1
	v_mfma_f32_16x16x16_f16 v[6:9], v[32:33], v[22:23], v[6:9]
	ds_read_u16 v32, v179 offset:13120
	ds_read_u16 v33, v179 offset:13392
	;; [unrolled: 1-line block ×4, first 2 shown]
	s_nop 3
	v_cvt_f16_f32_e32 v6, v6
	v_cvt_f16_f32_e32 v7, v7
	;; [unrolled: 1-line block ×4, first 2 shown]
	s_waitcnt lgkmcnt(2)
	v_perm_b32 v32, v33, v32, s47
	s_waitcnt lgkmcnt(0)
	v_perm_b32 v33, v38, v36, s47
	v_cvt_f32_f16_e32 v6, v6
	v_cvt_f32_f16_e32 v7, v7
	;; [unrolled: 1-line block ×5, first 2 shown]
	s_nop 0
	v_mfma_f32_16x16x16_f16 v[6:9], v[32:33], v[18:19], v[6:9]
	s_nop 7
	v_cvt_f16_f32_e32 v8, v8
	v_cvt_f16_f32_e32 v9, v9
	v_perm_b32 v32, v9, v8, s47
	ds_read_u16 v8, v179 offset:96
	ds_read_u16 v9, v179 offset:368
	;; [unrolled: 1-line block ×4, first 2 shown]
	s_waitcnt lgkmcnt(2)
	v_perm_b32 v8, v9, v8, s47
	s_waitcnt lgkmcnt(0)
	v_perm_b32 v9, v36, v33, s47
	s_nop 1
	v_mfma_f32_16x16x16_f16 v[8:11], v[8:9], v[26:27], v[38:41]
	ds_read_u16 v33, v179 offset:4448
	ds_read_u16 v36, v179 offset:4720
	s_nop 0
	ds_read_u16 v39, v179 offset:4992
	ds_read_u16 v40, v37 offset:4448
	v_cvt_f32_f16_sdwa v41, v12 dst_sel:DWORD dst_unused:UNUSED_PAD src0_sel:WORD_1
	s_nop 1
	v_cvt_f16_f32_e32 v8, v8
	v_cvt_f16_f32_e32 v9, v9
	;; [unrolled: 1-line block ×4, first 2 shown]
	s_waitcnt lgkmcnt(2)
	v_perm_b32 v38, v36, v33, s47
	s_waitcnt lgkmcnt(0)
	v_perm_b32 v39, v40, v39, s47
	v_cvt_f32_f16_e32 v8, v8
	v_cvt_f32_f16_e32 v9, v9
	;; [unrolled: 1-line block ×4, first 2 shown]
	s_nop 1
	v_mfma_f32_16x16x16_f16 v[8:11], v[38:39], v[24:25], v[8:11]
	ds_read_u16 v33, v179 offset:8800
	ds_read_u16 v36, v179 offset:9072
	ds_read_u16 v39, v179 offset:9344
	ds_read_u16 v40, v37 offset:8800
	s_nop 3
	v_cvt_f16_f32_e32 v8, v8
	v_cvt_f16_f32_e32 v9, v9
	;; [unrolled: 1-line block ×4, first 2 shown]
	s_waitcnt lgkmcnt(2)
	v_perm_b32 v38, v36, v33, s47
	s_waitcnt lgkmcnt(0)
	v_perm_b32 v39, v40, v39, s47
	v_cvt_f32_f16_e32 v8, v8
	v_cvt_f32_f16_e32 v9, v9
	;; [unrolled: 1-line block ×4, first 2 shown]
	s_nop 1
	v_mfma_f32_16x16x16_f16 v[8:11], v[38:39], v[22:23], v[8:11]
	ds_read_u16 v33, v179 offset:13152
	ds_read_u16 v36, v179 offset:13424
	;; [unrolled: 1-line block ×4, first 2 shown]
	s_nop 3
	v_cvt_f16_f32_e32 v8, v8
	v_cvt_f16_f32_e32 v9, v9
	;; [unrolled: 1-line block ×4, first 2 shown]
	s_waitcnt lgkmcnt(2)
	v_perm_b32 v38, v36, v33, s47
	s_waitcnt lgkmcnt(0)
	v_perm_b32 v39, v40, v39, s47
	v_cvt_f32_f16_e32 v8, v8
	v_cvt_f32_f16_e32 v9, v9
	;; [unrolled: 1-line block ×5, first 2 shown]
	s_nop 0
	v_mfma_f32_16x16x16_f16 v[8:11], v[38:39], v[18:19], v[8:11]
	v_cvt_f32_f16_e32 v38, v13
	v_cvt_f32_f16_sdwa v39, v13 dst_sel:DWORD dst_unused:UNUSED_PAD src0_sel:WORD_1
	s_nop 5
	v_cvt_f16_f32_e32 v10, v10
	v_cvt_f16_f32_e32 v11, v11
	v_perm_b32 v33, v11, v10, s47
	ds_read_u16 v10, v179 offset:128
	ds_read_u16 v11, v179 offset:400
	;; [unrolled: 1-line block ×4, first 2 shown]
	s_waitcnt lgkmcnt(2)
	v_perm_b32 v10, v11, v10, s47
	s_waitcnt lgkmcnt(0)
	v_perm_b32 v11, v42, v36, s47
	s_nop 1
	v_mfma_f32_16x16x16_f16 v[10:13], v[10:11], v[26:27], v[38:41]
	ds_read_u16 v36, v179 offset:4480
	s_nop 1
	ds_read_u16 v38, v179 offset:4752
	ds_read_u16 v39, v179 offset:5024
	;; [unrolled: 1-line block ×3, first 2 shown]
	v_cvt_f32_f16_sdwa v41, v14 dst_sel:DWORD dst_unused:UNUSED_PAD src0_sel:WORD_1
	s_nop 0
	v_cvt_f16_f32_e32 v10, v10
	v_cvt_f16_f32_e32 v11, v11
	;; [unrolled: 1-line block ×4, first 2 shown]
	s_waitcnt lgkmcnt(2)
	v_perm_b32 v38, v38, v36, s47
	s_waitcnt lgkmcnt(0)
	v_perm_b32 v39, v40, v39, s47
	v_cvt_f32_f16_e32 v10, v10
	v_cvt_f32_f16_e32 v11, v11
	;; [unrolled: 1-line block ×4, first 2 shown]
	s_nop 1
	v_mfma_f32_16x16x16_f16 v[10:13], v[38:39], v[24:25], v[10:13]
	ds_read_u16 v36, v179 offset:8832
	ds_read_u16 v38, v179 offset:9104
	;; [unrolled: 1-line block ×4, first 2 shown]
	s_nop 3
	v_cvt_f16_f32_e32 v10, v10
	v_cvt_f16_f32_e32 v11, v11
	;; [unrolled: 1-line block ×4, first 2 shown]
	s_waitcnt lgkmcnt(2)
	v_perm_b32 v38, v38, v36, s47
	s_waitcnt lgkmcnt(0)
	v_perm_b32 v39, v40, v39, s47
	v_cvt_f32_f16_e32 v10, v10
	v_cvt_f32_f16_e32 v11, v11
	;; [unrolled: 1-line block ×4, first 2 shown]
	s_nop 1
	v_mfma_f32_16x16x16_f16 v[10:13], v[38:39], v[22:23], v[10:13]
	ds_read_u16 v36, v179 offset:13184
	ds_read_u16 v38, v179 offset:13456
	ds_read_u16 v39, v179 offset:13728
	ds_read_u16 v40, v37 offset:13184
	s_nop 3
	v_cvt_f16_f32_e32 v10, v10
	v_cvt_f16_f32_e32 v11, v11
	;; [unrolled: 1-line block ×4, first 2 shown]
	s_waitcnt lgkmcnt(2)
	v_perm_b32 v38, v38, v36, s47
	s_waitcnt lgkmcnt(0)
	v_perm_b32 v39, v40, v39, s47
	v_cvt_f32_f16_e32 v10, v10
	v_cvt_f32_f16_e32 v11, v11
	;; [unrolled: 1-line block ×5, first 2 shown]
	s_nop 0
	v_mfma_f32_16x16x16_f16 v[10:13], v[38:39], v[18:19], v[10:13]
	v_cvt_f32_f16_e32 v38, v15
	v_cvt_f32_f16_sdwa v39, v15 dst_sel:DWORD dst_unused:UNUSED_PAD src0_sel:WORD_1
	s_nop 5
	v_cvt_f16_f32_e32 v12, v12
	v_cvt_f16_f32_e32 v13, v13
	v_perm_b32 v36, v13, v12, s47
	ds_read_u16 v12, v179 offset:160
	ds_read_u16 v13, v179 offset:432
	;; [unrolled: 1-line block ×4, first 2 shown]
	s_waitcnt lgkmcnt(2)
	v_perm_b32 v12, v13, v12, s47
	s_waitcnt lgkmcnt(0)
	v_perm_b32 v13, v43, v42, s47
	v_cvt_f32_f16_e32 v42, v16
	s_nop 0
	v_mfma_f32_16x16x16_f16 v[12:15], v[12:13], v[26:27], v[38:41]
	s_nop 2
	ds_read_u16 v38, v179 offset:4512
	ds_read_u16 v39, v179 offset:4784
	;; [unrolled: 1-line block ×4, first 2 shown]
	v_cvt_f32_f16_sdwa v43, v16 dst_sel:DWORD dst_unused:UNUSED_PAD src0_sel:WORD_1
	v_cvt_f16_f32_e32 v12, v12
	v_cvt_f16_f32_e32 v13, v13
	;; [unrolled: 1-line block ×4, first 2 shown]
	s_waitcnt lgkmcnt(2)
	v_perm_b32 v38, v39, v38, s47
	s_waitcnt lgkmcnt(0)
	v_perm_b32 v39, v41, v40, s47
	v_cvt_f32_f16_e32 v12, v12
	v_cvt_f32_f16_e32 v13, v13
	;; [unrolled: 1-line block ×4, first 2 shown]
	s_nop 1
	v_mfma_f32_16x16x16_f16 v[12:15], v[38:39], v[24:25], v[12:15]
	ds_read_u16 v38, v179 offset:8864
	ds_read_u16 v39, v179 offset:9136
	;; [unrolled: 1-line block ×4, first 2 shown]
	s_nop 3
	v_cvt_f16_f32_e32 v12, v12
	v_cvt_f16_f32_e32 v13, v13
	;; [unrolled: 1-line block ×4, first 2 shown]
	s_waitcnt lgkmcnt(2)
	v_perm_b32 v38, v39, v38, s47
	s_waitcnt lgkmcnt(0)
	v_perm_b32 v39, v41, v40, s47
	v_cvt_f32_f16_e32 v12, v12
	v_cvt_f32_f16_e32 v13, v13
	;; [unrolled: 1-line block ×4, first 2 shown]
	s_nop 1
	v_mfma_f32_16x16x16_f16 v[12:15], v[38:39], v[22:23], v[12:15]
	ds_read_u16 v38, v179 offset:13216
	ds_read_u16 v39, v179 offset:13488
	ds_read_u16 v40, v179 offset:13760
	ds_read_u16 v41, v37 offset:13216
	s_nop 3
	v_cvt_f16_f32_e32 v12, v12
	v_cvt_f16_f32_e32 v13, v13
	v_cvt_f16_f32_e32 v14, v14
	v_cvt_f16_f32_e32 v15, v15
	s_waitcnt lgkmcnt(2)
	v_perm_b32 v38, v39, v38, s47
	s_waitcnt lgkmcnt(0)
	v_perm_b32 v39, v41, v40, s47
	v_cvt_f32_f16_e32 v12, v12
	v_cvt_f32_f16_e32 v13, v13
	;; [unrolled: 1-line block ×5, first 2 shown]
	v_cvt_f32_f16_sdwa v41, v17 dst_sel:DWORD dst_unused:UNUSED_PAD src0_sel:WORD_1
	v_mfma_f32_16x16x16_f16 v[12:15], v[38:39], v[18:19], v[12:15]
	s_nop 7
	v_cvt_f16_f32_e32 v14, v14
	v_cvt_f16_f32_e32 v15, v15
	v_perm_b32 v38, v15, v14, s47
	ds_read_u16 v14, v179 offset:192
	ds_read_u16 v15, v179 offset:464
	;; [unrolled: 1-line block ×4, first 2 shown]
	s_waitcnt lgkmcnt(2)
	v_perm_b32 v14, v15, v14, s47
	s_waitcnt lgkmcnt(0)
	v_perm_b32 v15, v44, v39, s47
	s_nop 1
	v_mfma_f32_16x16x16_f16 v[14:17], v[14:15], v[26:27], v[40:43]
	ds_read_u16 v39, v179 offset:4544
	s_nop 1
	ds_read_u16 v40, v179 offset:4816
	ds_read_u16 v41, v179 offset:5088
	;; [unrolled: 1-line block ×3, first 2 shown]
	v_cvt_f32_f16_sdwa v43, v34 dst_sel:DWORD dst_unused:UNUSED_PAD src0_sel:WORD_1
	s_nop 0
	v_cvt_f16_f32_e32 v14, v14
	v_cvt_f16_f32_e32 v15, v15
	;; [unrolled: 1-line block ×4, first 2 shown]
	s_waitcnt lgkmcnt(2)
	v_perm_b32 v40, v40, v39, s47
	s_waitcnt lgkmcnt(0)
	v_perm_b32 v41, v42, v41, s47
	v_cvt_f32_f16_e32 v14, v14
	v_cvt_f32_f16_e32 v15, v15
	;; [unrolled: 1-line block ×4, first 2 shown]
	s_nop 1
	v_mfma_f32_16x16x16_f16 v[14:17], v[40:41], v[24:25], v[14:17]
	ds_read_u16 v39, v179 offset:8896
	ds_read_u16 v40, v179 offset:9168
	;; [unrolled: 1-line block ×4, first 2 shown]
	s_nop 3
	v_cvt_f16_f32_e32 v14, v14
	v_cvt_f16_f32_e32 v15, v15
	;; [unrolled: 1-line block ×4, first 2 shown]
	s_waitcnt lgkmcnt(2)
	v_perm_b32 v40, v40, v39, s47
	s_waitcnt lgkmcnt(0)
	v_perm_b32 v41, v42, v41, s47
	v_cvt_f32_f16_e32 v14, v14
	v_cvt_f32_f16_e32 v15, v15
	;; [unrolled: 1-line block ×4, first 2 shown]
	s_nop 1
	v_mfma_f32_16x16x16_f16 v[14:17], v[40:41], v[22:23], v[14:17]
	ds_read_u16 v39, v179 offset:13248
	ds_read_u16 v40, v179 offset:13520
	;; [unrolled: 1-line block ×4, first 2 shown]
	s_nop 3
	v_cvt_f16_f32_e32 v14, v14
	v_cvt_f16_f32_e32 v15, v15
	;; [unrolled: 1-line block ×4, first 2 shown]
	s_waitcnt lgkmcnt(2)
	v_perm_b32 v40, v40, v39, s47
	s_waitcnt lgkmcnt(0)
	v_perm_b32 v41, v42, v41, s47
	v_cvt_f32_f16_e32 v14, v14
	v_cvt_f32_f16_e32 v15, v15
	;; [unrolled: 1-line block ×5, first 2 shown]
	s_nop 0
	v_mfma_f32_16x16x16_f16 v[14:17], v[40:41], v[18:19], v[14:17]
	v_cvt_f32_f16_e32 v40, v35
	v_cvt_f32_f16_sdwa v41, v35 dst_sel:DWORD dst_unused:UNUSED_PAD src0_sel:WORD_1
	s_nop 5
	v_cvt_f16_f32_e32 v16, v16
	v_cvt_f16_f32_e32 v17, v17
	v_perm_b32 v39, v17, v16, s47
	ds_read_u16 v16, v179 offset:224
	ds_read_u16 v17, v179 offset:496
	;; [unrolled: 1-line block ×4, first 2 shown]
	s_waitcnt lgkmcnt(2)
	v_perm_b32 v16, v17, v16, s47
	s_waitcnt lgkmcnt(0)
	v_perm_b32 v17, v45, v44, s47
	ds_read_u16 v34, v179 offset:4576
	ds_read_u16 v35, v179 offset:4848
	;; [unrolled: 1-line block ×4, first 2 shown]
	v_mfma_f32_16x16x16_f16 v[40:43], v[16:17], v[26:27], v[40:43]
	s_nop 7
	v_cvt_f16_f32_e32 v16, v40
	v_cvt_f16_f32_e32 v17, v41
	;; [unrolled: 1-line block ×4, first 2 shown]
	v_cvt_f32_f16_e32 v40, v16
	v_cvt_f32_f16_e32 v41, v17
	s_waitcnt lgkmcnt(2)
	v_perm_b32 v16, v35, v34, s47
	s_waitcnt lgkmcnt(0)
	v_perm_b32 v17, v45, v44, s47
	v_cvt_f32_f16_e32 v42, v26
	v_cvt_f32_f16_e32 v43, v27
	s_nop 1
	v_mfma_f32_16x16x16_f16 v[24:27], v[16:17], v[24:25], v[40:43]
	ds_read_u16 v34, v179 offset:8928
	ds_read_u16 v35, v179 offset:9200
	s_nop 0
	ds_read_u16 v40, v179 offset:9472
	ds_read_u16 v41, v37 offset:8928
	s_nop 2
	v_cvt_f16_f32_e32 v16, v24
	v_cvt_f16_f32_e32 v17, v25
	;; [unrolled: 1-line block ×4, first 2 shown]
	v_cvt_f32_f16_e32 v24, v16
	v_cvt_f32_f16_e32 v25, v17
	s_waitcnt lgkmcnt(2)
	v_perm_b32 v16, v35, v34, s47
	s_waitcnt lgkmcnt(0)
	v_perm_b32 v17, v41, v40, s47
	v_cvt_f32_f16_e32 v26, v26
	v_cvt_f32_f16_e32 v27, v27
	s_nop 1
	v_mfma_f32_16x16x16_f16 v[22:25], v[16:17], v[22:23], v[24:27]
	s_nop 7
	v_cvt_f16_f32_e32 v16, v22
	v_cvt_f16_f32_e32 v17, v23
	;; [unrolled: 1-line block ×4, first 2 shown]
	ds_read_u16 v24, v179 offset:13280
	ds_read_u16 v25, v179 offset:13552
	ds_read_u16 v26, v179 offset:13824
	ds_read_u16 v27, v37 offset:13280
	v_cvt_f32_f16_e32 v40, v16
	v_cvt_f32_f16_e32 v41, v17
	s_waitcnt lgkmcnt(2)
	v_perm_b32 v16, v25, v24, s47
	v_cvt_f32_f16_e32 v42, v22
	s_waitcnt lgkmcnt(0)
	v_perm_b32 v17, v27, v26, s47
	v_cvt_f32_f16_e32 v43, v23
	s_barrier
	s_nop 0
	v_mfma_f32_16x16x16_f16 v[16:19], v[16:17], v[18:19], v[40:43]
	s_nop 7
	v_cvt_f16_f32_e32 v18, v18
	v_cvt_f16_f32_e32 v19, v19
	v_perm_b32 v18, v19, v18, s47
	ds_bpermute_b32 v19, v28, v29
	s_waitcnt lgkmcnt(0)
	v_add_f32_e32 v19, v29, v19
	ds_bpermute_b32 v21, v21, v19
	s_waitcnt lgkmcnt(0)
	v_add_f32_e32 v21, v19, v21
	s_cbranch_vccnz .LBB24_257
; %bb.256:                              ;   in Loop: Header=BB24_12 Depth=1
	v_lshlrev_b32_e32 v19, 2, v80
	v_readfirstlane_b32 s52, v136
	v_readfirstlane_b32 s53, v137
	v_cvt_pk_f16_f32 v2, v2, v3
	v_cvt_pk_f16_f32 v3, v4, v5
	;; [unrolled: 1-line block ×3, first 2 shown]
	v_max_f32_e32 v6, v20, v20
	v_cvt_pk_f16_f32 v22, v10, v11
	global_load_dword v19, v19, s[52:53]
	v_cvt_pk_f16_f32 v5, v8, v9
	v_cvt_pk_f16_f32 v12, v12, v13
	;; [unrolled: 1-line block ×4, first 2 shown]
	s_waitcnt vmcnt(0)
	v_max_f32_e32 v7, v19, v19
	v_max_f32_e32 v10, v6, v7
	v_sub_f32_e32 v6, v20, v10
	v_sub_f32_e32 v7, v19, v10
	v_mul_f32_e32 v8, 0x3fb8aa3b, v6
	v_mul_f32_e32 v9, 0x3fb8aa3b, v7
	v_fma_f32 v11, v6, s39, -v8
	v_rndne_f32_e32 v13, v8
	v_fma_f32 v19, v7, s39, -v9
	v_rndne_f32_e32 v20, v9
	v_fmac_f32_e32 v11, 0x32a5705f, v6
	v_sub_f32_e32 v8, v8, v13
	v_fmac_f32_e32 v19, 0x32a5705f, v7
	v_sub_f32_e32 v9, v9, v20
	v_add_f32_e32 v8, v8, v11
	v_cvt_i32_f32_e32 v13, v13
	v_add_f32_e32 v9, v9, v19
	v_exp_f32_e32 v8, v8
	v_cvt_i32_f32_e32 v20, v20
	v_exp_f32_e32 v9, v9
	v_cmp_ngt_f32_e32 vcc, s60, v6
	v_ldexp_f32 v8, v8, v13
	v_ldexp_f32 v9, v9, v20
	v_cndmask_b32_e32 v8, 0, v8, vcc
	v_cmp_ngt_f32_e32 vcc, s60, v7
	s_nop 1
	v_cndmask_b32_e32 v9, 0, v9, vcc
	v_cmp_nlt_f32_e32 vcc, s61, v6
	s_nop 1
	v_cndmask_b32_e32 v8, v252, v8, vcc
	v_cmp_le_f32_e32 vcc, s30, v6
	s_nop 1
	v_cndmask_b32_e32 v6, 0, v8, vcc
	v_cvt_f16_f32_e32 v8, v6
	v_cmp_nlt_f32_e32 vcc, s61, v7
	v_mul_u32_u24_e32 v13, 0x10001, v8
	s_nop 0
	v_cndmask_b32_e32 v11, v252, v9, vcc
	v_fmac_f32_e32 v11, v21, v6
	v_pk_mul_f16 v9, v2, v13
	v_pk_mul_f16 v30, v30, v13
	;; [unrolled: 1-line block ×16, first 2 shown]
	v_mov_b64_e32 v[20:21], v[10:11]
	s_branch .LBB24_258
.LBB24_257:                             ;   in Loop: Header=BB24_12 Depth=1
	v_cvt_f16_f32_e32 v19, v2
	v_cvt_f16_f32_e32 v22, v3
	;; [unrolled: 1-line block ×16, first 2 shown]
	v_perm_b32 v2, v9, v2, s47
	v_perm_b32 v3, v10, v3, s47
	;; [unrolled: 1-line block ×8, first 2 shown]
.LBB24_258:                             ;   in Loop: Header=BB24_12 Depth=1
	s_mov_b64 s[52:53], exec
	v_readlane_b32 s98, v255, 13
	v_readlane_b32 s99, v255, 14
	s_and_b64 s[98:99], s[52:53], s[98:99]
	s_mov_b64 exec, s[98:99]
; %bb.259:                              ;   in Loop: Header=BB24_12 Depth=1
	ds_write2_b32 v226, v20, v21 offset0:64 offset1:65
; %bb.260:                              ;   in Loop: Header=BB24_12 Depth=1
	s_or_b64 exec, exec, s[52:53]
	v_add_u32_e32 v10, v175, v188
	s_waitcnt lgkmcnt(0)
	s_barrier
	ds_write2_b32 v10, v9, v30 offset1:1
	ds_write2_b32 v10, v8, v31 offset0:8 offset1:9
	ds_write2_b32 v10, v7, v32 offset0:16 offset1:17
	;; [unrolled: 1-line block ×7, first 2 shown]
	v_mov_b32_e32 v2, 50
	s_waitcnt lgkmcnt(0)
	s_barrier
	s_and_saveexec_b64 s[98:99], s[96:97]
	s_cbranch_execz .LBB24_262
; %bb.261:                              ;   in Loop: Header=BB24_12 Depth=1
	ds_read_b32 v6, v193 offset:260
	ds_read_b32 v4, v198
	v_mad_u64_u32 v[2:3], s[52:53], v83, s25, v[50:51]
	v_lshl_add_u32 v2, v2, 6, v52
	v_ashrrev_i32_e32 v3, 31, v2
	s_waitcnt lgkmcnt(0)
	v_cvt_f32_f16_sdwa v5, v4 dst_sel:DWORD dst_unused:UNUSED_PAD src0_sel:WORD_1
	v_cvt_f32_f16_e32 v4, v4
	v_lshl_add_u64 v[2:3], v[2:3], 3, v[134:135]
	v_pk_add_f32 v[4:5], v[4:5], 0 op_sel_hi:[1,0]
	s_nop 0
	v_div_scale_f32 v7, s[52:53], v6, v6, v5
	v_rcp_f32_e32 v8, v7
	s_nop 0
	v_fma_f32 v9, -v7, v8, 1.0
	v_fmac_f32_e32 v8, v9, v8
	v_div_scale_f32 v9, vcc, v5, v6, v5
	v_mul_f32_e32 v10, v9, v8
	v_fma_f32 v11, -v7, v10, v9
	v_fmac_f32_e32 v10, v11, v8
	v_fma_f32 v7, -v7, v10, v9
	v_div_fmas_f32 v7, v7, v8, v10
	v_div_fixup_f32 v5, v7, v6, v5
	v_div_scale_f32 v7, s[52:53], v6, v6, v4
	v_rcp_f32_e32 v8, v7
	s_nop 0
	v_fma_f32 v9, -v7, v8, 1.0
	v_fmac_f32_e32 v8, v9, v8
	v_div_scale_f32 v9, vcc, v4, v6, v4
	v_mul_f32_e32 v10, v9, v8
	v_fma_f32 v11, -v7, v10, v9
	v_fmac_f32_e32 v10, v11, v8
	v_fma_f32 v7, -v7, v10, v9
	v_div_fmas_f32 v7, v7, v8, v10
	v_div_fixup_f32 v4, v7, v6, v4
	global_store_dwordx2 v[2:3], v[4:5], off
	v_mov_b32_e32 v2, 0
.LBB24_262:                             ;   in Loop: Header=BB24_12 Depth=1
	s_or_b64 exec, exec, s[98:99]
	v_cmp_gt_i32_e32 vcc, 50, v2
	s_mov_b64 s[98:99], -1
	s_and_saveexec_b64 s[52:53], vcc
; %bb.263:                              ;   in Loop: Header=BB24_12 Depth=1
	v_cmp_eq_u32_e32 vcc, 0, v2
	s_orn2_b64 s[98:99], vcc, exec
; %bb.264:                              ;   in Loop: Header=BB24_12 Depth=1
	s_or_b64 exec, exec, s[52:53]
                                        ; implicit-def: $vgpr4_vgpr5
                                        ; implicit-def: $vgpr2
	s_and_saveexec_b64 s[96:97], s[98:99]
	s_cbranch_execz .LBB24_352
; %bb.265:                              ;   in Loop: Header=BB24_12 Depth=1
	v_mov_b32_e32 v2, 50
	s_and_saveexec_b64 s[98:99], s[94:95]
	s_cbranch_execz .LBB24_267
; %bb.266:                              ;   in Loop: Header=BB24_12 Depth=1
	v_add_u32_e32 v2, 0x440, v193
	ds_read_b32 v6, v2 offset:260
	ds_read_b32 v4, v189
	v_mad_u64_u32 v[2:3], s[52:53], v209, s25, v[84:85]
	v_lshl_add_u32 v2, v2, 6, v52
	v_ashrrev_i32_e32 v3, 31, v2
	s_waitcnt lgkmcnt(0)
	v_cvt_f32_f16_sdwa v5, v4 dst_sel:DWORD dst_unused:UNUSED_PAD src0_sel:WORD_1
	v_cvt_f32_f16_e32 v4, v4
	v_lshl_add_u64 v[2:3], v[2:3], 3, v[134:135]
	v_pk_add_f32 v[4:5], v[4:5], 0 op_sel_hi:[1,0]
	s_nop 0
	v_div_scale_f32 v7, s[52:53], v6, v6, v5
	v_rcp_f32_e32 v8, v7
	s_nop 0
	v_fma_f32 v9, -v7, v8, 1.0
	v_fmac_f32_e32 v8, v9, v8
	v_div_scale_f32 v9, vcc, v5, v6, v5
	v_mul_f32_e32 v10, v9, v8
	v_fma_f32 v11, -v7, v10, v9
	v_fmac_f32_e32 v10, v11, v8
	v_fma_f32 v7, -v7, v10, v9
	v_div_fmas_f32 v7, v7, v8, v10
	v_div_fixup_f32 v5, v7, v6, v5
	v_div_scale_f32 v7, s[52:53], v6, v6, v4
	v_rcp_f32_e32 v8, v7
	s_nop 0
	v_fma_f32 v9, -v7, v8, 1.0
	v_fmac_f32_e32 v8, v9, v8
	v_div_scale_f32 v9, vcc, v4, v6, v4
	v_mul_f32_e32 v10, v9, v8
	v_fma_f32 v11, -v7, v10, v9
	v_fmac_f32_e32 v10, v11, v8
	v_fma_f32 v7, -v7, v10, v9
	v_div_fmas_f32 v7, v7, v8, v10
	v_div_fixup_f32 v4, v7, v6, v4
	global_store_dwordx2 v[2:3], v[4:5], off
	v_mov_b32_e32 v2, 0
.LBB24_267:                             ;   in Loop: Header=BB24_12 Depth=1
	s_or_b64 exec, exec, s[98:99]
	v_cmp_gt_i32_e32 vcc, 50, v2
	s_mov_b64 s[52:53], -1
	s_and_saveexec_b64 s[94:95], vcc
; %bb.268:                              ;   in Loop: Header=BB24_12 Depth=1
	v_cmp_eq_u32_e32 vcc, 0, v2
	s_orn2_b64 s[52:53], vcc, exec
; %bb.269:                              ;   in Loop: Header=BB24_12 Depth=1
	s_or_b64 exec, exec, s[94:95]
	s_mov_b64 s[98:99], s[68:69]
                                        ; implicit-def: $vgpr4_vgpr5
                                        ; implicit-def: $vgpr2
	s_and_saveexec_b64 s[94:95], s[52:53]
	s_cbranch_execz .LBB24_351
; %bb.270:                              ;   in Loop: Header=BB24_12 Depth=1
	v_mov_b32_e32 v2, 50
	s_and_saveexec_b64 s[98:99], s[92:93]
	s_cbranch_execz .LBB24_272
; %bb.271:                              ;   in Loop: Header=BB24_12 Depth=1
	v_add_u32_e32 v2, 0x880, v193
	ds_read_b32 v6, v2 offset:260
	v_mad_u64_u32 v[2:3], s[52:53], v163, s25, v[50:51]
	scratch_load_dword v3, off, off         ; 4-byte Folded Reload
	v_lshl_add_u32 v2, v2, 6, v52
	s_waitcnt vmcnt(0)
	ds_read_b32 v4, v3
	v_ashrrev_i32_e32 v3, 31, v2
	v_lshl_add_u64 v[2:3], v[2:3], 3, v[134:135]
	s_waitcnt lgkmcnt(0)
	v_cvt_f32_f16_sdwa v5, v4 dst_sel:DWORD dst_unused:UNUSED_PAD src0_sel:WORD_1
	v_cvt_f32_f16_e32 v4, v4
	v_pk_add_f32 v[4:5], v[4:5], 0 op_sel_hi:[1,0]
	s_nop 0
	v_div_scale_f32 v7, s[52:53], v6, v6, v5
	v_rcp_f32_e32 v8, v7
	s_nop 0
	v_fma_f32 v9, -v7, v8, 1.0
	v_fmac_f32_e32 v8, v9, v8
	v_div_scale_f32 v9, vcc, v5, v6, v5
	v_mul_f32_e32 v10, v9, v8
	v_fma_f32 v11, -v7, v10, v9
	v_fmac_f32_e32 v10, v11, v8
	v_fma_f32 v7, -v7, v10, v9
	v_div_fmas_f32 v7, v7, v8, v10
	v_div_fixup_f32 v5, v7, v6, v5
	v_div_scale_f32 v7, s[52:53], v6, v6, v4
	v_rcp_f32_e32 v8, v7
	s_nop 0
	v_fma_f32 v9, -v7, v8, 1.0
	v_fmac_f32_e32 v8, v9, v8
	v_div_scale_f32 v9, vcc, v4, v6, v4
	v_mul_f32_e32 v10, v9, v8
	v_fma_f32 v11, -v7, v10, v9
	v_fmac_f32_e32 v10, v11, v8
	v_fma_f32 v7, -v7, v10, v9
	v_div_fmas_f32 v7, v7, v8, v10
	v_div_fixup_f32 v4, v7, v6, v4
	global_store_dwordx2 v[2:3], v[4:5], off
	v_mov_b32_e32 v2, 0
.LBB24_272:                             ;   in Loop: Header=BB24_12 Depth=1
	s_or_b64 exec, exec, s[98:99]
	v_cmp_gt_i32_e32 vcc, 50, v2
	s_mov_b64 s[52:53], -1
	s_and_saveexec_b64 s[92:93], vcc
; %bb.273:                              ;   in Loop: Header=BB24_12 Depth=1
	v_cmp_eq_u32_e32 vcc, 0, v2
	s_orn2_b64 s[52:53], vcc, exec
; %bb.274:                              ;   in Loop: Header=BB24_12 Depth=1
	s_or_b64 exec, exec, s[92:93]
	s_mov_b64 s[98:99], s[68:69]
                                        ; implicit-def: $vgpr4_vgpr5
                                        ; implicit-def: $vgpr2
	s_and_saveexec_b64 s[92:93], s[52:53]
	s_cbranch_execz .LBB24_350
; %bb.275:                              ;   in Loop: Header=BB24_12 Depth=1
	v_mov_b32_e32 v2, 50
	s_and_saveexec_b64 s[98:99], s[90:91]
	s_cbranch_execz .LBB24_277
; %bb.276:                              ;   in Loop: Header=BB24_12 Depth=1
	v_add_u32_e32 v2, 0xcc0, v193
	ds_read_b32 v6, v2 offset:260
	v_mad_u64_u32 v[2:3], s[52:53], v162, s25, v[88:89]
	scratch_load_dword v3, off, off offset:4 ; 4-byte Folded Reload
	v_lshl_add_u32 v2, v2, 6, v52
	s_waitcnt vmcnt(0)
	ds_read_b32 v4, v3
	v_ashrrev_i32_e32 v3, 31, v2
	v_lshl_add_u64 v[2:3], v[2:3], 3, v[134:135]
	s_waitcnt lgkmcnt(0)
	v_cvt_f32_f16_sdwa v5, v4 dst_sel:DWORD dst_unused:UNUSED_PAD src0_sel:WORD_1
	v_cvt_f32_f16_e32 v4, v4
	v_pk_add_f32 v[4:5], v[4:5], 0 op_sel_hi:[1,0]
	s_nop 0
	v_div_scale_f32 v7, s[52:53], v6, v6, v5
	v_rcp_f32_e32 v8, v7
	s_nop 0
	v_fma_f32 v9, -v7, v8, 1.0
	v_fmac_f32_e32 v8, v9, v8
	v_div_scale_f32 v9, vcc, v5, v6, v5
	v_mul_f32_e32 v10, v9, v8
	v_fma_f32 v11, -v7, v10, v9
	v_fmac_f32_e32 v10, v11, v8
	v_fma_f32 v7, -v7, v10, v9
	v_div_fmas_f32 v7, v7, v8, v10
	v_div_fixup_f32 v5, v7, v6, v5
	v_div_scale_f32 v7, s[52:53], v6, v6, v4
	v_rcp_f32_e32 v8, v7
	s_nop 0
	v_fma_f32 v9, -v7, v8, 1.0
	v_fmac_f32_e32 v8, v9, v8
	v_div_scale_f32 v9, vcc, v4, v6, v4
	v_mul_f32_e32 v10, v9, v8
	v_fma_f32 v11, -v7, v10, v9
	v_fmac_f32_e32 v10, v11, v8
	v_fma_f32 v7, -v7, v10, v9
	v_div_fmas_f32 v7, v7, v8, v10
	v_div_fixup_f32 v4, v7, v6, v4
	global_store_dwordx2 v[2:3], v[4:5], off
	v_mov_b32_e32 v2, 0
.LBB24_277:                             ;   in Loop: Header=BB24_12 Depth=1
	s_or_b64 exec, exec, s[98:99]
	v_cmp_gt_i32_e32 vcc, 50, v2
	s_mov_b64 s[52:53], -1
	s_and_saveexec_b64 s[90:91], vcc
; %bb.278:                              ;   in Loop: Header=BB24_12 Depth=1
	v_cmp_eq_u32_e32 vcc, 0, v2
	s_orn2_b64 s[52:53], vcc, exec
; %bb.279:                              ;   in Loop: Header=BB24_12 Depth=1
	s_or_b64 exec, exec, s[90:91]
	s_mov_b64 s[98:99], s[68:69]
                                        ; implicit-def: $vgpr4_vgpr5
                                        ; implicit-def: $vgpr2
	s_and_saveexec_b64 s[90:91], s[52:53]
	s_cbranch_execz .LBB24_349
; %bb.280:                              ;   in Loop: Header=BB24_12 Depth=1
	v_mov_b32_e32 v2, 50
	s_and_saveexec_b64 s[98:99], s[88:89]
	s_cbranch_execz .LBB24_282
; %bb.281:                              ;   in Loop: Header=BB24_12 Depth=1
	scratch_load_dword v2, off, off offset:12 ; 4-byte Folded Reload
	s_waitcnt vmcnt(0)
	ds_read_b32 v6, v2 offset:260
	v_mad_u64_u32 v[2:3], s[52:53], v161, s25, v[50:51]
	scratch_load_dword v3, off, off offset:16 ; 4-byte Folded Reload
	v_lshl_add_u32 v2, v2, 6, v52
	s_waitcnt vmcnt(0)
	ds_read_b32 v4, v3
	v_ashrrev_i32_e32 v3, 31, v2
	v_lshl_add_u64 v[2:3], v[2:3], 3, v[134:135]
	s_waitcnt lgkmcnt(0)
	v_cvt_f32_f16_sdwa v5, v4 dst_sel:DWORD dst_unused:UNUSED_PAD src0_sel:WORD_1
	v_cvt_f32_f16_e32 v4, v4
	v_pk_add_f32 v[4:5], v[4:5], 0 op_sel_hi:[1,0]
	s_nop 0
	v_div_scale_f32 v7, s[52:53], v6, v6, v5
	v_rcp_f32_e32 v8, v7
	s_nop 0
	v_fma_f32 v9, -v7, v8, 1.0
	v_fmac_f32_e32 v8, v9, v8
	v_div_scale_f32 v9, vcc, v5, v6, v5
	v_mul_f32_e32 v10, v9, v8
	v_fma_f32 v11, -v7, v10, v9
	v_fmac_f32_e32 v10, v11, v8
	v_fma_f32 v7, -v7, v10, v9
	v_div_fmas_f32 v7, v7, v8, v10
	v_div_fixup_f32 v5, v7, v6, v5
	v_div_scale_f32 v7, s[52:53], v6, v6, v4
	v_rcp_f32_e32 v8, v7
	s_nop 0
	v_fma_f32 v9, -v7, v8, 1.0
	v_fmac_f32_e32 v8, v9, v8
	v_div_scale_f32 v9, vcc, v4, v6, v4
	v_mul_f32_e32 v10, v9, v8
	v_fma_f32 v11, -v7, v10, v9
	v_fmac_f32_e32 v10, v11, v8
	v_fma_f32 v7, -v7, v10, v9
	v_div_fmas_f32 v7, v7, v8, v10
	v_div_fixup_f32 v4, v7, v6, v4
	global_store_dwordx2 v[2:3], v[4:5], off
	v_mov_b32_e32 v2, 0
.LBB24_282:                             ;   in Loop: Header=BB24_12 Depth=1
	s_or_b64 exec, exec, s[98:99]
	v_cmp_gt_i32_e32 vcc, 50, v2
	s_mov_b64 s[52:53], -1
	s_and_saveexec_b64 s[88:89], vcc
; %bb.283:                              ;   in Loop: Header=BB24_12 Depth=1
	v_cmp_eq_u32_e32 vcc, 0, v2
	s_orn2_b64 s[52:53], vcc, exec
; %bb.284:                              ;   in Loop: Header=BB24_12 Depth=1
	s_or_b64 exec, exec, s[88:89]
	s_mov_b64 s[98:99], s[68:69]
                                        ; implicit-def: $vgpr4_vgpr5
                                        ; implicit-def: $vgpr2
	s_and_saveexec_b64 s[88:89], s[52:53]
	s_cbranch_execz .LBB24_348
; %bb.285:                              ;   in Loop: Header=BB24_12 Depth=1
	v_mov_b32_e32 v2, 50
	s_and_saveexec_b64 s[98:99], s[86:87]
	s_cbranch_execz .LBB24_287
; %bb.286:                              ;   in Loop: Header=BB24_12 Depth=1
	v_add_u32_e32 v2, 0x1540, v193
	ds_read_b32 v6, v2 offset:260
	v_mad_u64_u32 v[2:3], s[52:53], v160, s25, v[92:93]
	scratch_load_dword v3, off, off offset:20 ; 4-byte Folded Reload
	v_lshl_add_u32 v2, v2, 6, v52
	s_waitcnt vmcnt(0)
	ds_read_b32 v4, v3
	v_ashrrev_i32_e32 v3, 31, v2
	v_lshl_add_u64 v[2:3], v[2:3], 3, v[134:135]
	s_waitcnt lgkmcnt(0)
	v_cvt_f32_f16_sdwa v5, v4 dst_sel:DWORD dst_unused:UNUSED_PAD src0_sel:WORD_1
	v_cvt_f32_f16_e32 v4, v4
	v_pk_add_f32 v[4:5], v[4:5], 0 op_sel_hi:[1,0]
	s_nop 0
	v_div_scale_f32 v7, s[52:53], v6, v6, v5
	v_rcp_f32_e32 v8, v7
	s_nop 0
	v_fma_f32 v9, -v7, v8, 1.0
	v_fmac_f32_e32 v8, v9, v8
	v_div_scale_f32 v9, vcc, v5, v6, v5
	v_mul_f32_e32 v10, v9, v8
	v_fma_f32 v11, -v7, v10, v9
	v_fmac_f32_e32 v10, v11, v8
	v_fma_f32 v7, -v7, v10, v9
	v_div_fmas_f32 v7, v7, v8, v10
	v_div_fixup_f32 v5, v7, v6, v5
	v_div_scale_f32 v7, s[52:53], v6, v6, v4
	v_rcp_f32_e32 v8, v7
	s_nop 0
	v_fma_f32 v9, -v7, v8, 1.0
	v_fmac_f32_e32 v8, v9, v8
	v_div_scale_f32 v9, vcc, v4, v6, v4
	v_mul_f32_e32 v10, v9, v8
	v_fma_f32 v11, -v7, v10, v9
	v_fmac_f32_e32 v10, v11, v8
	v_fma_f32 v7, -v7, v10, v9
	v_div_fmas_f32 v7, v7, v8, v10
	v_div_fixup_f32 v4, v7, v6, v4
	global_store_dwordx2 v[2:3], v[4:5], off
	v_mov_b32_e32 v2, 0
.LBB24_287:                             ;   in Loop: Header=BB24_12 Depth=1
	s_or_b64 exec, exec, s[98:99]
	v_cmp_gt_i32_e32 vcc, 50, v2
	s_mov_b64 s[52:53], -1
	s_and_saveexec_b64 s[86:87], vcc
; %bb.288:                              ;   in Loop: Header=BB24_12 Depth=1
	v_cmp_eq_u32_e32 vcc, 0, v2
	s_orn2_b64 s[52:53], vcc, exec
; %bb.289:                              ;   in Loop: Header=BB24_12 Depth=1
	s_or_b64 exec, exec, s[86:87]
	s_mov_b64 s[98:99], s[68:69]
                                        ; implicit-def: $vgpr4_vgpr5
                                        ; implicit-def: $vgpr2
	s_and_saveexec_b64 s[86:87], s[52:53]
	s_cbranch_execz .LBB24_347
; %bb.290:                              ;   in Loop: Header=BB24_12 Depth=1
	v_mov_b32_e32 v2, 50
	s_and_saveexec_b64 s[98:99], s[84:85]
	s_cbranch_execz .LBB24_292
; %bb.291:                              ;   in Loop: Header=BB24_12 Depth=1
	v_add_u32_e32 v2, 0x1980, v193
	ds_read_b32 v6, v2 offset:260
	v_mad_u64_u32 v[2:3], s[52:53], v159, s25, v[50:51]
	scratch_load_dword v3, off, off offset:24 ; 4-byte Folded Reload
	v_lshl_add_u32 v2, v2, 6, v52
	s_waitcnt vmcnt(0)
	ds_read_b32 v4, v3
	v_ashrrev_i32_e32 v3, 31, v2
	v_lshl_add_u64 v[2:3], v[2:3], 3, v[134:135]
	s_waitcnt lgkmcnt(0)
	v_cvt_f32_f16_sdwa v5, v4 dst_sel:DWORD dst_unused:UNUSED_PAD src0_sel:WORD_1
	v_cvt_f32_f16_e32 v4, v4
	v_pk_add_f32 v[4:5], v[4:5], 0 op_sel_hi:[1,0]
	s_nop 0
	v_div_scale_f32 v7, s[52:53], v6, v6, v5
	v_rcp_f32_e32 v8, v7
	s_nop 0
	v_fma_f32 v9, -v7, v8, 1.0
	v_fmac_f32_e32 v8, v9, v8
	v_div_scale_f32 v9, vcc, v5, v6, v5
	v_mul_f32_e32 v10, v9, v8
	v_fma_f32 v11, -v7, v10, v9
	v_fmac_f32_e32 v10, v11, v8
	v_fma_f32 v7, -v7, v10, v9
	v_div_fmas_f32 v7, v7, v8, v10
	v_div_fixup_f32 v5, v7, v6, v5
	v_div_scale_f32 v7, s[52:53], v6, v6, v4
	v_rcp_f32_e32 v8, v7
	s_nop 0
	v_fma_f32 v9, -v7, v8, 1.0
	v_fmac_f32_e32 v8, v9, v8
	v_div_scale_f32 v9, vcc, v4, v6, v4
	v_mul_f32_e32 v10, v9, v8
	v_fma_f32 v11, -v7, v10, v9
	v_fmac_f32_e32 v10, v11, v8
	v_fma_f32 v7, -v7, v10, v9
	v_div_fmas_f32 v7, v7, v8, v10
	v_div_fixup_f32 v4, v7, v6, v4
	global_store_dwordx2 v[2:3], v[4:5], off
	v_mov_b32_e32 v2, 0
.LBB24_292:                             ;   in Loop: Header=BB24_12 Depth=1
	;; [unrolled: 60-line block ×3, first 2 shown]
	s_or_b64 exec, exec, s[98:99]
	v_cmp_gt_i32_e32 vcc, 50, v2
	s_mov_b64 s[52:53], -1
	s_and_saveexec_b64 s[82:83], vcc
; %bb.298:                              ;   in Loop: Header=BB24_12 Depth=1
	v_cmp_eq_u32_e32 vcc, 0, v2
	s_orn2_b64 s[52:53], vcc, exec
; %bb.299:                              ;   in Loop: Header=BB24_12 Depth=1
	s_or_b64 exec, exec, s[82:83]
	s_mov_b64 s[98:99], s[68:69]
                                        ; implicit-def: $vgpr4_vgpr5
                                        ; implicit-def: $vgpr2
	s_and_saveexec_b64 s[82:83], s[52:53]
	s_cbranch_execz .LBB24_345
; %bb.300:                              ;   in Loop: Header=BB24_12 Depth=1
	v_mov_b32_e32 v2, 50
	s_and_saveexec_b64 s[98:99], s[80:81]
	s_cbranch_execz .LBB24_302
; %bb.301:                              ;   in Loop: Header=BB24_12 Depth=1
	scratch_load_dword v2, off, off offset:36 ; 4-byte Folded Reload
	s_waitcnt vmcnt(0)
	ds_read_b32 v6, v2 offset:260
	v_mad_u64_u32 v[2:3], s[52:53], v157, s25, v[50:51]
	scratch_load_dword v3, off, off offset:40 ; 4-byte Folded Reload
	v_lshl_add_u32 v2, v2, 6, v52
	s_waitcnt vmcnt(0)
	ds_read_b32 v4, v3
	v_ashrrev_i32_e32 v3, 31, v2
	v_lshl_add_u64 v[2:3], v[2:3], 3, v[134:135]
	s_waitcnt lgkmcnt(0)
	v_cvt_f32_f16_sdwa v5, v4 dst_sel:DWORD dst_unused:UNUSED_PAD src0_sel:WORD_1
	v_cvt_f32_f16_e32 v4, v4
	v_pk_add_f32 v[4:5], v[4:5], 0 op_sel_hi:[1,0]
	s_nop 0
	v_div_scale_f32 v7, s[52:53], v6, v6, v5
	v_rcp_f32_e32 v8, v7
	s_nop 0
	v_fma_f32 v9, -v7, v8, 1.0
	v_fmac_f32_e32 v8, v9, v8
	v_div_scale_f32 v9, vcc, v5, v6, v5
	v_mul_f32_e32 v10, v9, v8
	v_fma_f32 v11, -v7, v10, v9
	v_fmac_f32_e32 v10, v11, v8
	v_fma_f32 v7, -v7, v10, v9
	v_div_fmas_f32 v7, v7, v8, v10
	v_div_fixup_f32 v5, v7, v6, v5
	v_div_scale_f32 v7, s[52:53], v6, v6, v4
	v_rcp_f32_e32 v8, v7
	s_nop 0
	v_fma_f32 v9, -v7, v8, 1.0
	v_fmac_f32_e32 v8, v9, v8
	v_div_scale_f32 v9, vcc, v4, v6, v4
	v_mul_f32_e32 v10, v9, v8
	v_fma_f32 v11, -v7, v10, v9
	v_fmac_f32_e32 v10, v11, v8
	v_fma_f32 v7, -v7, v10, v9
	v_div_fmas_f32 v7, v7, v8, v10
	v_div_fixup_f32 v4, v7, v6, v4
	global_store_dwordx2 v[2:3], v[4:5], off
	v_mov_b32_e32 v2, 0
.LBB24_302:                             ;   in Loop: Header=BB24_12 Depth=1
	s_or_b64 exec, exec, s[98:99]
	v_cmp_gt_i32_e32 vcc, 50, v2
	s_mov_b64 s[52:53], -1
	s_and_saveexec_b64 s[80:81], vcc
; %bb.303:                              ;   in Loop: Header=BB24_12 Depth=1
	v_cmp_eq_u32_e32 vcc, 0, v2
	s_orn2_b64 s[52:53], vcc, exec
; %bb.304:                              ;   in Loop: Header=BB24_12 Depth=1
	s_or_b64 exec, exec, s[80:81]
	s_mov_b64 s[98:99], s[68:69]
                                        ; implicit-def: $vgpr4_vgpr5
                                        ; implicit-def: $vgpr2
	s_and_saveexec_b64 s[80:81], s[52:53]
	s_cbranch_execz .LBB24_344
; %bb.305:                              ;   in Loop: Header=BB24_12 Depth=1
	v_mov_b32_e32 v2, 50
	s_and_saveexec_b64 s[98:99], s[78:79]
	s_cbranch_execz .LBB24_307
; %bb.306:                              ;   in Loop: Header=BB24_12 Depth=1
	v_add_u32_e32 v2, 0x2640, v193
	ds_read_b32 v6, v2 offset:260
	v_mad_u64_u32 v[2:3], s[52:53], v156, s25, v[100:101]
	scratch_load_dword v3, off, off offset:44 ; 4-byte Folded Reload
	v_lshl_add_u32 v2, v2, 6, v52
	s_waitcnt vmcnt(0)
	ds_read_b32 v4, v3
	v_ashrrev_i32_e32 v3, 31, v2
	v_lshl_add_u64 v[2:3], v[2:3], 3, v[134:135]
	s_waitcnt lgkmcnt(0)
	v_cvt_f32_f16_sdwa v5, v4 dst_sel:DWORD dst_unused:UNUSED_PAD src0_sel:WORD_1
	v_cvt_f32_f16_e32 v4, v4
	v_pk_add_f32 v[4:5], v[4:5], 0 op_sel_hi:[1,0]
	s_nop 0
	v_div_scale_f32 v7, s[52:53], v6, v6, v5
	v_rcp_f32_e32 v8, v7
	s_nop 0
	v_fma_f32 v9, -v7, v8, 1.0
	v_fmac_f32_e32 v8, v9, v8
	v_div_scale_f32 v9, vcc, v5, v6, v5
	v_mul_f32_e32 v10, v9, v8
	v_fma_f32 v11, -v7, v10, v9
	v_fmac_f32_e32 v10, v11, v8
	v_fma_f32 v7, -v7, v10, v9
	v_div_fmas_f32 v7, v7, v8, v10
	v_div_fixup_f32 v5, v7, v6, v5
	v_div_scale_f32 v7, s[52:53], v6, v6, v4
	v_rcp_f32_e32 v8, v7
	s_nop 0
	v_fma_f32 v9, -v7, v8, 1.0
	v_fmac_f32_e32 v8, v9, v8
	v_div_scale_f32 v9, vcc, v4, v6, v4
	v_mul_f32_e32 v10, v9, v8
	v_fma_f32 v11, -v7, v10, v9
	v_fmac_f32_e32 v10, v11, v8
	v_fma_f32 v7, -v7, v10, v9
	v_div_fmas_f32 v7, v7, v8, v10
	v_div_fixup_f32 v4, v7, v6, v4
	global_store_dwordx2 v[2:3], v[4:5], off
	v_mov_b32_e32 v2, 0
.LBB24_307:                             ;   in Loop: Header=BB24_12 Depth=1
	s_or_b64 exec, exec, s[98:99]
	v_cmp_gt_i32_e32 vcc, 50, v2
	s_mov_b64 s[52:53], -1
	s_and_saveexec_b64 s[78:79], vcc
; %bb.308:                              ;   in Loop: Header=BB24_12 Depth=1
	v_cmp_eq_u32_e32 vcc, 0, v2
	s_orn2_b64 s[52:53], vcc, exec
; %bb.309:                              ;   in Loop: Header=BB24_12 Depth=1
	s_or_b64 exec, exec, s[78:79]
	s_mov_b64 s[98:99], s[68:69]
                                        ; implicit-def: $vgpr4_vgpr5
                                        ; implicit-def: $vgpr2
	s_and_saveexec_b64 s[78:79], s[52:53]
	s_cbranch_execz .LBB24_343
; %bb.310:                              ;   in Loop: Header=BB24_12 Depth=1
	v_mov_b32_e32 v2, 50
	s_and_saveexec_b64 s[98:99], s[76:77]
	s_cbranch_execz .LBB24_312
; %bb.311:                              ;   in Loop: Header=BB24_12 Depth=1
	v_add_u32_e32 v2, 0x2a80, v193
	ds_read_b32 v6, v2 offset:260
	v_mad_u64_u32 v[2:3], s[52:53], v115, s25, v[50:51]
	scratch_load_dword v3, off, off offset:48 ; 4-byte Folded Reload
	v_lshl_add_u32 v2, v2, 6, v52
	s_waitcnt vmcnt(0)
	ds_read_b32 v4, v3
	v_ashrrev_i32_e32 v3, 31, v2
	v_lshl_add_u64 v[2:3], v[2:3], 3, v[134:135]
	s_waitcnt lgkmcnt(0)
	v_cvt_f32_f16_sdwa v5, v4 dst_sel:DWORD dst_unused:UNUSED_PAD src0_sel:WORD_1
	v_cvt_f32_f16_e32 v4, v4
	v_pk_add_f32 v[4:5], v[4:5], 0 op_sel_hi:[1,0]
	s_nop 0
	v_div_scale_f32 v7, s[52:53], v6, v6, v5
	v_rcp_f32_e32 v8, v7
	s_nop 0
	v_fma_f32 v9, -v7, v8, 1.0
	v_fmac_f32_e32 v8, v9, v8
	v_div_scale_f32 v9, vcc, v5, v6, v5
	v_mul_f32_e32 v10, v9, v8
	v_fma_f32 v11, -v7, v10, v9
	v_fmac_f32_e32 v10, v11, v8
	v_fma_f32 v7, -v7, v10, v9
	v_div_fmas_f32 v7, v7, v8, v10
	v_div_fixup_f32 v5, v7, v6, v5
	v_div_scale_f32 v7, s[52:53], v6, v6, v4
	v_rcp_f32_e32 v8, v7
	s_nop 0
	v_fma_f32 v9, -v7, v8, 1.0
	v_fmac_f32_e32 v8, v9, v8
	v_div_scale_f32 v9, vcc, v4, v6, v4
	v_mul_f32_e32 v10, v9, v8
	v_fma_f32 v11, -v7, v10, v9
	v_fmac_f32_e32 v10, v11, v8
	v_fma_f32 v7, -v7, v10, v9
	v_div_fmas_f32 v7, v7, v8, v10
	v_div_fixup_f32 v4, v7, v6, v4
	global_store_dwordx2 v[2:3], v[4:5], off
	v_mov_b32_e32 v2, 0
.LBB24_312:                             ;   in Loop: Header=BB24_12 Depth=1
	;; [unrolled: 60-line block ×3, first 2 shown]
	s_or_b64 exec, exec, s[98:99]
	v_cmp_gt_i32_e32 vcc, 50, v2
	s_mov_b64 s[52:53], -1
	s_and_saveexec_b64 s[74:75], vcc
; %bb.318:                              ;   in Loop: Header=BB24_12 Depth=1
	v_cmp_eq_u32_e32 vcc, 0, v2
	s_orn2_b64 s[52:53], vcc, exec
; %bb.319:                              ;   in Loop: Header=BB24_12 Depth=1
	s_or_b64 exec, exec, s[74:75]
	s_mov_b64 s[98:99], s[68:69]
                                        ; implicit-def: $vgpr4_vgpr5
                                        ; implicit-def: $vgpr2
	s_and_saveexec_b64 s[74:75], s[52:53]
	s_cbranch_execz .LBB24_341
; %bb.320:                              ;   in Loop: Header=BB24_12 Depth=1
	v_mov_b32_e32 v2, 50
	s_and_saveexec_b64 s[98:99], s[72:73]
	s_cbranch_execz .LBB24_322
; %bb.321:                              ;   in Loop: Header=BB24_12 Depth=1
	scratch_load_dword v2, off, off offset:60 ; 4-byte Folded Reload
	s_waitcnt vmcnt(0)
	ds_read_b32 v6, v2 offset:260
	v_mad_u64_u32 v[2:3], s[52:53], v107, s25, v[50:51]
	scratch_load_dword v3, off, off offset:64 ; 4-byte Folded Reload
	v_lshl_add_u32 v2, v2, 6, v52
	s_waitcnt vmcnt(0)
	ds_read_b32 v4, v3
	v_ashrrev_i32_e32 v3, 31, v2
	v_lshl_add_u64 v[2:3], v[2:3], 3, v[134:135]
	s_waitcnt lgkmcnt(0)
	v_cvt_f32_f16_sdwa v5, v4 dst_sel:DWORD dst_unused:UNUSED_PAD src0_sel:WORD_1
	v_cvt_f32_f16_e32 v4, v4
	v_pk_add_f32 v[4:5], v[4:5], 0 op_sel_hi:[1,0]
	s_nop 0
	v_div_scale_f32 v7, s[52:53], v6, v6, v5
	v_rcp_f32_e32 v8, v7
	s_nop 0
	v_fma_f32 v9, -v7, v8, 1.0
	v_fmac_f32_e32 v8, v9, v8
	v_div_scale_f32 v9, vcc, v5, v6, v5
	v_mul_f32_e32 v10, v9, v8
	v_fma_f32 v11, -v7, v10, v9
	v_fmac_f32_e32 v10, v11, v8
	v_fma_f32 v7, -v7, v10, v9
	v_div_fmas_f32 v7, v7, v8, v10
	v_div_fixup_f32 v5, v7, v6, v5
	v_div_scale_f32 v7, s[52:53], v6, v6, v4
	v_rcp_f32_e32 v8, v7
	s_nop 0
	v_fma_f32 v9, -v7, v8, 1.0
	v_fmac_f32_e32 v8, v9, v8
	v_div_scale_f32 v9, vcc, v4, v6, v4
	v_mul_f32_e32 v10, v9, v8
	v_fma_f32 v11, -v7, v10, v9
	v_fmac_f32_e32 v10, v11, v8
	v_fma_f32 v7, -v7, v10, v9
	v_div_fmas_f32 v7, v7, v8, v10
	v_div_fixup_f32 v4, v7, v6, v4
	global_store_dwordx2 v[2:3], v[4:5], off
	v_mov_b32_e32 v2, 0
.LBB24_322:                             ;   in Loop: Header=BB24_12 Depth=1
	s_or_b64 exec, exec, s[98:99]
	v_cmp_gt_i32_e32 vcc, 50, v2
	s_mov_b64 s[52:53], -1
	s_and_saveexec_b64 s[72:73], vcc
; %bb.323:                              ;   in Loop: Header=BB24_12 Depth=1
	v_cmp_eq_u32_e32 vcc, 0, v2
	s_orn2_b64 s[52:53], vcc, exec
; %bb.324:                              ;   in Loop: Header=BB24_12 Depth=1
	s_or_b64 exec, exec, s[72:73]
	s_mov_b64 s[98:99], s[68:69]
                                        ; implicit-def: $vgpr4_vgpr5
                                        ; implicit-def: $vgpr2
	s_and_saveexec_b64 s[72:73], s[52:53]
	s_cbranch_execz .LBB24_340
; %bb.325:                              ;   in Loop: Header=BB24_12 Depth=1
	v_mov_b32_e32 v2, 50
	s_and_saveexec_b64 s[98:99], s[70:71]
	s_cbranch_execz .LBB24_327
; %bb.326:                              ;   in Loop: Header=BB24_12 Depth=1
	v_add_u32_e32 v2, 0x3740, v193
	ds_read_b32 v6, v2 offset:260
	v_mad_u64_u32 v[2:3], s[52:53], v103, s25, v[108:109]
	scratch_load_dword v3, off, off offset:68 ; 4-byte Folded Reload
	v_lshl_add_u32 v2, v2, 6, v52
	s_waitcnt vmcnt(0)
	ds_read_b32 v4, v3
	v_ashrrev_i32_e32 v3, 31, v2
	v_lshl_add_u64 v[2:3], v[2:3], 3, v[134:135]
	s_waitcnt lgkmcnt(0)
	v_cvt_f32_f16_sdwa v5, v4 dst_sel:DWORD dst_unused:UNUSED_PAD src0_sel:WORD_1
	v_cvt_f32_f16_e32 v4, v4
	v_pk_add_f32 v[4:5], v[4:5], 0 op_sel_hi:[1,0]
	s_nop 0
	v_div_scale_f32 v7, s[52:53], v6, v6, v5
	v_rcp_f32_e32 v8, v7
	s_nop 0
	v_fma_f32 v9, -v7, v8, 1.0
	v_fmac_f32_e32 v8, v9, v8
	v_div_scale_f32 v9, vcc, v5, v6, v5
	v_mul_f32_e32 v10, v9, v8
	v_fma_f32 v11, -v7, v10, v9
	v_fmac_f32_e32 v10, v11, v8
	v_fma_f32 v7, -v7, v10, v9
	v_div_fmas_f32 v7, v7, v8, v10
	v_div_fixup_f32 v5, v7, v6, v5
	v_div_scale_f32 v7, s[52:53], v6, v6, v4
	v_rcp_f32_e32 v8, v7
	s_nop 0
	v_fma_f32 v9, -v7, v8, 1.0
	v_fmac_f32_e32 v8, v9, v8
	v_div_scale_f32 v9, vcc, v4, v6, v4
	v_mul_f32_e32 v10, v9, v8
	v_fma_f32 v11, -v7, v10, v9
	v_fmac_f32_e32 v10, v11, v8
	v_fma_f32 v7, -v7, v10, v9
	v_div_fmas_f32 v7, v7, v8, v10
	v_div_fixup_f32 v4, v7, v6, v4
	global_store_dwordx2 v[2:3], v[4:5], off
	v_mov_b32_e32 v2, 0
.LBB24_327:                             ;   in Loop: Header=BB24_12 Depth=1
	s_or_b64 exec, exec, s[98:99]
	v_cmp_gt_i32_e32 vcc, 50, v2
	s_mov_b64 s[52:53], -1
	s_and_saveexec_b64 s[70:71], vcc
; %bb.328:                              ;   in Loop: Header=BB24_12 Depth=1
	v_cmp_eq_u32_e32 vcc, 0, v2
	s_orn2_b64 s[52:53], vcc, exec
; %bb.329:                              ;   in Loop: Header=BB24_12 Depth=1
	s_or_b64 exec, exec, s[70:71]
	s_mov_b64 s[98:99], s[68:69]
                                        ; implicit-def: $vgpr4_vgpr5
                                        ; implicit-def: $vgpr2
	s_and_saveexec_b64 s[70:71], s[52:53]
	s_cbranch_execz .LBB24_339
; %bb.330:                              ;   in Loop: Header=BB24_12 Depth=1
	v_mov_b32_e32 v2, 50
	s_and_saveexec_b64 s[98:99], s[6:7]
	s_cbranch_execz .LBB24_332
; %bb.331:                              ;   in Loop: Header=BB24_12 Depth=1
	v_add_u32_e32 v2, 0x3b80, v193
	ds_read_b32 v6, v2 offset:260
	v_mad_u64_u32 v[2:3], s[6:7], v99, s25, v[50:51]
	scratch_load_dword v3, off, off offset:72 ; 4-byte Folded Reload
	v_lshl_add_u32 v2, v2, 6, v52
	s_waitcnt vmcnt(0)
	ds_read_b32 v4, v3
	v_ashrrev_i32_e32 v3, 31, v2
	v_lshl_add_u64 v[2:3], v[2:3], 3, v[134:135]
	s_waitcnt lgkmcnt(0)
	v_cvt_f32_f16_sdwa v5, v4 dst_sel:DWORD dst_unused:UNUSED_PAD src0_sel:WORD_1
	v_cvt_f32_f16_e32 v4, v4
	v_pk_add_f32 v[4:5], v[4:5], 0 op_sel_hi:[1,0]
	s_nop 0
	v_div_scale_f32 v7, s[6:7], v6, v6, v5
	v_rcp_f32_e32 v8, v7
	s_nop 0
	v_fma_f32 v9, -v7, v8, 1.0
	v_fmac_f32_e32 v8, v9, v8
	v_div_scale_f32 v9, vcc, v5, v6, v5
	v_mul_f32_e32 v10, v9, v8
	v_fma_f32 v11, -v7, v10, v9
	v_fmac_f32_e32 v10, v11, v8
	v_fma_f32 v7, -v7, v10, v9
	v_div_fmas_f32 v7, v7, v8, v10
	v_div_fixup_f32 v5, v7, v6, v5
	v_div_scale_f32 v7, s[6:7], v6, v6, v4
	v_rcp_f32_e32 v8, v7
	s_nop 0
	v_fma_f32 v9, -v7, v8, 1.0
	v_fmac_f32_e32 v8, v9, v8
	v_div_scale_f32 v9, vcc, v4, v6, v4
	v_mul_f32_e32 v10, v9, v8
	v_fma_f32 v11, -v7, v10, v9
	v_fmac_f32_e32 v10, v11, v8
	v_fma_f32 v7, -v7, v10, v9
	v_div_fmas_f32 v7, v7, v8, v10
	v_div_fixup_f32 v4, v7, v6, v4
	global_store_dwordx2 v[2:3], v[4:5], off
	v_mov_b32_e32 v2, 0
.LBB24_332:                             ;   in Loop: Header=BB24_12 Depth=1
	s_or_b64 exec, exec, s[98:99]
	v_cmp_gt_i32_e32 vcc, 50, v2
	s_mov_b64 s[52:53], -1
	s_and_saveexec_b64 s[6:7], vcc
; %bb.333:                              ;   in Loop: Header=BB24_12 Depth=1
	v_cmp_eq_u32_e32 vcc, 0, v2
	s_orn2_b64 s[52:53], vcc, exec
; %bb.334:                              ;   in Loop: Header=BB24_12 Depth=1
	s_or_b64 exec, exec, s[6:7]
	s_mov_b64 s[98:99], s[68:69]
                                        ; implicit-def: $vgpr4_vgpr5
                                        ; implicit-def: $vgpr2
	s_and_saveexec_b64 s[6:7], s[52:53]
	s_cbranch_execz .LBB24_338
; %bb.335:                              ;   in Loop: Header=BB24_12 Depth=1
	s_mov_b64 vcc, s[68:69]
                                        ; implicit-def: $vgpr4_vgpr5
                                        ; implicit-def: $vgpr2
	s_and_saveexec_b64 s[98:99], s[4:5]
	s_cbranch_execz .LBB24_337
; %bb.336:                              ;   in Loop: Header=BB24_12 Depth=1
	v_add_u32_e32 v2, 0x3fc0, v193
	ds_read_b32 v6, v2 offset:260
	v_mad_u64_u32 v[2:3], s[4:5], v87, s25, v[112:113]
	scratch_load_dword v3, off, off offset:76 ; 4-byte Folded Reload
	s_waitcnt vmcnt(0)
	ds_read_b32 v3, v3
	s_waitcnt lgkmcnt(0)
	v_cvt_f32_f16_sdwa v5, v3 dst_sel:DWORD dst_unused:UNUSED_PAD src0_sel:WORD_1
	v_cvt_f32_f16_e32 v4, v3
	v_pk_add_f32 v[4:5], v[4:5], 0 op_sel_hi:[1,0]
	s_nop 0
	v_div_scale_f32 v3, s[4:5], v6, v6, v5
	v_rcp_f32_e32 v7, v3
	s_nop 0
	v_fma_f32 v8, -v3, v7, 1.0
	v_fmac_f32_e32 v7, v8, v7
	v_div_scale_f32 v8, vcc, v5, v6, v5
	v_mul_f32_e32 v9, v8, v7
	v_fma_f32 v10, -v3, v9, v8
	v_fmac_f32_e32 v9, v10, v7
	v_fma_f32 v3, -v3, v9, v8
	v_div_fmas_f32 v3, v3, v7, v9
	v_div_fixup_f32 v5, v3, v6, v5
	v_div_scale_f32 v3, s[4:5], v6, v6, v4
	v_rcp_f32_e32 v7, v3
	s_nop 0
	v_fma_f32 v8, -v3, v7, 1.0
	v_fmac_f32_e32 v7, v8, v7
	v_div_scale_f32 v8, vcc, v4, v6, v4
	v_mul_f32_e32 v9, v8, v7
	v_fma_f32 v10, -v3, v9, v8
	v_fmac_f32_e32 v9, v10, v7
	v_fma_f32 v3, -v3, v9, v8
	v_div_fmas_f32 v3, v3, v7, v9
	v_div_fixup_f32 v4, v3, v6, v4
	s_or_b64 vcc, s[68:69], exec
.LBB24_337:                             ;   in Loop: Header=BB24_12 Depth=1
	s_or_b64 exec, exec, s[98:99]
	s_andn2_b64 s[4:5], s[68:69], exec
	s_and_b64 s[52:53], vcc, exec
	s_or_b64 s[98:99], s[4:5], s[52:53]
.LBB24_338:                             ;   in Loop: Header=BB24_12 Depth=1
	s_or_b64 exec, exec, s[6:7]
	s_andn2_b64 s[4:5], s[68:69], exec
	s_and_b64 s[6:7], s[98:99], exec
	s_or_b64 s[98:99], s[4:5], s[6:7]
.LBB24_339:                             ;   in Loop: Header=BB24_12 Depth=1
	s_or_b64 exec, exec, s[70:71]
	s_andn2_b64 s[4:5], s[68:69], exec
	s_and_b64 s[6:7], s[98:99], exec
	s_or_b64 s[98:99], s[4:5], s[6:7]
.LBB24_340:                             ;   in Loop: Header=BB24_12 Depth=1
	s_or_b64 exec, exec, s[72:73]
	s_andn2_b64 s[4:5], s[68:69], exec
	s_and_b64 s[6:7], s[98:99], exec
	s_or_b64 s[98:99], s[4:5], s[6:7]
.LBB24_341:                             ;   in Loop: Header=BB24_12 Depth=1
	s_or_b64 exec, exec, s[74:75]
	s_andn2_b64 s[4:5], s[68:69], exec
	s_and_b64 s[6:7], s[98:99], exec
	s_or_b64 s[98:99], s[4:5], s[6:7]
.LBB24_342:                             ;   in Loop: Header=BB24_12 Depth=1
	s_or_b64 exec, exec, s[76:77]
	s_andn2_b64 s[4:5], s[68:69], exec
	s_and_b64 s[6:7], s[98:99], exec
	s_or_b64 s[98:99], s[4:5], s[6:7]
.LBB24_343:                             ;   in Loop: Header=BB24_12 Depth=1
	s_or_b64 exec, exec, s[78:79]
	s_andn2_b64 s[4:5], s[68:69], exec
	s_and_b64 s[6:7], s[98:99], exec
	s_or_b64 s[98:99], s[4:5], s[6:7]
.LBB24_344:                             ;   in Loop: Header=BB24_12 Depth=1
	s_or_b64 exec, exec, s[80:81]
	s_andn2_b64 s[4:5], s[68:69], exec
	s_and_b64 s[6:7], s[98:99], exec
	s_or_b64 s[98:99], s[4:5], s[6:7]
.LBB24_345:                             ;   in Loop: Header=BB24_12 Depth=1
	s_or_b64 exec, exec, s[82:83]
	s_andn2_b64 s[4:5], s[68:69], exec
	s_and_b64 s[6:7], s[98:99], exec
	s_or_b64 s[98:99], s[4:5], s[6:7]
.LBB24_346:                             ;   in Loop: Header=BB24_12 Depth=1
	s_or_b64 exec, exec, s[84:85]
	s_andn2_b64 s[4:5], s[68:69], exec
	s_and_b64 s[6:7], s[98:99], exec
	s_or_b64 s[98:99], s[4:5], s[6:7]
.LBB24_347:                             ;   in Loop: Header=BB24_12 Depth=1
	s_or_b64 exec, exec, s[86:87]
	s_andn2_b64 s[4:5], s[68:69], exec
	s_and_b64 s[6:7], s[98:99], exec
	s_or_b64 s[98:99], s[4:5], s[6:7]
.LBB24_348:                             ;   in Loop: Header=BB24_12 Depth=1
	s_or_b64 exec, exec, s[88:89]
	s_andn2_b64 s[4:5], s[68:69], exec
	s_and_b64 s[6:7], s[98:99], exec
	s_or_b64 s[98:99], s[4:5], s[6:7]
.LBB24_349:                             ;   in Loop: Header=BB24_12 Depth=1
	s_or_b64 exec, exec, s[90:91]
	s_andn2_b64 s[4:5], s[68:69], exec
	s_and_b64 s[6:7], s[98:99], exec
	s_or_b64 s[98:99], s[4:5], s[6:7]
.LBB24_350:                             ;   in Loop: Header=BB24_12 Depth=1
	s_or_b64 exec, exec, s[92:93]
	s_andn2_b64 s[4:5], s[68:69], exec
	s_and_b64 s[6:7], s[98:99], exec
	s_or_b64 s[98:99], s[4:5], s[6:7]
.LBB24_351:                             ;   in Loop: Header=BB24_12 Depth=1
	s_or_b64 exec, exec, s[94:95]
	s_andn2_b64 s[4:5], s[68:69], exec
	s_and_b64 s[6:7], s[98:99], exec
	s_or_b64 s[68:69], s[4:5], s[6:7]
.LBB24_352:                             ;   in Loop: Header=BB24_12 Depth=1
	s_or_b64 exec, exec, s[96:97]
.LBB24_353:                             ;   in Loop: Header=BB24_12 Depth=1
	s_and_saveexec_b64 s[4:5], s[68:69]
	s_cbranch_execz .LBB24_11
; %bb.354:                              ;   in Loop: Header=BB24_12 Depth=1
	v_lshl_add_u32 v2, v2, 6, v52
	v_ashrrev_i32_e32 v3, 31, v2
	v_lshl_add_u64 v[2:3], v[2:3], 3, v[134:135]
	global_store_dwordx2 v[2:3], v[4:5], off
	s_branch .LBB24_11
.LBB24_355:
	s_mov_b32 s1, s69
.LBB24_356:
	s_andn2_b64 vcc, exec, s[4:5]
	s_cbranch_vccnz .LBB24_433
; %bb.357:
	s_abs_i32 s0, s63
	v_cvt_f32_u32_e32 v2, s0
	s_sub_i32 s4, 0, s0
	s_abs_i32 s3, s50
	s_mov_b32 s21, s1
	v_rcp_iflag_f32_e32 v2, v2
	s_xor_b32 s1, s50, s63
	s_ashr_i32 s1, s1, 31
	v_readlane_b32 s20, v255, 1
	v_mul_f32_e32 v2, 0x4f7ffffe, v2
	v_cvt_u32_f32_e32 v2, v2
	v_mov_b32_e32 v16, s35
	v_readfirstlane_b32 s5, v2
	s_mul_i32 s4, s4, s5
	s_mul_hi_u32 s4, s5, s4
	s_add_i32 s5, s5, s4
	s_mul_hi_u32 s4, s3, s5
	s_mul_i32 s5, s4, s0
	s_sub_i32 s3, s3, s5
	s_add_i32 s6, s4, 1
	s_sub_i32 s5, s3, s0
	s_cmp_ge_u32 s3, s0
	s_cselect_b32 s4, s6, s4
	s_cselect_b32 s3, s5, s3
	s_add_i32 s5, s4, 1
	s_cmp_ge_u32 s3, s0
	s_cselect_b32 s0, s5, s4
	s_abs_i32 s4, s62
	v_cvt_f32_u32_e32 v2, s4
	s_xor_b32 s0, s0, s1
	s_sub_i32 s5, 0, s4
	s_sub_i32 s3, s0, s1
	v_rcp_iflag_f32_e32 v2, v2
	s_mul_i32 s0, s3, s63
	s_sub_i32 s0, s50, s0
	s_abs_i32 s6, s0
	v_mul_f32_e32 v2, 0x4f7ffffe, v2
	v_cvt_u32_f32_e32 v2, v2
	s_xor_b32 s1, s0, s62
	s_ashr_i32 s1, s1, 31
	v_readfirstlane_b32 s7, v2
	s_mul_i32 s5, s5, s7
	s_mul_hi_u32 s5, s7, s5
	s_add_i32 s7, s7, s5
	s_mul_hi_u32 s5, s6, s7
	s_mul_i32 s7, s5, s4
	s_sub_i32 s6, s6, s7
	s_add_i32 s16, s5, 1
	s_sub_i32 s7, s6, s4
	s_cmp_ge_u32 s6, s4
	s_cselect_b32 s5, s16, s5
	s_cselect_b32 s6, s7, s6
	s_add_i32 s7, s5, 1
	s_cmp_ge_u32 s6, s4
	s_cselect_b32 s4, s7, s5
	s_abs_i32 s5, s20
	v_cvt_f32_u32_e32 v2, s5
	s_xor_b32 s4, s4, s1
	s_sub_i32 s6, 0, s5
	s_sub_i32 s16, s4, s1
	v_rcp_iflag_f32_e32 v2, v2
	s_mul_i32 s1, s16, s62
	s_sub_i32 s1, s0, s1
	s_abs_i32 s4, s1
	v_mul_f32_e32 v2, 0x4f7ffffe, v2
	v_cvt_u32_f32_e32 v2, v2
	s_xor_b32 s0, s1, s20
	s_ashr_i32 s0, s0, 31
	v_readfirstlane_b32 s7, v2
	s_mul_i32 s6, s6, s7
	s_mul_hi_u32 s6, s7, s6
	s_add_i32 s7, s7, s6
	s_mul_hi_u32 s6, s4, s7
	s_mul_i32 s7, s6, s5
	s_sub_i32 s4, s4, s7
	s_add_i32 s17, s6, 1
	s_sub_i32 s7, s4, s5
	s_cmp_ge_u32 s4, s5
	s_cselect_b32 s6, s17, s6
	s_cselect_b32 s4, s7, s4
	s_add_i32 s7, s6, 1
	s_cmp_ge_u32 s4, s5
	s_cselect_b32 s4, s7, s6
	s_xor_b32 s4, s4, s0
	s_sub_i32 s0, s4, s0
	s_mul_i32 s4, s0, s20
	s_sub_i32 s1, s1, s4
	s_ashr_i32 s4, s1, 31
	s_abs_i32 s1, s1
	s_mul_hi_u32 s5, s1, s46
	s_mul_i32 s6, s5, s2
	s_sub_i32 s1, s1, s6
	s_xor_b32 s4, s4, s21
	s_add_i32 s6, s5, 1
	s_sub_i32 s7, s1, s2
	s_cmp_ge_u32 s1, s2
	s_cselect_b32 s5, s6, s5
	s_cselect_b32 s1, s7, s1
	s_add_i32 s6, s5, 1
	s_cmp_ge_u32 s1, s2
	s_cselect_b32 s1, s6, s5
	s_abs_i32 s2, s68
	v_cvt_f32_u32_e32 v2, s2
	s_xor_b32 s1, s1, s4
	s_sub_i32 s1, s1, s4
	s_cmp_eq_u64 s[18:19], 0
	v_rcp_iflag_f32_e32 v2, v2
	s_nop 0
	v_mul_f32_e32 v2, 0x4f7ffffe, v2
	v_cvt_u32_f32_e32 v2, v2
	s_nop 0
	v_readfirstlane_b32 s20, v2
	s_cbranch_scc1 .LBB24_359
; %bb.358:
	v_readlane_b32 s4, v255, 0
	s_mul_i32 s4, s3, s4
	s_add_i32 s4, s1, s4
	s_ashr_i32 s5, s4, 31
	s_lshl_b64 s[4:5], s[4:5], 2
	s_add_u32 s4, s18, s4
	s_addc_u32 s5, s19, s5
	v_mov_b32_e32 v2, 0
	global_load_dword v2, v2, s[4:5]
	s_waitcnt vmcnt(0)
	v_ashrrev_i32_e32 v3, 31, v2
	v_lshrrev_b32_e32 v3, 26, v3
	v_add_u32_e32 v2, v2, v3
	v_ashrrev_i32_e32 v2, 6, v2
	v_min_i32_e32 v16, s35, v2
.LBB24_359:
	s_mul_i32 s4, s16, s33
	s_lshl_b32 s17, s0, 3
	s_add_i32 s0, s17, s4
	s_mul_i32 s4, s3, s49
	s_ashr_i32 s5, s4, 31
	s_add_u32 s4, s8, s4
	s_mul_i32 s0, s0, s48
	s_addc_u32 s5, s9, s5
	s_ashr_i32 s7, s0, 31
	s_add_u32 s6, s4, s0
	s_addc_u32 s7, s5, s7
	v_and_b32_e32 v78, 0x3ff, v0
	s_lshl_b32 s8, s1, 3
	v_bfe_u32 v0, v51, 3, 7
	v_add_u32_e32 v2, s8, v0
	v_or_b32_e32 v0, s17, v50
	v_cmp_le_i32_e64 s[0:1], s24, v2
	v_cmp_le_i32_e64 s[4:5], s33, v0
	s_mov_b32 s9, 0x10001
	v_lshl_add_u32 v79, v78, 2, 0
	v_cmp_gt_i32_e32 vcc, s33, v0
	s_or_b64 s[0:1], s[0:1], s[4:5]
	s_and_saveexec_b64 s[4:5], s[0:1]
	s_xor_b64 s[0:1], exec, s[4:5]
	v_readlane_b32 s25, v255, 8
; %bb.360:
	s_movk_i32 s4, 0x110
	v_mad_u32_u24 v0, v167, s4, v79
	v_mov_b32_e32 v2, 0
	ds_write_b32 v0, v2
                                        ; implicit-def: $vgpr2
; %bb.361:
	s_or_saveexec_b64 s[0:1], s[0:1]
	v_mul_lo_u32 v0, v1, s9
	v_add_u32_e32 v4, 12, v167
	v_add_u32_e32 v5, 8, v167
	s_xor_b64 exec, exec, s[0:1]
	s_cbranch_execz .LBB24_363
; %bb.362:
	v_mul_lo_u32 v1, v2, s51
	v_mul_lo_u32 v2, v50, s25
	v_add3_u32 v2, v2, v78, v1
	v_ashrrev_i32_e32 v3, 31, v2
	v_lshl_add_u64 v[2:3], v[2:3], 3, s[6:7]
	global_load_dwordx2 v[2:3], v[2:3], off
	s_movk_i32 s4, 0x110
	s_waitcnt vmcnt(0)
	v_cvt_pk_f16_f32 v1, v2, v3
	v_pk_mul_f16 v1, v1, v0
	v_mad_u32_u24 v2, v167, s4, v79
	ds_write_b32 v2, v1
.LBB24_363:
	s_or_b64 exec, exec, s[0:1]
	v_lshrrev_b32_e32 v2, 3, v170
	v_and_b32_e32 v1, 7, v170
	v_add_u32_e32 v2, s8, v2
	v_or_b32_e32 v3, s17, v1
	v_cmp_le_i32_e64 s[0:1], s24, v2
	v_cmp_le_i32_e64 s[4:5], s33, v3
	s_or_b64 s[0:1], s[0:1], s[4:5]
	s_and_saveexec_b64 s[4:5], s[0:1]
	s_xor_b64 s[0:1], exec, s[4:5]
; %bb.364:
	s_movk_i32 s4, 0x110
	v_mad_u32_u24 v1, v170, s4, v79
	v_mov_b32_e32 v2, 0
	ds_write_b32 v1, v2
                                        ; implicit-def: $vgpr2
                                        ; implicit-def: $vgpr1
; %bb.365:
	s_andn2_saveexec_b64 s[0:1], s[0:1]
	s_cbranch_execz .LBB24_367
; %bb.366:
	v_mul_lo_u32 v2, v2, s51
	v_mul_lo_u32 v1, v1, s25
	v_add3_u32 v2, v1, v78, v2
	v_ashrrev_i32_e32 v3, 31, v2
	v_lshl_add_u64 v[2:3], v[2:3], 3, s[6:7]
	global_load_dwordx2 v[2:3], v[2:3], off
	s_movk_i32 s4, 0x110
	s_waitcnt vmcnt(0)
	v_cvt_pk_f16_f32 v1, v2, v3
	v_pk_mul_f16 v1, v1, v0
	v_mad_u32_u24 v2, v170, s4, v79
	ds_write_b32 v2, v1
.LBB24_367:
	s_or_b64 exec, exec, s[0:1]
	v_lshrrev_b32_e32 v1, 3, v5
	v_add_u32_e32 v1, s8, v1
	v_cmp_le_i32_e64 s[0:1], s24, v1
	s_xor_b64 s[4:5], vcc, -1
	s_or_b64 s[0:1], s[0:1], s[4:5]
	s_and_saveexec_b64 s[18:19], s[0:1]
	s_xor_b64 s[0:1], exec, s[18:19]
; %bb.368:
	s_movk_i32 s9, 0x110
	v_mad_u32_u24 v1, v5, s9, v79
	v_mov_b32_e32 v2, 0
	ds_write_b32 v1, v2
                                        ; implicit-def: $vgpr1
; %bb.369:
	s_andn2_saveexec_b64 s[0:1], s[0:1]
	s_cbranch_execz .LBB24_371
; %bb.370:
	v_mul_lo_u32 v1, v1, s51
	v_mul_lo_u32 v2, v50, s25
	v_add3_u32 v2, v2, v78, v1
	v_ashrrev_i32_e32 v3, 31, v2
	v_lshl_add_u64 v[2:3], v[2:3], 3, s[6:7]
	global_load_dwordx2 v[2:3], v[2:3], off
	s_movk_i32 s9, 0x110
	s_waitcnt vmcnt(0)
	v_cvt_pk_f16_f32 v1, v2, v3
	v_pk_mul_f16 v1, v1, v0
	v_mad_u32_u24 v2, v5, s9, v79
	ds_write_b32 v2, v1
.LBB24_371:
	s_or_b64 exec, exec, s[0:1]
	v_lshrrev_b32_e32 v2, 3, v4
	v_and_b32_e32 v1, 7, v4
	v_add_u32_e32 v2, s8, v2
	v_or_b32_e32 v3, s17, v1
	v_cmp_le_i32_e32 vcc, s24, v2
	v_cmp_le_i32_e64 s[0:1], s33, v3
	s_or_b64 s[0:1], vcc, s[0:1]
	s_and_saveexec_b64 s[18:19], s[0:1]
	s_xor_b64 s[0:1], exec, s[18:19]
; %bb.372:
	s_movk_i32 s9, 0x110
	v_mad_u32_u24 v1, v4, s9, v79
	v_mov_b32_e32 v2, 0
	ds_write_b32 v1, v2
                                        ; implicit-def: $vgpr2
                                        ; implicit-def: $vgpr1
; %bb.373:
	s_andn2_saveexec_b64 s[0:1], s[0:1]
	s_cbranch_execz .LBB24_375
; %bb.374:
	v_mul_lo_u32 v2, v2, s51
	v_mul_lo_u32 v1, v1, s25
	v_add3_u32 v2, v1, v78, v2
	v_ashrrev_i32_e32 v3, 31, v2
	v_lshl_add_u64 v[2:3], v[2:3], 3, s[6:7]
	global_load_dwordx2 v[2:3], v[2:3], off
	s_movk_i32 s9, 0x110
	s_waitcnt vmcnt(0)
	v_cvt_pk_f16_f32 v1, v2, v3
	v_pk_mul_f16 v1, v1, v0
	v_mad_u32_u24 v2, v4, s9, v79
	ds_write_b32 v2, v1
.LBB24_375:
	s_or_b64 exec, exec, s[0:1]
	v_lshrrev_b32_e32 v1, 3, v166
	v_add_u32_e32 v1, s8, v1
	v_cmp_le_i32_e32 vcc, s24, v1
	s_or_b64 s[0:1], vcc, s[4:5]
	s_and_saveexec_b64 s[18:19], s[0:1]
	s_xor_b64 s[0:1], exec, s[18:19]
; %bb.376:
	s_movk_i32 s9, 0x110
	v_mad_u32_u24 v1, v166, s9, v79
	v_mov_b32_e32 v2, 0
	ds_write_b32 v1, v2
                                        ; implicit-def: $vgpr1
; %bb.377:
	s_andn2_saveexec_b64 s[0:1], s[0:1]
	s_cbranch_execz .LBB24_379
; %bb.378:
	v_mul_lo_u32 v1, v1, s51
	v_mul_lo_u32 v2, v50, s25
	v_add3_u32 v2, v2, v78, v1
	v_ashrrev_i32_e32 v3, 31, v2
	v_lshl_add_u64 v[2:3], v[2:3], 3, s[6:7]
	global_load_dwordx2 v[2:3], v[2:3], off
	s_movk_i32 s9, 0x110
	s_waitcnt vmcnt(0)
	v_cvt_pk_f16_f32 v1, v2, v3
	v_pk_mul_f16 v1, v1, v0
	v_mad_u32_u24 v2, v166, s9, v79
	ds_write_b32 v2, v1
.LBB24_379:
	s_or_b64 exec, exec, s[0:1]
	v_lshrrev_b32_e32 v2, 3, v165
	v_and_b32_e32 v1, 7, v165
	v_add_u32_e32 v2, s8, v2
	v_or_b32_e32 v3, s17, v1
	v_cmp_le_i32_e32 vcc, s24, v2
	v_cmp_le_i32_e64 s[0:1], s33, v3
	s_or_b64 s[0:1], vcc, s[0:1]
	s_and_saveexec_b64 s[18:19], s[0:1]
	s_xor_b64 s[0:1], exec, s[18:19]
; %bb.380:
	s_movk_i32 s9, 0x110
	v_mad_u32_u24 v1, v165, s9, v79
	v_mov_b32_e32 v2, 0
	ds_write_b32 v1, v2
                                        ; implicit-def: $vgpr2
                                        ; implicit-def: $vgpr1
; %bb.381:
	s_andn2_saveexec_b64 s[0:1], s[0:1]
	s_cbranch_execz .LBB24_383
; %bb.382:
	v_mul_lo_u32 v2, v2, s51
	v_mul_lo_u32 v1, v1, s25
	v_add3_u32 v2, v1, v78, v2
	v_ashrrev_i32_e32 v3, 31, v2
	v_lshl_add_u64 v[2:3], v[2:3], 3, s[6:7]
	global_load_dwordx2 v[2:3], v[2:3], off
	s_movk_i32 s9, 0x110
	s_waitcnt vmcnt(0)
	v_cvt_pk_f16_f32 v1, v2, v3
	v_pk_mul_f16 v1, v1, v0
	v_mad_u32_u24 v2, v165, s9, v79
	ds_write_b32 v2, v1
.LBB24_383:
	s_or_b64 exec, exec, s[0:1]
	v_lshrrev_b32_e32 v1, 3, v164
	v_add_u32_e32 v1, s8, v1
	v_cmp_le_i32_e32 vcc, s24, v1
	s_or_b64 s[0:1], vcc, s[4:5]
	;; [unrolled: 64-line block ×5, first 2 shown]
	s_and_saveexec_b64 s[18:19], s[0:1]
	s_xor_b64 s[0:1], exec, s[18:19]
; %bb.408:
	s_movk_i32 s9, 0x110
	v_mad_u32_u24 v1, v93, s9, v79
	v_mov_b32_e32 v2, 0
	ds_write_b32 v1, v2
                                        ; implicit-def: $vgpr1
; %bb.409:
	s_andn2_saveexec_b64 s[0:1], s[0:1]
	s_cbranch_execz .LBB24_411
; %bb.410:
	v_mul_lo_u32 v1, v1, s51
	v_mul_lo_u32 v2, v50, s25
	v_add3_u32 v2, v2, v78, v1
	v_ashrrev_i32_e32 v3, 31, v2
	v_lshl_add_u64 v[2:3], v[2:3], 3, s[6:7]
	global_load_dwordx2 v[2:3], v[2:3], off
	s_movk_i32 s9, 0x110
	s_waitcnt vmcnt(0)
	v_cvt_pk_f16_f32 v1, v2, v3
	v_pk_mul_f16 v1, v1, v0
	v_mad_u32_u24 v2, v93, s9, v79
	ds_write_b32 v2, v1
.LBB24_411:
	s_or_b64 exec, exec, s[0:1]
	v_lshrrev_b32_e32 v2, 3, v89
	v_and_b32_e32 v1, 7, v89
	v_add_u32_e32 v2, s8, v2
	v_or_b32_e32 v3, s17, v1
	v_cmp_le_i32_e32 vcc, s24, v2
	v_cmp_le_i32_e64 s[0:1], s33, v3
	s_sub_i32 s9, 0, s2
	s_or_b64 s[0:1], vcc, s[0:1]
	s_and_saveexec_b64 s[18:19], s[0:1]
	s_xor_b64 s[0:1], exec, s[18:19]
; %bb.412:
	s_movk_i32 s18, 0x110
	v_mad_u32_u24 v1, v89, s18, v79
	v_mov_b32_e32 v2, 0
	ds_write_b32 v1, v2
                                        ; implicit-def: $vgpr2
                                        ; implicit-def: $vgpr1
; %bb.413:
	s_or_saveexec_b64 s[0:1], s[0:1]
	s_mul_i32 s9, s9, s20
	s_xor_b64 exec, exec, s[0:1]
	s_cbranch_execz .LBB24_415
; %bb.414:
	v_mul_lo_u32 v2, v2, s51
	v_mul_lo_u32 v1, v1, s25
	v_add3_u32 v2, v1, v78, v2
	v_ashrrev_i32_e32 v3, 31, v2
	v_lshl_add_u64 v[2:3], v[2:3], 3, s[6:7]
	global_load_dwordx2 v[2:3], v[2:3], off
	s_movk_i32 s18, 0x110
	s_waitcnt vmcnt(0)
	v_cvt_pk_f16_f32 v1, v2, v3
	v_pk_mul_f16 v1, v1, v0
	v_mad_u32_u24 v2, v89, s18, v79
	ds_write_b32 v2, v1
.LBB24_415:
	s_or_b64 exec, exec, s[0:1]
	v_lshrrev_b32_e32 v1, 3, v85
	v_add_u32_e32 v1, s8, v1
	v_cmp_le_i32_e32 vcc, s24, v1
	s_mul_hi_u32 s18, s20, s9
	s_or_b64 s[0:1], vcc, s[4:5]
	s_and_saveexec_b64 s[4:5], s[0:1]
	s_xor_b64 s[0:1], exec, s[4:5]
; %bb.416:
	s_movk_i32 s4, 0x110
	v_mad_u32_u24 v1, v85, s4, v79
	v_mov_b32_e32 v2, 0
	ds_write_b32 v1, v2
                                        ; implicit-def: $vgpr1
                                        ; implicit-def: $vgpr50
; %bb.417:
	s_or_saveexec_b64 s[0:1], s[0:1]
	s_abs_i32 s9, s3
	s_add_i32 s20, s20, s18
	s_xor_b64 exec, exec, s[0:1]
	s_cbranch_execz .LBB24_419
; %bb.418:
	v_mul_lo_u32 v1, v1, s51
	v_mul_lo_u32 v2, v50, s25
	v_add3_u32 v2, v2, v78, v1
	v_ashrrev_i32_e32 v3, 31, v2
	v_lshl_add_u64 v[2:3], v[2:3], 3, s[6:7]
	global_load_dwordx2 v[2:3], v[2:3], off
	s_movk_i32 s4, 0x110
	s_waitcnt vmcnt(0)
	v_cvt_pk_f16_f32 v1, v2, v3
	v_pk_mul_f16 v1, v1, v0
	v_mad_u32_u24 v2, v85, s4, v79
	ds_write_b32 v2, v1
.LBB24_419:
	s_or_b64 exec, exec, s[0:1]
	v_lshrrev_b32_e32 v2, 3, v81
	v_and_b32_e32 v1, 7, v81
	v_add_u32_e32 v2, s8, v2
	v_or_b32_e32 v3, s17, v1
	v_cmp_le_i32_e32 vcc, s24, v2
	v_cmp_le_i32_e64 s[0:1], s33, v3
	s_mul_hi_u32 s18, s9, s20
	s_or_b64 s[0:1], vcc, s[0:1]
	s_and_saveexec_b64 s[4:5], s[0:1]
	s_xor_b64 s[0:1], exec, s[4:5]
; %bb.420:
	s_movk_i32 s4, 0x110
	v_mad_u32_u24 v0, v81, s4, v79
	v_mov_b32_e32 v1, 0
	ds_write_b32 v0, v1
                                        ; implicit-def: $vgpr2
                                        ; implicit-def: $vgpr1
                                        ; implicit-def: $vgpr0
; %bb.421:
	s_or_saveexec_b64 s[0:1], s[0:1]
	s_ashr_i32 s17, s3, 31
	s_xor_b64 exec, exec, s[0:1]
	s_cbranch_execz .LBB24_423
; %bb.422:
	v_mul_lo_u32 v2, v2, s51
	v_mul_lo_u32 v1, v1, s25
	v_add3_u32 v2, v1, v78, v2
	v_ashrrev_i32_e32 v3, 31, v2
	v_lshl_add_u64 v[2:3], v[2:3], 3, s[6:7]
	global_load_dwordx2 v[2:3], v[2:3], off
	s_movk_i32 s4, 0x110
	s_waitcnt vmcnt(0)
	v_cvt_pk_f16_f32 v1, v2, v3
	v_pk_mul_f16 v0, v1, v0
	v_mad_u32_u24 v1, v81, s4, v79
	ds_write_b32 v1, v0
.LBB24_423:
	s_or_b64 exec, exec, s[0:1]
	s_mul_hi_u32 s0, s28, s3
	s_mul_i32 s1, s28, s17
	s_add_i32 s0, s0, s1
	s_mul_i32 s1, s29, s3
	v_readlane_b32 s4, v255, 6
	s_add_i32 s0, s0, s1
	s_mul_i32 s1, s28, s3
	v_readlane_b32 s5, v255, 7
	s_add_u32 s1, s10, s1
	s_mul_i32 s4, s16, s5
	s_addc_u32 s0, s11, s0
	s_ashr_i32 s5, s4, 31
	s_add_u32 s4, s1, s4
	s_mul_i32 s18, s18, s2
	s_addc_u32 s5, s0, s5
	s_sub_i32 s0, s9, s18
	s_sub_i32 s1, s0, s2
	s_cmp_ge_u32 s0, s2
	s_cselect_b32 s0, s1, s0
	s_sub_i32 s1, s0, s2
	s_cmp_ge_u32 s0, s2
	s_cselect_b32 s0, s1, s0
	s_xor_b32 s0, s0, s17
	s_sub_i32 s0, s0, s17
	s_ashr_i32 s1, s0, 31
	s_mul_i32 s1, s44, s1
	s_mul_hi_u32 s2, s44, s0
	s_add_i32 s1, s2, s1
	s_mul_i32 s2, s45, s0
	s_add_i32 s1, s1, s2
	s_mul_i32 s0, s44, s0
	s_add_u32 s6, s14, s0
	s_addc_u32 s7, s15, s1
	s_mul_hi_u32 s0, s42, s3
	s_mul_i32 s1, s42, s17
	s_add_i32 s0, s0, s1
	s_mul_i32 s1, s43, s3
	s_add_i32 s0, s0, s1
	s_mul_i32 s1, s42, s3
	s_add_u32 s1, s12, s1
	s_mul_i32 s16, s16, s31
	s_addc_u32 s2, s13, s0
	s_ashr_i32 s3, s16, 31
	s_add_u32 s0, s1, s16
	v_lshrrev_b32_e32 v20, 3, v78
	s_addc_u32 s1, s2, s3
	s_movk_i32 s2, 0x1100
	v_and_b32_e32 v80, 15, v78
	v_and_b32_e32 v1, 0x7e, v20
	v_mad_u32_u24 v0, v167, s2, 0
	v_mul_u32_u24_e32 v90, 0x110, v80
	v_lshlrev_b32_e32 v82, 2, v1
	v_add3_u32 v0, v0, v90, v82
	v_add_u32_e32 v115, -1, v16
	v_lshrrev_b32_e32 v16, 5, v78
	s_waitcnt lgkmcnt(0)
	s_barrier
	ds_read2_b64 v[12:15], v0 offset1:4
	ds_read2_b64 v[8:11], v0 offset0:8 offset1:12
	ds_read2_b64 v[4:7], v0 offset0:16 offset1:20
	;; [unrolled: 1-line block ×3, first 2 shown]
	v_lshl_add_u32 v22, v167, 1, v16
	v_add_u32_e32 v16, s8, v22
	v_mul_hi_u32 v17, s40, v16
	v_add_u32_e32 v17, v16, v17
	v_lshrrev_b32_e32 v17, s41, v17
	v_cmp_lt_i32_e32 vcc, s52, v115
	v_mul_lo_u32 v17, v17, s24
	s_movk_i32 s2, 0x110
	v_sub_u32_e32 v21, v16, v17
	s_waitcnt lgkmcnt(0)
	s_barrier
	s_cbranch_vccnz .LBB24_426
; %bb.424:
	v_lshlrev_b32_e32 v16, 1, v78
	v_and_b32_e32 v56, 62, v16
	v_lshrrev_b32_e32 v16, 4, v78
	v_lshlrev_b32_e32 v17, 2, v78
	v_lshl_add_u32 v16, v167, 2, v16
	v_and_b32_e32 v58, 60, v17
	v_mov_b32_e32 v17, 0x1100
	v_mad_u32_u24 v110, v16, s2, v17
	v_mov_b32_e32 v17, 0x2200
	v_mad_u32_u24 v111, v16, s2, v17
	v_mov_b32_e32 v17, 0x3300
	v_lshlrev_b32_e32 v83, 4, v167
	v_mad_u32_u24 v112, v16, s2, v17
	v_lshrrev_b32_e32 v17, 2, v78
	v_and_or_b32 v19, v78, 8, v83
	v_and_b32_e32 v18, 0xfc, v17
	v_lshrrev_b32_e32 v19, 3, v19
	v_mul_u32_u24_e32 v107, 0x90, v19
	v_add_u32_e32 v19, 16, v18
	v_lshrrev_b32_e32 v103, 1, v19
	v_add_u32_e32 v19, 18, v18
	v_lshrrev_b32_e32 v104, 1, v19
	;; [unrolled: 2-line block ×4, first 2 shown]
	v_add_u32_e32 v19, 48, v18
	v_mul_lo_u32 v62, s26, v16
	s_lshl_b32 s3, s26, 4
	v_lshrrev_b32_e32 v98, 1, v19
	v_add_u32_e32 v19, 50, v18
	v_mul_lo_u32 v48, s36, v16
	s_lshl_b32 s2, s36, 4
	v_add_u32_e32 v64, s3, v62
	v_lshrrev_b32_e32 v99, 1, v19
	v_mbcnt_lo_u32_b32 v19, -1, 0
	v_add_u32_e32 v50, s2, v48
	v_add_u32_e32 v66, s3, v64
	v_mbcnt_hi_u32_b32 v91, -1, v19
	v_add_u32_e32 v52, s2, v50
	v_mov_b32_e32 v57, 0
	v_mad_i64_i32 v[60:61], s[8:9], v21, s38, 0
	s_ashr_i32 s27, s26, 31
	v_mul_u32_u24_e32 v96, 0x110, v16
	v_add_u32_e32 v68, s3, v66
	v_and_b32_e32 v19, 64, v91
	s_ashr_i32 s37, s36, 31
	v_add_u32_e32 v54, s2, v52
	v_or_b32_e32 v16, 3, v17
	v_mov_b32_e32 v59, v57
	v_ashrrev_i32_e32 v63, 31, v62
	v_ashrrev_i32_e32 v65, 31, v64
	;; [unrolled: 1-line block ×4, first 2 shown]
	v_lshrrev_b32_e32 v108, 1, v18
	v_or_b32_e32 v106, 1, v20
	v_add_u32_e32 v92, 64, v19
	v_xor_b32_e32 v94, 32, v91
	v_xor_b32_e32 v95, 16, v91
	v_ashrrev_i32_e32 v49, 31, v48
	v_ashrrev_i32_e32 v51, 31, v50
	;; [unrolled: 1-line block ×4, first 2 shown]
	v_mul_u32_u24_e32 v87, 0x110, v18
	v_mul_u32_u24_e32 v88, 0x110, v16
	v_mov_b64_e32 v[16:17], s[36:37]
	v_mov_b64_e32 v[18:19], s[26:27]
	v_mul_u32_u24_e32 v116, 0x90, v22
	v_lshlrev_b32_e32 v86, 1, v80
	s_cbranch_execz .LBB24_427
; %bb.425:
	v_mov_b32_e32 v114, 0xfeffffff
	v_mov_b32_e32 v84, 0
	;; [unrolled: 1-line block ×18, first 2 shown]
	s_branch .LBB24_430
.LBB24_426:
                                        ; implicit-def: $vgpr56
                                        ; implicit-def: $vgpr60_vgpr61
                                        ; implicit-def: $vgpr18_vgpr19
                                        ; implicit-def: $vgpr96
                                        ; implicit-def: $vgpr58
                                        ; implicit-def: $vgpr62_vgpr63
                                        ; implicit-def: $vgpr110
                                        ; implicit-def: $vgpr64_vgpr65
                                        ; implicit-def: $vgpr111
                                        ; implicit-def: $vgpr66_vgpr67
                                        ; implicit-def: $vgpr112
                                        ; implicit-def: $vgpr68_vgpr69
                                        ; implicit-def: $vgpr83
                                        ; implicit-def: $vgpr107
                                        ; implicit-def: $vgpr108
                                        ; implicit-def: $vgpr106
                                        ; implicit-def: $vgpr103
                                        ; implicit-def: $vgpr104
                                        ; implicit-def: $vgpr102
                                        ; implicit-def: $vgpr100
                                        ; implicit-def: $vgpr98
                                        ; implicit-def: $vgpr99
                                        ; implicit-def: $vgpr91
                                        ; implicit-def: $vgpr92
                                        ; implicit-def: $vgpr94
                                        ; implicit-def: $vgpr95
                                        ; implicit-def: $vgpr16_vgpr17
                                        ; implicit-def: $vgpr48_vgpr49
                                        ; implicit-def: $vgpr50_vgpr51
                                        ; implicit-def: $vgpr52_vgpr53
                                        ; implicit-def: $vgpr54_vgpr55
                                        ; implicit-def: $vgpr87
                                        ; implicit-def: $vgpr88
	v_mul_u32_u24_e32 v116, 0x90, v22
	v_lshlrev_b32_e32 v86, 1, v80
.LBB24_427:
	v_lshlrev_b32_e32 v16, 1, v78
	v_and_b32_e32 v56, 62, v16
	v_mad_i64_i32 v[60:61], s[2:3], v21, s38, 0
	v_mov_b32_e32 v71, 0
	v_lshlrev_b32_e32 v70, 1, v56
	v_lshl_add_u64 v[16:17], v[60:61], 1, s[6:7]
	v_lshl_add_u64 v[72:73], v[16:17], 0, v[70:71]
	v_lshrrev_b32_e32 v16, 4, v78
	v_lshlrev_b32_e32 v17, 2, v78
	v_lshl_add_u32 v16, v167, 2, v16
	v_and_b32_e32 v58, 60, v17
	v_mul_u32_u24_e32 v96, 0x110, v16
	v_lshlrev_b32_e32 v17, 2, v58
	s_movk_i32 s2, 0x110
	v_add3_u32 v118, 0, v96, v17
	v_mov_b32_e32 v17, 0x1100
	v_mad_u32_u24 v110, v16, s2, v17
	v_mov_b32_e32 v17, 0x2200
	v_mad_u32_u24 v111, v16, s2, v17
	;; [unrolled: 2-line block ×3, first 2 shown]
	v_lshrrev_b32_e32 v17, 2, v78
	v_lshlrev_b32_e32 v83, 4, v167
	v_and_b32_e32 v18, 0xfc, v17
	v_and_or_b32 v19, v78, 8, v83
	v_lshrrev_b32_e32 v19, 3, v19
	s_movk_i32 s2, 0x90
	v_add_u32_e32 v21, 18, v18
	v_add_u32_e32 v22, 34, v18
	v_mul_u32_u24_e32 v107, 0x90, v19
	v_mad_u32_u24 v19, v19, s2, 0
	v_or_b32_e32 v106, 1, v20
	v_add_u32_e32 v20, 16, v18
	v_lshrrev_b32_e32 v104, 1, v21
	v_add_u32_e32 v21, 32, v18
	v_lshrrev_b32_e32 v100, 1, v22
	v_add_u32_e32 v22, 48, v18
	v_lshl_add_u32 v123, v18, 1, v19
	v_lshl_add_u32 v124, v106, 2, v19
	v_lshrrev_b32_e32 v103, 1, v20
	v_lshl_add_u32 v20, v20, 1, v19
	v_lshrrev_b32_e32 v102, 1, v21
	;; [unrolled: 2-line block ×3, first 2 shown]
	v_lshl_add_u32 v19, v22, 1, v19
	v_add_u32_e32 v22, 50, v18
	v_lshrrev_b32_e32 v99, 1, v22
	v_mbcnt_lo_u32_b32 v22, -1, 0
	v_mbcnt_hi_u32_b32 v91, -1, v22
	v_and_b32_e32 v22, 64, v91
	v_mul_lo_u32 v62, s26, v16
	s_lshl_b32 s3, s26, 4
	v_add_u32_e32 v92, 64, v22
	v_xor_b32_e32 v94, 32, v91
	v_mul_lo_u32 v48, s36, v16
	s_lshl_b32 s2, s36, 4
	v_add_u32_e32 v64, s3, v62
	v_cmp_lt_i32_e32 vcc, v94, v92
	v_xor_b32_e32 v95, 16, v91
	v_add_u32_e32 v50, s2, v48
	v_add_u32_e32 v66, s3, v64
	v_cndmask_b32_e32 v22, v91, v94, vcc
	v_cmp_lt_i32_e32 vcc, v95, v92
	v_add_u32_e32 v52, s2, v50
	v_or_b32_e32 v16, 3, v17
	v_add_u32_e32 v68, s3, v66
	v_lshlrev_b32_e32 v125, 2, v22
	v_cndmask_b32_e32 v22, v91, v95, vcc
	v_add_u32_e32 v54, s2, v52
	v_mul_u32_u24_e32 v87, 0x110, v18
	v_mul_u32_u24_e32 v88, 0x110, v16
	v_mov_b32_e32 v57, v71
	v_add3_u32 v117, 0, v116, v70
	s_ashr_i32 s27, s26, 31
	v_mov_b32_e32 v59, v71
	v_ashrrev_i32_e32 v63, 31, v62
	v_add_u32_e32 v119, 0x1100, v118
	v_ashrrev_i32_e32 v65, 31, v64
	v_add_u32_e32 v120, 0x2200, v118
	;; [unrolled: 2-line block ×3, first 2 shown]
	v_ashrrev_i32_e32 v69, 31, v68
	v_add3_u32 v122, 0, v90, v82
	v_lshrrev_b32_e32 v108, 1, v18
	v_lshlrev_b32_e32 v126, 2, v22
	s_ashr_i32 s37, s36, 31
	v_ashrrev_i32_e32 v49, 31, v48
	v_ashrrev_i32_e32 v51, 31, v50
	;; [unrolled: 1-line block ×4, first 2 shown]
	v_add3_u32 v127, 0, v87, v86
	v_add3_u32 v128, 0, v88, v86
	s_lshl_b32 s8, s52, 6
	v_mov_b32_e32 v114, 0xfeffffff
	v_lshlrev_b32_e32 v70, 2, v58
	v_add_u32_e32 v129, 0x4400, v20
	v_add_u32_e32 v130, 0x4400, v21
	;; [unrolled: 1-line block ×3, first 2 shown]
	s_mov_b32 s2, 0x3fb8aa3b
	s_mov_b32 s3, 0xc2ce8ed0
	;; [unrolled: 1-line block ×5, first 2 shown]
	v_mov_b32_e32 v132, 0x7f800000
	v_mov_b32_e32 v84, v71
	;; [unrolled: 1-line block ×18, first 2 shown]
.LBB24_428:                             ; =>This Inner Loop Header: Depth=1
	s_ashr_i32 s9, s8, 31
	v_lshl_add_u64 v[16:17], s[8:9], 1, v[72:73]
	global_load_dword v16, v[16:17], off
	s_mul_hi_i32 s15, s8, s26
	s_mul_i32 s14, s8, s26
	s_lshl_b64 s[14:15], s[14:15], 2
	s_add_u32 s14, s4, s14
	s_addc_u32 s15, s5, s15
	v_lshl_add_u64 v[18:19], v[64:65], 2, s[14:15]
	v_lshl_add_u64 v[26:27], v[18:19], 0, v[70:71]
	v_lshl_add_u64 v[18:19], v[66:67], 2, s[14:15]
	v_lshl_add_u64 v[34:35], v[18:19], 0, v[70:71]
	v_lshl_add_u64 v[18:19], v[68:69], 2, s[14:15]
	v_lshl_add_u64 v[36:37], v[18:19], 0, v[70:71]
	v_mov_b32_e32 v30, v114
	v_mov_b32_e32 v29, v84
	s_waitcnt vmcnt(0)
	ds_write_b32 v117, v16 offset:17408
	v_lshl_add_u64 v[16:17], v[62:63], 2, s[14:15]
	v_lshl_add_u64 v[16:17], v[16:17], 0, v[70:71]
	global_load_dwordx4 v[16:19], v[16:17], off
	s_mul_hi_i32 s15, s8, s36
	s_mul_i32 s14, s8, s36
	s_lshl_b64 s[14:15], s[14:15], 2
	s_add_u32 s14, s0, s14
	s_addc_u32 s15, s1, s15
	s_add_i32 s52, s52, 1
	s_add_i32 s8, s8, 64
	s_waitcnt vmcnt(0)
	ds_write_b128 v118, v[16:19]
	global_load_dwordx4 v[16:19], v[26:27], off
	v_add_u32_e32 v26, 0x1000, v122
	s_waitcnt vmcnt(0)
	ds_write_b128 v119, v[16:19]
	global_load_dwordx4 v[16:19], v[34:35], off
	s_waitcnt vmcnt(0)
	ds_write_b128 v120, v[16:19]
	global_load_dwordx4 v[16:19], v[36:37], off
	s_waitcnt vmcnt(0)
	ds_write_b128 v121, v[16:19]
	s_waitcnt lgkmcnt(0)
	s_barrier
	ds_read2_b64 v[16:19], v122 offset1:4
	s_waitcnt lgkmcnt(0)
	v_mfma_f32_16x16x16_f16 v[34:37], v[16:17], v[12:13], 0
	v_mfma_f32_16x16x16_f16 v[16:19], v[18:19], v[14:15], v[34:37]
	s_nop 6
	ds_read2_b64 v[34:37], v122 offset0:8 offset1:12
	s_waitcnt lgkmcnt(0)
	v_mfma_f32_16x16x16_f16 v[16:19], v[34:35], v[8:9], v[16:19]
	v_mfma_f32_16x16x16_f16 v[16:19], v[36:37], v[10:11], v[16:19]
	ds_read2_b64 v[34:37], v122 offset0:16 offset1:20
	s_waitcnt lgkmcnt(0)
	v_mfma_f32_16x16x16_f16 v[16:19], v[34:35], v[4:5], v[16:19]
	v_mfma_f32_16x16x16_f16 v[16:19], v[36:37], v[6:7], v[16:19]
	;; [unrolled: 4-line block ×4, first 2 shown]
	s_nop 6
	ds_read2_b64 v[74:77], v26 offset0:40 offset1:44
	s_waitcnt lgkmcnt(0)
	v_mfma_f32_16x16x16_f16 v[34:37], v[74:75], v[8:9], v[34:37]
	v_mfma_f32_16x16x16_f16 v[34:37], v[76:77], v[10:11], v[34:37]
	ds_read2_b64 v[74:77], v26 offset0:48 offset1:52
	s_waitcnt lgkmcnt(0)
	v_mfma_f32_16x16x16_f16 v[34:37], v[74:75], v[4:5], v[34:37]
	v_mfma_f32_16x16x16_f16 v[34:37], v[76:77], v[6:7], v[34:37]
	ds_read2_b64 v[74:77], v26 offset0:56 offset1:60
	v_add_u32_e32 v26, 0x2000, v122
	s_waitcnt lgkmcnt(0)
	v_mfma_f32_16x16x16_f16 v[34:37], v[74:75], v[0:1], v[34:37]
	v_mfma_f32_16x16x16_f16 v[34:37], v[76:77], v[2:3], v[34:37]
	ds_read2_b64 v[74:77], v26 offset0:64 offset1:68
	s_waitcnt lgkmcnt(0)
	v_mfma_f32_16x16x16_f16 v[134:137], v[74:75], v[12:13], 0
	v_mfma_f32_16x16x16_f16 v[74:77], v[76:77], v[14:15], v[134:137]
	s_nop 6
	ds_read2_b64 v[134:137], v26 offset0:72 offset1:76
	s_waitcnt lgkmcnt(0)
	v_mfma_f32_16x16x16_f16 v[74:77], v[134:135], v[8:9], v[74:77]
	v_mfma_f32_16x16x16_f16 v[74:77], v[136:137], v[10:11], v[74:77]
	ds_read2_b64 v[134:137], v26 offset0:80 offset1:84
	s_waitcnt lgkmcnt(0)
	v_mfma_f32_16x16x16_f16 v[74:77], v[134:135], v[4:5], v[74:77]
	v_mfma_f32_16x16x16_f16 v[74:77], v[136:137], v[6:7], v[74:77]
	ds_read2_b64 v[134:137], v26 offset0:88 offset1:92
	v_add_u32_e32 v26, 0x3000, v122
	s_waitcnt lgkmcnt(0)
	v_mfma_f32_16x16x16_f16 v[74:77], v[134:135], v[0:1], v[74:77]
	v_mfma_f32_16x16x16_f16 v[74:77], v[136:137], v[2:3], v[74:77]
	ds_read2_b64 v[134:137], v26 offset0:96 offset1:100
	s_waitcnt lgkmcnt(0)
	v_mfma_f32_16x16x16_f16 v[138:141], v[134:135], v[12:13], 0
	v_mfma_f32_16x16x16_f16 v[134:137], v[136:137], v[14:15], v[138:141]
	s_nop 6
	ds_read2_b64 v[138:141], v26 offset0:104 offset1:108
	s_waitcnt lgkmcnt(0)
	v_mfma_f32_16x16x16_f16 v[134:137], v[138:139], v[8:9], v[134:137]
	v_mfma_f32_16x16x16_f16 v[134:137], v[140:141], v[10:11], v[134:137]
	ds_read2_b64 v[138:141], v26 offset0:112 offset1:116
	s_waitcnt lgkmcnt(0)
	v_mfma_f32_16x16x16_f16 v[134:137], v[138:139], v[4:5], v[134:137]
	v_mfma_f32_16x16x16_f16 v[134:137], v[140:141], v[6:7], v[134:137]
	ds_read2_b64 v[138:141], v26 offset0:120 offset1:124
	s_waitcnt lgkmcnt(0)
	s_barrier
	ds_read_b32 v26, v123 offset:17408
	v_mfma_f32_16x16x16_f16 v[134:137], v[138:139], v[0:1], v[134:137]
	s_waitcnt lgkmcnt(0)
	v_cvt_f32_f16_e32 v27, v26
	v_cvt_f32_f16_sdwa v26, v26 dst_sel:DWORD dst_unused:UNUSED_PAD src0_sel:WORD_1
	v_add_f32_e32 v27, v16, v27
	ds_read_b32 v16, v124 offset:17408
	v_add_f32_e32 v26, v17, v26
	v_mfma_f32_16x16x16_f16 v[134:137], v[140:141], v[2:3], v[134:137]
	s_waitcnt lgkmcnt(0)
	v_cvt_f32_f16_e32 v17, v16
	v_cvt_f32_f16_sdwa v16, v16 dst_sel:DWORD dst_unused:UNUSED_PAD src0_sel:WORD_1
	v_add_f32_e32 v18, v18, v17
	v_add_f32_e32 v19, v19, v16
	ds_read2_b32 v[16:17], v129 offset1:1
	s_waitcnt lgkmcnt(0)
	v_cvt_f32_f16_e32 v28, v16
	v_cvt_f32_f16_sdwa v16, v16 dst_sel:DWORD dst_unused:UNUSED_PAD src0_sel:WORD_1
	v_add_f32_e32 v28, v34, v28
	v_add_f32_e32 v31, v35, v16
	v_cvt_f32_f16_e32 v16, v17
	v_cvt_f32_f16_sdwa v17, v17 dst_sel:DWORD dst_unused:UNUSED_PAD src0_sel:WORD_1
	v_add_f32_e32 v32, v36, v16
	v_add_f32_e32 v34, v37, v17
	ds_read2_b32 v[16:17], v130 offset1:1
	s_waitcnt lgkmcnt(0)
	v_cvt_f32_f16_e32 v35, v16
	v_cvt_f32_f16_sdwa v16, v16 dst_sel:DWORD dst_unused:UNUSED_PAD src0_sel:WORD_1
	v_add_f32_e32 v36, v74, v35
	v_add_f32_e32 v37, v75, v16
	v_cvt_f32_f16_e32 v16, v17
	v_cvt_f32_f16_sdwa v17, v17 dst_sel:DWORD dst_unused:UNUSED_PAD src0_sel:WORD_1
	v_add_f32_e32 v47, v76, v16
	v_add_f32_e32 v76, v77, v17
	ds_read2_b32 v[16:17], v131 offset1:1
	s_waitcnt lgkmcnt(0)
	v_cvt_f32_f16_e32 v35, v16
	v_cvt_f32_f16_sdwa v16, v16 dst_sel:DWORD dst_unused:UNUSED_PAD src0_sel:WORD_1
	v_add_f32_e32 v84, v134, v35
	v_add_f32_e32 v133, v135, v16
	v_cvt_f32_f16_e32 v16, v17
	v_cvt_f32_f16_sdwa v17, v17 dst_sel:DWORD dst_unused:UNUSED_PAD src0_sel:WORD_1
	v_add_f32_e32 v35, 0x40051340, v19
	v_add_f32_e32 v134, v136, v16
	;; [unrolled: 1-line block ×5, first 2 shown]
	v_max3_f32 v16, v30, v16, v17
	v_add_f32_e32 v17, 0x40051340, v18
	v_max3_f32 v16, v16, v17, v35
	v_add_f32_e32 v17, 0x40051340, v28
	v_add_f32_e32 v35, 0x40051340, v31
	v_max3_f32 v16, v16, v17, v35
	v_add_f32_e32 v17, 0x40051340, v32
	;; [unrolled: 3-line block ×6, first 2 shown]
	v_add_f32_e32 v35, 0x40051340, v137
	v_max3_f32 v16, v16, v17, v35
	ds_bpermute_b32 v17, v125, v16
	s_waitcnt lgkmcnt(0)
	v_max_f32_e32 v17, v17, v17
	v_max_f32_e32 v16, v16, v17
	ds_bpermute_b32 v17, v126, v16
	s_waitcnt lgkmcnt(0)
	v_max_f32_e32 v17, v17, v17
	v_max_f32_e32 v114, v16, v17
	v_sub_f32_e32 v16, v27, v114
	v_mul_f32_e32 v17, 0x3fb8aa3b, v16
	v_fma_f32 v27, v16, s2, -v17
	v_rndne_f32_e32 v35, v17
	v_fmac_f32_e32 v27, 0x32a5705f, v16
	v_sub_f32_e32 v17, v17, v35
	v_add_f32_e32 v17, v17, v27
	v_exp_f32_e32 v17, v17
	v_cvt_i32_f32_e32 v27, v35
	v_cmp_ngt_f32_e32 vcc, s3, v16
	v_sub_f32_e32 v18, v18, v114
	v_sub_f32_e32 v19, v19, v114
	v_ldexp_f32 v17, v17, v27
	v_cndmask_b32_e32 v17, 0, v17, vcc
	v_cmp_nlt_f32_e32 vcc, s10, v16
	v_sub_f32_e32 v30, v30, v114
	s_nop 0
	v_cndmask_b32_e32 v16, v132, v17, vcc
	v_sub_f32_e32 v17, v26, v114
	v_mul_f32_e32 v26, 0x3fb8aa3b, v17
	v_fma_f32 v27, v17, s2, -v26
	v_rndne_f32_e32 v35, v26
	v_fmac_f32_e32 v27, 0x32a5705f, v17
	v_sub_f32_e32 v26, v26, v35
	v_add_f32_e32 v26, v26, v27
	v_exp_f32_e32 v26, v26
	v_cvt_i32_f32_e32 v27, v35
	v_cmp_ngt_f32_e32 vcc, s3, v17
	v_ldexp_f32 v26, v26, v27
	v_mul_f32_e32 v27, 0x3fb8aa3b, v18
	v_fma_f32 v35, v18, s2, -v27
	v_rndne_f32_e32 v74, v27
	v_fmac_f32_e32 v35, 0x32a5705f, v18
	v_sub_f32_e32 v27, v27, v74
	v_add_f32_e32 v27, v27, v35
	v_exp_f32_e32 v27, v27
	v_cvt_i32_f32_e32 v35, v74
	v_cndmask_b32_e32 v26, 0, v26, vcc
	v_cmp_nlt_f32_e32 vcc, s10, v17
	v_ldexp_f32 v27, v27, v35
	s_nop 0
	v_cndmask_b32_e32 v17, v132, v26, vcc
	v_cmp_ngt_f32_e32 vcc, s3, v18
	v_add_f32_e32 v26, v16, v17
	s_nop 0
	v_cndmask_b32_e32 v27, 0, v27, vcc
	v_cmp_nlt_f32_e32 vcc, s10, v18
	s_nop 1
	v_cndmask_b32_e32 v18, v132, v27, vcc
	v_add_f32_e32 v27, v18, v26
	v_mul_f32_e32 v26, 0x3fb8aa3b, v19
	v_fma_f32 v35, v19, s2, -v26
	v_rndne_f32_e32 v74, v26
	v_fmac_f32_e32 v35, 0x32a5705f, v19
	v_sub_f32_e32 v26, v26, v74
	v_add_f32_e32 v26, v26, v35
	v_exp_f32_e32 v26, v26
	v_cvt_i32_f32_e32 v35, v74
	v_cmp_ngt_f32_e32 vcc, s3, v19
	v_ldexp_f32 v26, v26, v35
	s_nop 0
	v_cndmask_b32_e32 v26, 0, v26, vcc
	v_cmp_nlt_f32_e32 vcc, s10, v19
	v_sub_f32_e32 v19, v28, v114
	v_mul_f32_e32 v28, 0x3fb8aa3b, v19
	v_fma_f32 v35, v19, s2, -v28
	v_rndne_f32_e32 v74, v28
	v_fmac_f32_e32 v35, 0x32a5705f, v19
	v_sub_f32_e32 v28, v28, v74
	v_add_f32_e32 v28, v28, v35
	v_exp_f32_e32 v28, v28
	v_cvt_i32_f32_e32 v35, v74
	v_cndmask_b32_e32 v26, v132, v26, vcc
	v_cmp_ngt_f32_e32 vcc, s3, v19
	v_add_f32_e32 v27, v26, v27
	v_ldexp_f32 v28, v28, v35
	v_cndmask_b32_e32 v28, 0, v28, vcc
	v_cmp_nlt_f32_e32 vcc, s10, v19
	s_nop 1
	v_cndmask_b32_e32 v19, v132, v28, vcc
	v_add_f32_e32 v28, v19, v27
	v_sub_f32_e32 v27, v31, v114
	v_mul_f32_e32 v31, 0x3fb8aa3b, v27
	v_fma_f32 v35, v27, s2, -v31
	v_rndne_f32_e32 v74, v31
	v_fmac_f32_e32 v35, 0x32a5705f, v27
	v_sub_f32_e32 v31, v31, v74
	v_add_f32_e32 v31, v31, v35
	v_exp_f32_e32 v31, v31
	v_cvt_i32_f32_e32 v35, v74
	v_cmp_ngt_f32_e32 vcc, s3, v27
	v_ldexp_f32 v31, v31, v35
	s_nop 0
	v_cndmask_b32_e32 v31, 0, v31, vcc
	v_cmp_nlt_f32_e32 vcc, s10, v27
	s_nop 1
	v_cndmask_b32_e32 v27, v132, v31, vcc
	v_add_f32_e32 v31, v27, v28
	v_sub_f32_e32 v28, v32, v114
	v_mul_f32_e32 v32, 0x3fb8aa3b, v28
	v_fma_f32 v35, v28, s2, -v32
	v_rndne_f32_e32 v74, v32
	v_fmac_f32_e32 v35, 0x32a5705f, v28
	v_sub_f32_e32 v32, v32, v74
	v_add_f32_e32 v32, v32, v35
	v_exp_f32_e32 v32, v32
	v_cvt_i32_f32_e32 v35, v74
	v_cmp_ngt_f32_e32 vcc, s3, v28
	v_ldexp_f32 v32, v32, v35
	s_nop 0
	v_cndmask_b32_e32 v32, 0, v32, vcc
	v_cmp_nlt_f32_e32 vcc, s10, v28
	s_nop 1
	v_cndmask_b32_e32 v28, v132, v32, vcc
	v_sub_f32_e32 v32, v34, v114
	v_mul_f32_e32 v34, 0x3fb8aa3b, v32
	v_fma_f32 v35, v32, s2, -v34
	v_rndne_f32_e32 v74, v34
	v_fmac_f32_e32 v35, 0x32a5705f, v32
	v_sub_f32_e32 v34, v34, v74
	v_add_f32_e32 v34, v34, v35
	v_exp_f32_e32 v34, v34
	v_cvt_i32_f32_e32 v35, v74
	v_cmp_ngt_f32_e32 vcc, s3, v32
	v_add_f32_e32 v31, v28, v31
	v_ldexp_f32 v34, v34, v35
	v_cndmask_b32_e32 v34, 0, v34, vcc
	v_cmp_nlt_f32_e32 vcc, s10, v32
	s_nop 1
	v_cndmask_b32_e32 v35, v132, v34, vcc
	v_add_f32_e32 v32, v35, v31
	v_sub_f32_e32 v31, v36, v114
	v_mul_f32_e32 v34, 0x3fb8aa3b, v31
	v_fma_f32 v36, v31, s2, -v34
	v_rndne_f32_e32 v74, v34
	v_fmac_f32_e32 v36, 0x32a5705f, v31
	v_sub_f32_e32 v34, v34, v74
	v_add_f32_e32 v34, v34, v36
	v_exp_f32_e32 v34, v34
	v_cvt_i32_f32_e32 v36, v74
	v_cmp_ngt_f32_e32 vcc, s3, v31
	v_ldexp_f32 v34, v34, v36
	s_nop 0
	v_cndmask_b32_e32 v34, 0, v34, vcc
	v_cmp_nlt_f32_e32 vcc, s10, v31
	s_nop 1
	v_cndmask_b32_e32 v31, v132, v34, vcc
	v_sub_f32_e32 v34, v37, v114
	v_mul_f32_e32 v36, 0x3fb8aa3b, v34
	v_fma_f32 v37, v34, s2, -v36
	v_rndne_f32_e32 v74, v36
	v_fmac_f32_e32 v37, 0x32a5705f, v34
	v_sub_f32_e32 v36, v36, v74
	v_add_f32_e32 v36, v36, v37
	v_exp_f32_e32 v36, v36
	v_cvt_i32_f32_e32 v37, v74
	v_cmp_ngt_f32_e32 vcc, s3, v34
	v_add_f32_e32 v32, v31, v32
	v_ldexp_f32 v36, v36, v37
	v_cndmask_b32_e32 v36, 0, v36, vcc
	v_cmp_nlt_f32_e32 vcc, s10, v34
	v_sub_f32_e32 v34, v47, v114
	s_nop 0
	v_cndmask_b32_e32 v74, v132, v36, vcc
	v_mul_f32_e32 v36, 0x3fb8aa3b, v34
	v_fma_f32 v37, v34, s2, -v36
	v_rndne_f32_e32 v47, v36
	v_fmac_f32_e32 v37, 0x32a5705f, v34
	v_sub_f32_e32 v36, v36, v47
	v_add_f32_e32 v36, v36, v37
	v_exp_f32_e32 v36, v36
	v_cvt_i32_f32_e32 v37, v47
	v_cmp_ngt_f32_e32 vcc, s3, v34
	v_add_f32_e32 v32, v74, v32
	v_cvt_pk_f16_f32 v74, v31, v74
	v_ldexp_f32 v36, v36, v37
	v_cndmask_b32_e32 v36, 0, v36, vcc
	v_cmp_nlt_f32_e32 vcc, s10, v34
	v_sub_f32_e32 v34, v76, v114
	s_nop 0
	v_cndmask_b32_e32 v75, v132, v36, vcc
	v_mul_f32_e32 v36, 0x3fb8aa3b, v34
	v_fma_f32 v37, v34, s2, -v36
	v_rndne_f32_e32 v47, v36
	v_fmac_f32_e32 v37, 0x32a5705f, v34
	v_sub_f32_e32 v36, v36, v47
	v_add_f32_e32 v36, v36, v37
	v_exp_f32_e32 v36, v36
	v_cvt_i32_f32_e32 v37, v47
	v_cmp_ngt_f32_e32 vcc, s3, v34
	v_add_f32_e32 v32, v75, v32
	v_ldexp_f32 v36, v36, v37
	v_cndmask_b32_e32 v36, 0, v36, vcc
	v_cmp_nlt_f32_e32 vcc, s10, v34
	v_sub_f32_e32 v34, v84, v114
	s_nop 0
	v_cndmask_b32_e32 v77, v132, v36, vcc
	v_mul_f32_e32 v36, 0x3fb8aa3b, v34
	v_fma_f32 v37, v34, s2, -v36
	v_rndne_f32_e32 v47, v36
	v_fmac_f32_e32 v37, 0x32a5705f, v34
	v_sub_f32_e32 v36, v36, v47
	v_add_f32_e32 v36, v36, v37
	v_exp_f32_e32 v36, v36
	v_cvt_i32_f32_e32 v37, v47
	v_cmp_ngt_f32_e32 vcc, s3, v34
	v_add_f32_e32 v32, v77, v32
	v_cvt_pk_f16_f32 v75, v75, v77
	v_ldexp_f32 v36, v36, v37
	v_cndmask_b32_e32 v36, 0, v36, vcc
	v_cmp_nlt_f32_e32 vcc, s10, v34
	v_sub_f32_e32 v34, v133, v114
	s_nop 0
	v_cndmask_b32_e32 v76, v132, v36, vcc
	;; [unrolled: 33-line block ×3, first 2 shown]
	v_mul_f32_e32 v36, 0x3fb8aa3b, v34
	v_fma_f32 v37, v34, s2, -v36
	v_rndne_f32_e32 v47, v36
	v_fmac_f32_e32 v37, 0x32a5705f, v34
	v_sub_f32_e32 v36, v36, v47
	v_add_f32_e32 v36, v36, v37
	v_exp_f32_e32 v36, v36
	v_cvt_i32_f32_e32 v37, v47
	v_cmp_ngt_f32_e32 vcc, s3, v34
	v_add_f32_e32 v32, v136, v32
	v_ldexp_f32 v36, v36, v37
	v_cndmask_b32_e32 v36, 0, v36, vcc
	v_cmp_nlt_f32_e32 vcc, s10, v34
	s_nop 1
	v_cndmask_b32_e32 v137, v132, v36, vcc
	v_add_f32_e32 v84, v137, v32
	v_mul_f32_e32 v32, 0x3fb8aa3b, v30
	v_fma_f32 v34, v30, s2, -v32
	v_rndne_f32_e32 v36, v32
	v_fmac_f32_e32 v34, 0x32a5705f, v30
	v_sub_f32_e32 v32, v32, v36
	v_add_f32_e32 v32, v32, v34
	v_exp_f32_e32 v32, v32
	v_cvt_i32_f32_e32 v34, v36
	v_cmp_ngt_f32_e32 vcc, s3, v30
	v_cvt_pk_f16_f32 v77, v136, v137
	v_ldexp_f32 v32, v32, v34
	v_cndmask_b32_e32 v32, 0, v32, vcc
	v_cmp_nlt_f32_e32 vcc, s10, v30
	s_nop 1
	v_cndmask_b32_e32 v32, v132, v32, vcc
	v_cmp_le_f32_e32 vcc, s11, v30
	s_nop 1
	v_cndmask_b32_e32 v30, 0, v32, vcc
	v_fmac_f32_e32 v84, v29, v30
	v_cvt_f16_f32_e32 v29, v30
	v_cmp_lt_i32_e32 vcc, s52, v115
	s_and_b64 vcc, exec, vcc
	v_mul_u32_u24_e32 v47, 0x10001, v29
	v_pk_mul_f16 v29, v43, v47
	v_pk_mul_f16 v37, v42, v47
	v_lshl_add_u64 v[42:43], v[50:51], 2, s[14:15]
	v_pk_mul_f16 v23, v23, v47
	v_pk_mul_f16 v22, v22, v47
	;; [unrolled: 1-line block ×14, first 2 shown]
	v_lshl_add_u64 v[38:39], v[48:49], 2, s[14:15]
	v_lshl_add_u64 v[46:47], v[42:43], 0, v[70:71]
	;; [unrolled: 1-line block ×7, first 2 shown]
	global_load_dwordx4 v[42:45], v[38:39], off
	v_cvt_f32_f16_e32 v136, v21
	v_cvt_f32_f16_sdwa v137, v21 dst_sel:DWORD dst_unused:UNUSED_PAD src0_sel:WORD_1
	s_waitcnt vmcnt(0)
	ds_write_b128 v118, v[42:45]
	global_load_dwordx4 v[42:45], v[46:47], off
	v_cvt_pk_f16_f32 v47, v28, v35
	v_cvt_pk_f16_f32 v46, v19, v27
	s_waitcnt vmcnt(0)
	ds_write_b128 v119, v[42:45]
	global_load_dwordx4 v[42:45], v[138:139], off
	v_cvt_f32_f16_e32 v138, v23
	v_cvt_f32_f16_sdwa v139, v23 dst_sel:DWORD dst_unused:UNUSED_PAD src0_sel:WORD_1
	s_waitcnt vmcnt(0)
	ds_write_b128 v120, v[42:45]
	global_load_dwordx4 v[42:45], v[140:141], off
	v_cvt_f32_f16_e32 v140, v22
	v_cvt_f32_f16_sdwa v141, v22 dst_sel:DWORD dst_unused:UNUSED_PAD src0_sel:WORD_1
	s_waitcnt vmcnt(0)
	ds_write_b128 v121, v[42:45]
	s_waitcnt lgkmcnt(0)
	s_barrier
	ds_read_u16 v33, v127 offset:272
	ds_read_u16 v38, v127 offset:544
	ds_read_u16 v22, v128
	ds_read_u16 v39, v128 offset:32
	v_cvt_pk_f16_f32 v45, v18, v26
	v_cvt_pk_f16_f32 v44, v16, v17
	s_waitcnt lgkmcnt(1)
	v_perm_b32 v23, v22, v38, s12
	ds_read_u16 v22, v127
	ds_read_u16 v38, v127 offset:32
	s_waitcnt lgkmcnt(1)
	v_perm_b32 v22, v33, v22, s12
	s_nop 1
	v_mfma_f32_16x16x16_f16 v[138:141], v[22:23], v[44:45], v[138:141]
	ds_read_u16 v23, v127 offset:4352
	ds_read_u16 v26, v127 offset:4624
	;; [unrolled: 1-line block ×4, first 2 shown]
	s_nop 3
	v_cvt_f16_f32_e32 v16, v138
	v_cvt_f16_f32_e32 v17, v139
	;; [unrolled: 1-line block ×4, first 2 shown]
	v_cvt_f32_f16_e32 v138, v16
	v_cvt_f32_f16_e32 v139, v17
	s_waitcnt lgkmcnt(0)
	v_perm_b32 v17, v42, v33, s12
	v_perm_b32 v16, v26, v23, s12
	v_cvt_f32_f16_e32 v140, v18
	v_cvt_f32_f16_e32 v141, v22
	ds_read_u16 v22, v127 offset:8704
	ds_read_u16 v26, v127 offset:8976
	;; [unrolled: 1-line block ×4, first 2 shown]
	v_mfma_f32_16x16x16_f16 v[16:19], v[16:17], v[46:47], v[138:141]
	s_waitcnt lgkmcnt(2)
	v_perm_b32 v22, v26, v22, s12
	s_waitcnt lgkmcnt(0)
	v_perm_b32 v23, v27, v23, s12
	v_cvt_f32_f16_e32 v138, v20
	s_nop 2
	v_cvt_f16_f32_e32 v16, v16
	v_cvt_f16_f32_e32 v17, v17
	;; [unrolled: 1-line block ×4, first 2 shown]
	v_cvt_f32_f16_e32 v16, v16
	v_cvt_f32_f16_e32 v17, v17
	;; [unrolled: 1-line block ×4, first 2 shown]
	v_cvt_f32_f16_sdwa v139, v20 dst_sel:DWORD dst_unused:UNUSED_PAD src0_sel:WORD_1
	s_nop 0
	v_mfma_f32_16x16x16_f16 v[16:19], v[22:23], v[74:75], v[16:19]
	ds_read_u16 v22, v127 offset:13056
	ds_read_u16 v26, v127 offset:13328
	;; [unrolled: 1-line block ×4, first 2 shown]
	s_nop 3
	v_cvt_f16_f32_e32 v16, v16
	v_cvt_f16_f32_e32 v17, v17
	;; [unrolled: 1-line block ×4, first 2 shown]
	s_waitcnt lgkmcnt(0)
	v_perm_b32 v23, v27, v23, s12
	v_perm_b32 v22, v26, v22, s12
	v_cvt_f32_f16_e32 v16, v16
	v_cvt_f32_f16_e32 v17, v17
	v_cvt_f32_f16_e32 v18, v18
	v_cvt_f32_f16_e32 v19, v19
	s_nop 1
	v_mfma_f32_16x16x16_f16 v[16:19], v[22:23], v[76:77], v[16:19]
	ds_read_u16 v22, v127 offset:304
	ds_read_u16 v23, v127 offset:576
	;; [unrolled: 1-line block ×6, first 2 shown]
	s_waitcnt lgkmcnt(5)
	v_perm_b32 v20, v22, v38, s12
	s_waitcnt lgkmcnt(4)
	v_perm_b32 v21, v39, v23, s12
	;; [unrolled: 2-line block ×3, first 2 shown]
	v_perm_b32 v26, v28, v26, s12
	v_mfma_f32_16x16x16_f16 v[20:23], v[20:21], v[44:45], v[136:139]
	s_nop 2
	v_cvt_f32_f16_e32 v136, v25
	v_cvt_f32_f16_sdwa v137, v25 dst_sel:DWORD dst_unused:UNUSED_PAD src0_sel:WORD_1
	s_nop 2
	v_cvt_f16_f32_e32 v20, v20
	v_cvt_f16_f32_e32 v21, v21
	;; [unrolled: 1-line block ×4, first 2 shown]
	v_cvt_f32_f16_e32 v20, v20
	v_cvt_f32_f16_e32 v21, v21
	;; [unrolled: 1-line block ×5, first 2 shown]
	v_cvt_f32_f16_sdwa v139, v24 dst_sel:DWORD dst_unused:UNUSED_PAD src0_sel:WORD_1
	v_mfma_f32_16x16x16_f16 v[20:23], v[26:27], v[46:47], v[20:23]
	ds_read_u16 v26, v127 offset:8736
	ds_read_u16 v28, v127 offset:9008
	;; [unrolled: 1-line block ×4, first 2 shown]
	s_nop 3
	v_cvt_f16_f32_e32 v20, v20
	v_cvt_f16_f32_e32 v21, v21
	;; [unrolled: 1-line block ×4, first 2 shown]
	s_waitcnt lgkmcnt(0)
	v_perm_b32 v27, v31, v27, s12
	v_perm_b32 v26, v28, v26, s12
	v_cvt_f32_f16_e32 v20, v20
	v_cvt_f32_f16_e32 v21, v21
	;; [unrolled: 1-line block ×4, first 2 shown]
	s_nop 1
	v_mfma_f32_16x16x16_f16 v[20:23], v[26:27], v[74:75], v[20:23]
	ds_read_u16 v26, v127 offset:13088
	ds_read_u16 v28, v127 offset:13360
	;; [unrolled: 1-line block ×4, first 2 shown]
	s_nop 3
	v_cvt_f16_f32_e32 v20, v20
	v_cvt_f16_f32_e32 v21, v21
	;; [unrolled: 1-line block ×4, first 2 shown]
	s_waitcnt lgkmcnt(0)
	v_perm_b32 v27, v31, v27, s12
	v_perm_b32 v26, v28, v26, s12
	v_cvt_f32_f16_e32 v20, v20
	v_cvt_f32_f16_e32 v21, v21
	v_cvt_f32_f16_e32 v22, v22
	v_cvt_f32_f16_e32 v23, v23
	s_nop 1
	v_mfma_f32_16x16x16_f16 v[20:23], v[26:27], v[76:77], v[20:23]
	ds_read_u16 v26, v127 offset:64
	ds_read_u16 v27, v127 offset:336
	;; [unrolled: 1-line block ×4, first 2 shown]
	s_waitcnt lgkmcnt(2)
	v_perm_b32 v24, v27, v26, s12
	s_nop 1
	v_cvt_pk_f16_f32 v21, v20, v21
	s_waitcnt lgkmcnt(0)
	v_perm_b32 v25, v31, v28, s12
	ds_read_u16 v28, v127 offset:4416
	ds_read_u16 v31, v127 offset:4688
	;; [unrolled: 1-line block ×4, first 2 shown]
	v_mfma_f32_16x16x16_f16 v[24:27], v[24:25], v[44:45], v[136:139]
	s_waitcnt lgkmcnt(0)
	v_perm_b32 v39, v35, v33, s12
	v_perm_b32 v38, v31, v28, s12
	ds_read_u16 v28, v127 offset:8768
	ds_read_u16 v31, v127 offset:9040
	ds_read_u16 v33, v127 offset:9312
	ds_read_u16 v35, v128 offset:8768
	s_nop 0
	v_cvt_f16_f32_e32 v24, v24
	v_cvt_f16_f32_e32 v25, v25
	;; [unrolled: 1-line block ×4, first 2 shown]
	v_cvt_f32_f16_e32 v24, v24
	v_cvt_f32_f16_e32 v25, v25
	;; [unrolled: 1-line block ×5, first 2 shown]
	v_cvt_f32_f16_sdwa v139, v29 dst_sel:DWORD dst_unused:UNUSED_PAD src0_sel:WORD_1
	v_mfma_f32_16x16x16_f16 v[24:27], v[38:39], v[46:47], v[24:27]
	s_waitcnt lgkmcnt(0)
	v_perm_b32 v39, v35, v33, s12
	v_perm_b32 v38, v31, v28, s12
	ds_read_u16 v28, v127 offset:13120
	ds_read_u16 v31, v127 offset:13392
	;; [unrolled: 1-line block ×4, first 2 shown]
	s_nop 0
	v_cvt_f16_f32_e32 v24, v24
	v_cvt_f16_f32_e32 v25, v25
	;; [unrolled: 1-line block ×4, first 2 shown]
	v_cvt_f32_f16_e32 v24, v24
	v_cvt_f32_f16_e32 v25, v25
	v_cvt_f32_f16_e32 v26, v26
	v_cvt_f32_f16_e32 v27, v27
	v_cvt_f32_f16_e32 v136, v30
	v_cvt_f32_f16_sdwa v137, v30 dst_sel:DWORD dst_unused:UNUSED_PAD src0_sel:WORD_1
	v_mfma_f32_16x16x16_f16 v[24:27], v[38:39], v[74:75], v[24:27]
	s_waitcnt lgkmcnt(0)
	v_perm_b32 v39, v35, v33, s12
	v_perm_b32 v38, v31, v28, s12
	ds_read_u16 v28, v127 offset:96
	ds_read_u16 v31, v127 offset:368
	;; [unrolled: 1-line block ×4, first 2 shown]
	s_nop 0
	v_cvt_f16_f32_e32 v24, v24
	v_cvt_f16_f32_e32 v25, v25
	;; [unrolled: 1-line block ×4, first 2 shown]
	s_waitcnt lgkmcnt(0)
	v_perm_b32 v29, v35, v33, s12
	v_perm_b32 v28, v31, v28, s12
	v_cvt_f32_f16_e32 v24, v24
	v_cvt_f32_f16_e32 v25, v25
	;; [unrolled: 1-line block ×4, first 2 shown]
	v_mfma_f32_16x16x16_f16 v[28:31], v[28:29], v[44:45], v[136:139]
	v_cvt_pk_f16_f32 v20, v22, v23
	v_cvt_pk_f16_f32 v23, v16, v17
	;; [unrolled: 1-line block ×3, first 2 shown]
	v_mfma_f32_16x16x16_f16 v[24:27], v[38:39], v[76:77], v[24:27]
	ds_read_u16 v33, v127 offset:4448
	ds_read_u16 v35, v127 offset:4720
	;; [unrolled: 1-line block ×4, first 2 shown]
	v_cvt_f16_f32_e32 v28, v28
	v_cvt_f16_f32_e32 v29, v29
	;; [unrolled: 1-line block ×4, first 2 shown]
	s_waitcnt lgkmcnt(0)
	v_perm_b32 v39, v39, v38, s12
	v_perm_b32 v38, v35, v33, s12
	v_cvt_f32_f16_e32 v28, v28
	v_cvt_f32_f16_e32 v29, v29
	;; [unrolled: 1-line block ×5, first 2 shown]
	v_cvt_f32_f16_sdwa v139, v32 dst_sel:DWORD dst_unused:UNUSED_PAD src0_sel:WORD_1
	v_mfma_f32_16x16x16_f16 v[28:31], v[38:39], v[46:47], v[28:31]
	ds_read_u16 v33, v127 offset:8800
	ds_read_u16 v35, v127 offset:9072
	;; [unrolled: 1-line block ×4, first 2 shown]
	v_cvt_f32_f16_e32 v136, v34
	v_cvt_f32_f16_sdwa v137, v34 dst_sel:DWORD dst_unused:UNUSED_PAD src0_sel:WORD_1
	s_nop 1
	v_cvt_f16_f32_e32 v28, v28
	v_cvt_f16_f32_e32 v29, v29
	v_cvt_f16_f32_e32 v30, v30
	v_cvt_f16_f32_e32 v31, v31
	s_waitcnt lgkmcnt(0)
	v_perm_b32 v39, v39, v38, s12
	v_perm_b32 v38, v35, v33, s12
	v_cvt_f32_f16_e32 v28, v28
	v_cvt_f32_f16_e32 v29, v29
	;; [unrolled: 1-line block ×4, first 2 shown]
	v_cvt_pk_f16_f32 v25, v24, v25
	v_cvt_pk_f16_f32 v24, v26, v27
	v_mfma_f32_16x16x16_f16 v[28:31], v[38:39], v[74:75], v[28:31]
	ds_read_u16 v33, v127 offset:13152
	ds_read_u16 v35, v127 offset:13424
	;; [unrolled: 1-line block ×4, first 2 shown]
	s_nop 3
	v_cvt_f16_f32_e32 v28, v28
	v_cvt_f16_f32_e32 v29, v29
	;; [unrolled: 1-line block ×4, first 2 shown]
	s_waitcnt lgkmcnt(0)
	v_perm_b32 v39, v39, v38, s12
	v_perm_b32 v38, v35, v33, s12
	v_cvt_f32_f16_e32 v28, v28
	v_cvt_f32_f16_e32 v29, v29
	;; [unrolled: 1-line block ×4, first 2 shown]
	s_nop 1
	v_mfma_f32_16x16x16_f16 v[28:31], v[38:39], v[76:77], v[28:31]
	ds_read_u16 v35, v127 offset:128
	ds_read_u16 v38, v127 offset:400
	;; [unrolled: 1-line block ×4, first 2 shown]
	s_waitcnt lgkmcnt(2)
	v_perm_b32 v32, v38, v35, s12
	s_waitcnt lgkmcnt(0)
	v_perm_b32 v33, v39, v33, s12
	ds_read_u16 v38, v127 offset:4480
	ds_read_u16 v42, v127 offset:4752
	;; [unrolled: 1-line block ×4, first 2 shown]
	v_mfma_f32_16x16x16_f16 v[32:35], v[32:33], v[44:45], v[136:139]
	s_waitcnt lgkmcnt(0)
	v_perm_b32 v39, v43, v39, s12
	v_perm_b32 v38, v42, v38, s12
	v_cvt_f32_f16_e32 v136, v37
	s_nop 3
	v_cvt_f16_f32_e32 v32, v32
	v_cvt_f16_f32_e32 v33, v33
	;; [unrolled: 1-line block ×4, first 2 shown]
	v_cvt_f32_f16_e32 v32, v32
	v_cvt_f32_f16_e32 v33, v33
	;; [unrolled: 1-line block ×4, first 2 shown]
	v_cvt_f32_f16_sdwa v137, v37 dst_sel:DWORD dst_unused:UNUSED_PAD src0_sel:WORD_1
	v_cvt_f32_f16_e32 v138, v36
	v_mfma_f32_16x16x16_f16 v[32:35], v[38:39], v[46:47], v[32:35]
	ds_read_u16 v38, v127 offset:8832
	ds_read_u16 v42, v127 offset:9104
	;; [unrolled: 1-line block ×4, first 2 shown]
	v_cvt_f32_f16_sdwa v139, v36 dst_sel:DWORD dst_unused:UNUSED_PAD src0_sel:WORD_1
	s_nop 2
	v_cvt_f16_f32_e32 v32, v32
	v_cvt_f16_f32_e32 v33, v33
	v_cvt_f16_f32_e32 v34, v34
	v_cvt_f16_f32_e32 v35, v35
	s_waitcnt lgkmcnt(0)
	v_perm_b32 v39, v43, v39, s12
	v_perm_b32 v38, v42, v38, s12
	v_cvt_f32_f16_e32 v32, v32
	v_cvt_f32_f16_e32 v33, v33
	;; [unrolled: 1-line block ×4, first 2 shown]
	s_nop 1
	v_mfma_f32_16x16x16_f16 v[32:35], v[38:39], v[74:75], v[32:35]
	ds_read_u16 v38, v127 offset:13184
	ds_read_u16 v42, v127 offset:13456
	;; [unrolled: 1-line block ×4, first 2 shown]
	s_nop 3
	v_cvt_f16_f32_e32 v32, v32
	v_cvt_f16_f32_e32 v33, v33
	;; [unrolled: 1-line block ×4, first 2 shown]
	s_waitcnt lgkmcnt(0)
	v_perm_b32 v39, v43, v39, s12
	v_perm_b32 v38, v42, v38, s12
	v_cvt_f32_f16_e32 v32, v32
	v_cvt_f32_f16_e32 v33, v33
	;; [unrolled: 1-line block ×4, first 2 shown]
	s_nop 1
	v_mfma_f32_16x16x16_f16 v[32:35], v[38:39], v[76:77], v[32:35]
	ds_read_u16 v38, v127 offset:160
	ds_read_u16 v39, v127 offset:432
	;; [unrolled: 1-line block ×4, first 2 shown]
	s_waitcnt lgkmcnt(2)
	v_perm_b32 v36, v39, v38, s12
	s_waitcnt lgkmcnt(0)
	v_perm_b32 v37, v43, v42, s12
	s_nop 1
	v_mfma_f32_16x16x16_f16 v[36:39], v[36:37], v[44:45], v[136:139]
	ds_read_u16 v42, v127 offset:4512
	ds_read_u16 v135, v127 offset:4784
	;; [unrolled: 1-line block ×4, first 2 shown]
	v_cvt_f32_f16_sdwa v137, v41 dst_sel:DWORD dst_unused:UNUSED_PAD src0_sel:WORD_1
	v_cvt_f32_f16_e32 v138, v40
	s_nop 1
	v_cvt_f16_f32_e32 v36, v36
	v_cvt_f16_f32_e32 v37, v37
	;; [unrolled: 1-line block ×4, first 2 shown]
	s_waitcnt lgkmcnt(0)
	v_perm_b32 v43, v136, v43, s12
	v_perm_b32 v42, v135, v42, s12
	v_cvt_f32_f16_e32 v36, v36
	v_cvt_f32_f16_e32 v37, v37
	;; [unrolled: 1-line block ×4, first 2 shown]
	v_cvt_f32_f16_sdwa v139, v40 dst_sel:DWORD dst_unused:UNUSED_PAD src0_sel:WORD_1
	s_nop 0
	v_mfma_f32_16x16x16_f16 v[36:39], v[42:43], v[46:47], v[36:39]
	ds_read_u16 v42, v127 offset:8864
	ds_read_u16 v135, v127 offset:9136
	;; [unrolled: 1-line block ×4, first 2 shown]
	s_nop 3
	v_cvt_f16_f32_e32 v36, v36
	v_cvt_f16_f32_e32 v37, v37
	;; [unrolled: 1-line block ×4, first 2 shown]
	s_waitcnt lgkmcnt(0)
	v_perm_b32 v43, v136, v43, s12
	v_perm_b32 v42, v135, v42, s12
	v_cvt_f32_f16_e32 v36, v36
	v_cvt_f32_f16_e32 v37, v37
	;; [unrolled: 1-line block ×4, first 2 shown]
	s_nop 1
	v_mfma_f32_16x16x16_f16 v[36:39], v[42:43], v[74:75], v[36:39]
	ds_read_u16 v42, v127 offset:13216
	ds_read_u16 v135, v127 offset:13488
	;; [unrolled: 1-line block ×4, first 2 shown]
	s_nop 3
	v_cvt_f16_f32_e32 v36, v36
	v_cvt_f16_f32_e32 v37, v37
	;; [unrolled: 1-line block ×4, first 2 shown]
	s_waitcnt lgkmcnt(0)
	v_perm_b32 v43, v136, v43, s12
	v_perm_b32 v42, v135, v42, s12
	v_cvt_f32_f16_e32 v36, v36
	v_cvt_f32_f16_e32 v37, v37
	;; [unrolled: 1-line block ×5, first 2 shown]
	s_nop 0
	v_mfma_f32_16x16x16_f16 v[36:39], v[42:43], v[76:77], v[36:39]
	ds_read_u16 v42, v127 offset:192
	ds_read_u16 v43, v127 offset:464
	;; [unrolled: 1-line block ×4, first 2 shown]
	s_waitcnt lgkmcnt(2)
	v_perm_b32 v40, v43, v42, s12
	s_nop 1
	v_cvt_pk_f16_f32 v38, v38, v39
	s_waitcnt lgkmcnt(0)
	v_perm_b32 v41, v140, v135, s12
	v_cvt_pk_f16_f32 v39, v32, v33
	v_cvt_pk_f16_f32 v33, v34, v35
	v_mfma_f32_16x16x16_f16 v[40:43], v[40:41], v[44:45], v[136:139]
	ds_read_u16 v135, v127 offset:4544
	s_nop 1
	ds_read_u16 v136, v127 offset:4816
	ds_read_u16 v137, v127 offset:5088
	;; [unrolled: 1-line block ×3, first 2 shown]
	v_cvt_f32_f16_sdwa v139, v133 dst_sel:DWORD dst_unused:UNUSED_PAD src0_sel:WORD_1
	s_nop 0
	v_cvt_f16_f32_e32 v40, v40
	v_cvt_f16_f32_e32 v41, v41
	v_cvt_f16_f32_e32 v42, v42
	v_cvt_f16_f32_e32 v43, v43
	s_waitcnt lgkmcnt(0)
	v_perm_b32 v137, v138, v137, s12
	v_perm_b32 v136, v136, v135, s12
	v_cvt_f32_f16_e32 v40, v40
	v_cvt_f32_f16_e32 v41, v41
	;; [unrolled: 1-line block ×4, first 2 shown]
	s_nop 1
	v_mfma_f32_16x16x16_f16 v[40:43], v[136:137], v[46:47], v[40:43]
	ds_read_u16 v135, v127 offset:8896
	ds_read_u16 v136, v127 offset:9168
	;; [unrolled: 1-line block ×4, first 2 shown]
	s_nop 3
	v_cvt_f16_f32_e32 v40, v40
	v_cvt_f16_f32_e32 v41, v41
	;; [unrolled: 1-line block ×4, first 2 shown]
	s_waitcnt lgkmcnt(0)
	v_perm_b32 v137, v138, v137, s12
	v_perm_b32 v136, v136, v135, s12
	v_cvt_f32_f16_e32 v40, v40
	v_cvt_f32_f16_e32 v41, v41
	;; [unrolled: 1-line block ×4, first 2 shown]
	s_nop 1
	v_mfma_f32_16x16x16_f16 v[40:43], v[136:137], v[74:75], v[40:43]
	ds_read_u16 v135, v127 offset:13248
	ds_read_u16 v136, v127 offset:13520
	;; [unrolled: 1-line block ×4, first 2 shown]
	s_nop 3
	v_cvt_f16_f32_e32 v40, v40
	v_cvt_f16_f32_e32 v41, v41
	;; [unrolled: 1-line block ×4, first 2 shown]
	s_waitcnt lgkmcnt(0)
	v_perm_b32 v137, v138, v137, s12
	v_perm_b32 v136, v136, v135, s12
	ds_read_u16 v140, v127 offset:224
	ds_read_u16 v141, v127 offset:496
	;; [unrolled: 1-line block ×4, first 2 shown]
	v_cvt_f32_f16_e32 v40, v40
	v_cvt_f32_f16_e32 v41, v41
	;; [unrolled: 1-line block ×4, first 2 shown]
	s_waitcnt lgkmcnt(0)
	v_perm_b32 v135, v142, v135, s12
	v_cvt_f32_f16_e32 v138, v133
	v_mfma_f32_16x16x16_f16 v[40:43], v[136:137], v[76:77], v[40:43]
	v_cvt_f32_f16_e32 v136, v134
	v_cvt_f32_f16_sdwa v137, v134 dst_sel:DWORD dst_unused:UNUSED_PAD src0_sel:WORD_1
	v_perm_b32 v134, v141, v140, s12
	s_nop 1
	v_mfma_f32_16x16x16_f16 v[134:137], v[134:135], v[44:45], v[136:139]
	s_nop 2
	ds_read_u16 v138, v127 offset:4576
	ds_read_u16 v139, v127 offset:4848
	;; [unrolled: 1-line block ×4, first 2 shown]
	v_cvt_pk_f16_f32 v41, v40, v41
	v_cvt_pk_f16_f32 v40, v42, v43
	v_cvt_f16_f32_e32 v44, v134
	v_cvt_f16_f32_e32 v45, v135
	;; [unrolled: 1-line block ×4, first 2 shown]
	v_cvt_f32_f16_e32 v134, v44
	v_cvt_f32_f16_e32 v135, v45
	s_waitcnt lgkmcnt(0)
	v_perm_b32 v45, v141, v140, s12
	v_perm_b32 v44, v139, v138, s12
	v_cvt_f32_f16_e32 v136, v133
	v_cvt_f32_f16_e32 v137, v137
	v_cvt_pk_f16_f32 v42, v36, v37
	v_cvt_pk_f16_f32 v43, v30, v31
	v_mfma_f32_16x16x16_f16 v[44:47], v[44:45], v[46:47], v[134:137]
	ds_read_u16 v133, v127 offset:8928
	s_nop 1
	ds_read_u16 v134, v127 offset:9200
	ds_read_u16 v135, v127 offset:9472
	;; [unrolled: 1-line block ×3, first 2 shown]
	s_nop 1
	v_cvt_f16_f32_e32 v44, v44
	v_cvt_f16_f32_e32 v45, v45
	v_cvt_f16_f32_e32 v46, v46
	v_cvt_f16_f32_e32 v47, v47
	s_waitcnt lgkmcnt(0)
	v_perm_b32 v135, v136, v135, s12
	v_perm_b32 v134, v134, v133, s12
	v_cvt_f32_f16_e32 v44, v44
	v_cvt_f32_f16_e32 v45, v45
	;; [unrolled: 1-line block ×4, first 2 shown]
	s_nop 1
	v_mfma_f32_16x16x16_f16 v[44:47], v[134:135], v[74:75], v[44:47]
	ds_read_u16 v74, v127 offset:13280
	ds_read_u16 v133, v127 offset:13552
	;; [unrolled: 1-line block ×4, first 2 shown]
	s_waitcnt lgkmcnt(0)
	s_barrier
	s_nop 1
	v_cvt_f16_f32_e32 v44, v44
	v_cvt_f16_f32_e32 v45, v45
	;; [unrolled: 1-line block ×4, first 2 shown]
	v_perm_b32 v75, v134, v75, s12
	v_perm_b32 v74, v133, v74, s12
	v_cvt_f32_f16_e32 v44, v44
	v_cvt_f32_f16_e32 v45, v45
	;; [unrolled: 1-line block ×4, first 2 shown]
	s_nop 1
	v_mfma_f32_16x16x16_f16 v[44:47], v[74:75], v[76:77], v[44:47]
	s_nop 7
	v_cvt_pk_f16_f32 v45, v44, v45
	v_cvt_pk_f16_f32 v44, v46, v47
	;; [unrolled: 1-line block ×3, first 2 shown]
	s_cbranch_vccnz .LBB24_428
; %bb.429:
	v_mov_b64_e32 v[16:17], s[36:37]
	v_mov_b64_e32 v[18:19], s[26:27]
.LBB24_430:
	s_lshl_b32 s8, s52, 6
	s_ashr_i32 s9, s8, 31
	s_lshl_b64 s[2:3], s[8:9], 1
	s_add_u32 s2, s6, s2
	s_addc_u32 s3, s7, s3
	v_lshl_add_u64 v[26:27], v[60:61], 1, s[2:3]
	v_lshl_add_u64 v[26:27], v[56:57], 1, v[26:27]
	global_load_dword v32, v[26:27], off
	v_mul_lo_u32 v26, v18, s9
	v_mul_hi_u32 v27, v18, s8
	v_add_u32_e32 v26, v27, v26
	v_mul_lo_u32 v19, v19, s8
	v_add_u32_e32 v19, v26, v19
	v_mul_lo_u32 v18, v18, s8
	v_lshlrev_b64 v[18:19], 2, v[18:19]
	v_lshl_add_u64 v[26:27], s[4:5], 0, v[18:19]
	v_lshl_add_u64 v[28:29], v[62:63], 2, v[26:27]
	v_lshlrev_b64 v[18:19], 2, v[58:59]
	v_lshl_add_u64 v[28:29], v[28:29], 0, v[18:19]
	v_lshl_add_u64 v[30:31], v[64:65], 2, v[26:27]
	;; [unrolled: 1-line block ×7, first 2 shown]
	global_load_dwordx4 v[34:37], v[28:29], off
	global_load_dwordx4 v[60:63], v[30:31], off
	;; [unrolled: 1-line block ×4, first 2 shown]
	v_lshlrev_b32_e32 v26, 1, v56
	v_lshlrev_b32_e32 v27, 2, v58
	v_add3_u32 v47, 0, v90, v82
	v_add3_u32 v26, 0, v116, v26
	;; [unrolled: 1-line block ×6, first 2 shown]
	v_add_u32_e32 v27, 0x2000, v47
	v_cmp_lt_i32_e32 vcc, v94, v92
	s_mov_b32 s4, 0x3fb8aa3b
	s_mov_b32 s3, 0xc2ce8ed0
	;; [unrolled: 1-line block ×3, first 2 shown]
	v_readlane_b32 s12, v255, 2
	v_readlane_b32 s10, v255, 4
	v_readlane_b32 s13, v255, 3
	s_waitcnt vmcnt(4)
	ds_write_b32 v26, v32 offset:17408
	s_waitcnt vmcnt(3)
	ds_write_b128 v28, v[34:37]
	s_waitcnt vmcnt(2)
	ds_write_b128 v29, v[60:63]
	;; [unrolled: 2-line block ×4, first 2 shown]
	v_add_u32_e32 v26, 0x1000, v47
	v_add_u32_e32 v32, 0x3000, v47
	s_waitcnt lgkmcnt(0)
	s_barrier
	ds_read2_b64 v[34:37], v47 offset1:4
	ds_read2_b64 v[60:63], v26 offset0:32 offset1:36
	ds_read2_b64 v[68:71], v27 offset0:64 offset1:68
	;; [unrolled: 1-line block ×3, first 2 shown]
	s_waitcnt lgkmcnt(3)
	v_mfma_f32_16x16x16_f16 v[56:59], v[34:35], v[12:13], 0
	s_waitcnt lgkmcnt(2)
	v_mfma_f32_16x16x16_f16 v[64:67], v[60:61], v[12:13], 0
	;; [unrolled: 2-line block ×4, first 2 shown]
	v_mfma_f32_16x16x16_f16 v[34:37], v[36:37], v[14:15], v[56:59]
	v_mfma_f32_16x16x16_f16 v[56:59], v[62:63], v[14:15], v[64:67]
	;; [unrolled: 1-line block ×3, first 2 shown]
	s_nop 1
	ds_read2_b64 v[64:67], v47 offset0:8 offset1:12
	ds_read2_b64 v[68:71], v26 offset0:40 offset1:44
	v_mfma_f32_16x16x16_f16 v[12:15], v[118:119], v[14:15], v[120:123]
	ds_read2_b64 v[72:75], v27 offset0:72 offset1:76
	ds_read2_b64 v[116:119], v32 offset0:104 offset1:108
	s_waitcnt lgkmcnt(3)
	v_mfma_f32_16x16x16_f16 v[34:37], v[64:65], v[8:9], v[34:37]
	s_waitcnt lgkmcnt(2)
	v_mfma_f32_16x16x16_f16 v[56:59], v[68:69], v[8:9], v[56:59]
	;; [unrolled: 2-line block ×4, first 2 shown]
	v_mfma_f32_16x16x16_f16 v[34:37], v[66:67], v[10:11], v[34:37]
	ds_read2_b64 v[64:67], v26 offset0:48 offset1:52
	v_mfma_f32_16x16x16_f16 v[56:59], v[70:71], v[10:11], v[56:59]
	ds_read2_b64 v[68:71], v27 offset0:80 offset1:84
	;; [unrolled: 2-line block ×3, first 2 shown]
	v_mfma_f32_16x16x16_f16 v[8:11], v[118:119], v[10:11], v[12:15]
	s_nop 2
	ds_read2_b64 v[12:15], v47 offset0:16 offset1:20
	s_waitcnt lgkmcnt(0)
	v_mfma_f32_16x16x16_f16 v[34:37], v[12:13], v[4:5], v[34:37]
	v_mfma_f32_16x16x16_f16 v[56:59], v[64:65], v[4:5], v[56:59]
	;; [unrolled: 1-line block ×6, first 2 shown]
	ds_read2_b64 v[64:67], v27 offset0:88 offset1:92
	v_mfma_f32_16x16x16_f16 v[56:59], v[70:71], v[6:7], v[60:63]
	ds_read2_b64 v[68:71], v32 offset0:120 offset1:124
	s_nop 1
	ds_read2_b64 v[60:63], v47 offset0:24 offset1:28
	v_mfma_f32_16x16x16_f16 v[4:7], v[74:75], v[6:7], v[8:11]
	s_nop 2
	ds_read2_b64 v[8:11], v26 offset0:56 offset1:60
	s_waitcnt lgkmcnt(1)
	v_mfma_f32_16x16x16_f16 v[12:15], v[60:61], v[0:1], v[12:15]
	v_add_u32_e32 v26, 0, v107
	v_lshl_add_u32 v27, v108, 2, v26
	v_lshl_add_u32 v47, v106, 2, v26
	s_waitcnt lgkmcnt(0)
	v_mfma_f32_16x16x16_f16 v[34:37], v[8:9], v[0:1], v[34:37]
	v_lshl_add_u32 v8, v103, 2, v26
	v_lshl_add_u32 v9, v104, 2, v26
	;; [unrolled: 1-line block ×6, first 2 shown]
	v_mfma_f32_16x16x16_f16 v[56:59], v[64:65], v[0:1], v[56:59]
	s_barrier
	v_mfma_f32_16x16x16_f16 v[4:7], v[68:69], v[0:1], v[4:7]
	ds_read_b32 v0, v27 offset:17408
	ds_read_b32 v1, v47 offset:17408
	;; [unrolled: 1-line block ×8, first 2 shown]
	s_waitcnt lgkmcnt(6)
	v_cvt_f32_f16_e32 v64, v1
	v_cvt_f32_f16_sdwa v65, v1 dst_sel:DWORD dst_unused:UNUSED_PAD src0_sel:WORD_1
	v_mfma_f32_16x16x16_f16 v[12:15], v[62:63], v[2:3], v[12:15]
	v_cvt_f32_f16_e32 v62, v0
	v_cvt_f32_f16_sdwa v63, v0 dst_sel:DWORD dst_unused:UNUSED_PAD src0_sel:WORD_1
	s_waitcnt lgkmcnt(5)
	v_cvt_f32_f16_e32 v68, v27
	v_mfma_f32_16x16x16_f16 v[8:11], v[10:11], v[2:3], v[34:37]
	v_cvt_f32_f16_sdwa v27, v27 dst_sel:DWORD dst_unused:UNUSED_PAD src0_sel:WORD_1
	v_mfma_f32_16x16x16_f16 v[34:37], v[66:67], v[2:3], v[56:59]
	v_mfma_f32_16x16x16_f16 v[0:3], v[70:71], v[2:3], v[4:7]
	s_waitcnt lgkmcnt(4)
	s_nop 0
	v_cvt_f32_f16_e32 v56, v47
	v_cvt_f32_f16_sdwa v47, v47 dst_sel:DWORD dst_unused:UNUSED_PAD src0_sel:WORD_1
	s_nop 0
	v_add_f32_e32 v8, v8, v68
	v_add_f32_e32 v4, v12, v62
	s_waitcnt lgkmcnt(3)
	v_cvt_f32_f16_e32 v12, v32
	v_add_f32_e32 v5, v13, v63
	v_cvt_f32_f16_sdwa v13, v32 dst_sel:DWORD dst_unused:UNUSED_PAD src0_sel:WORD_1
	s_waitcnt lgkmcnt(1)
	v_cvt_f32_f16_sdwa v32, v61 dst_sel:DWORD dst_unused:UNUSED_PAD src0_sel:WORD_1
	v_add_f32_e32 v12, v34, v12
	s_waitcnt lgkmcnt(0)
	v_cvt_f32_f16_e32 v34, v26
	v_cvt_f32_f16_sdwa v26, v26 dst_sel:DWORD dst_unused:UNUSED_PAD src0_sel:WORD_1
	v_add_f32_e32 v6, v14, v64
	v_add_f32_e32 v7, v15, v65
	v_cvt_f32_f16_e32 v14, v60
	v_cvt_f32_f16_sdwa v15, v60 dst_sel:DWORD dst_unused:UNUSED_PAD src0_sel:WORD_1
	v_add_f32_e32 v66, v1, v32
	v_add_f32_e32 v67, v2, v34
	;; [unrolled: 1-line block ×5, first 2 shown]
	v_cvt_f32_f16_e32 v27, v61
	v_add_f32_e32 v68, v3, v26
	v_max3_f32 v1, v114, v1, v2
	v_add_f32_e32 v2, 0x40051340, v6
	v_add_f32_e32 v3, 0x40051340, v7
	;; [unrolled: 1-line block ×4, first 2 shown]
	v_max3_f32 v1, v1, v2, v3
	v_add_f32_e32 v2, 0x40051340, v8
	v_add_f32_e32 v3, 0x40051340, v9
	;; [unrolled: 1-line block ×3, first 2 shown]
	v_max3_f32 v1, v1, v2, v3
	v_add_f32_e32 v2, 0x40051340, v10
	v_add_f32_e32 v3, 0x40051340, v11
	;; [unrolled: 1-line block ×4, first 2 shown]
	v_max3_f32 v1, v1, v2, v3
	v_add_f32_e32 v2, 0x40051340, v12
	v_add_f32_e32 v3, 0x40051340, v13
	;; [unrolled: 1-line block ×3, first 2 shown]
	v_max3_f32 v1, v1, v2, v3
	v_add_f32_e32 v2, 0x40051340, v14
	v_add_f32_e32 v3, 0x40051340, v15
	v_max3_f32 v1, v1, v2, v3
	v_add_f32_e32 v2, 0x40051340, v0
	v_add_f32_e32 v3, 0x40051340, v66
	;; [unrolled: 3-line block ×3, first 2 shown]
	v_max3_f32 v1, v1, v2, v3
	v_cndmask_b32_e32 v2, v91, v94, vcc
	v_lshlrev_b32_e32 v47, 2, v2
	ds_bpermute_b32 v2, v47, v1
	v_cmp_lt_i32_e32 vcc, v95, v92
	s_waitcnt lgkmcnt(0)
	v_max_f32_e32 v2, v2, v2
	v_max_f32_e32 v1, v1, v2
	v_cndmask_b32_e32 v2, v91, v95, vcc
	v_lshlrev_b32_e32 v56, 2, v2
	ds_bpermute_b32 v2, v56, v1
	s_waitcnt lgkmcnt(0)
	v_max_f32_e32 v2, v2, v2
	v_max_f32_e32 v32, v1, v2
	v_sub_f32_e32 v1, v4, v32
	v_mul_f32_e32 v2, 0x3fb8aa3b, v1
	v_fma_f32 v3, v1, s4, -v2
	v_rndne_f32_e32 v4, v2
	v_fmac_f32_e32 v3, 0x32a5705f, v1
	v_sub_f32_e32 v2, v2, v4
	v_add_f32_e32 v2, v2, v3
	v_exp_f32_e32 v2, v2
	v_cvt_i32_f32_e32 v3, v4
	v_cmp_ngt_f32_e32 vcc, s3, v1
	v_sub_f32_e32 v70, v0, v32
	v_mul_lo_u32 v0, v16, s9
	v_ldexp_f32 v2, v2, v3
	v_sub_f32_e32 v3, v5, v32
	v_mul_f32_e32 v4, 0x3fb8aa3b, v3
	v_fma_f32 v5, v3, s4, -v4
	v_rndne_f32_e32 v26, v4
	v_fmac_f32_e32 v5, 0x32a5705f, v3
	v_sub_f32_e32 v4, v4, v26
	v_add_f32_e32 v4, v4, v5
	v_exp_f32_e32 v5, v4
	v_cvt_i32_f32_e32 v27, v26
	v_cndmask_b32_e32 v2, 0, v2, vcc
	v_mov_b32_e32 v4, 0x7f800000
	v_cmp_nlt_f32_e32 vcc, s2, v1
	v_ldexp_f32 v1, v5, v27
	s_nop 0
	v_cndmask_b32_e32 v26, v4, v2, vcc
	v_sub_f32_e32 v2, v6, v32
	v_mul_f32_e32 v5, 0x3fb8aa3b, v2
	v_fma_f32 v6, v2, s4, -v5
	v_rndne_f32_e32 v27, v5
	v_fmac_f32_e32 v6, 0x32a5705f, v2
	v_sub_f32_e32 v5, v5, v27
	v_add_f32_e32 v5, v5, v6
	v_exp_f32_e32 v5, v5
	v_cvt_i32_f32_e32 v6, v27
	v_cmp_ngt_f32_e32 vcc, s3, v3
	s_nop 1
	v_cndmask_b32_e32 v1, 0, v1, vcc
	v_cmp_nlt_f32_e32 vcc, s2, v3
	v_sub_f32_e32 v3, v7, v32
	s_nop 0
	v_cndmask_b32_e32 v27, v4, v1, vcc
	v_ldexp_f32 v1, v5, v6
	v_mul_f32_e32 v5, 0x3fb8aa3b, v3
	v_fma_f32 v6, v3, s4, -v5
	v_rndne_f32_e32 v7, v5
	v_fmac_f32_e32 v6, 0x32a5705f, v3
	v_sub_f32_e32 v5, v5, v7
	v_add_f32_e32 v5, v5, v6
	v_exp_f32_e32 v5, v5
	v_cvt_i32_f32_e32 v6, v7
	v_cmp_ngt_f32_e32 vcc, s3, v2
	s_nop 1
	v_cndmask_b32_e32 v1, 0, v1, vcc
	v_cmp_nlt_f32_e32 vcc, s2, v2
	v_sub_f32_e32 v2, v8, v32
	s_nop 0
	v_cndmask_b32_e32 v57, v4, v1, vcc
	v_ldexp_f32 v1, v5, v6
	;; [unrolled: 16-line block ×8, first 2 shown]
	v_mul_f32_e32 v5, 0x3fb8aa3b, v2
	v_fma_f32 v6, v2, s4, -v5
	v_rndne_f32_e32 v7, v5
	v_fmac_f32_e32 v6, 0x32a5705f, v2
	v_sub_f32_e32 v5, v5, v7
	v_add_f32_e32 v5, v5, v6
	v_exp_f32_e32 v5, v5
	v_cvt_i32_f32_e32 v6, v7
	v_cmp_ngt_f32_e32 vcc, s3, v3
	s_nop 1
	v_cndmask_b32_e32 v1, 0, v1, vcc
	v_cmp_nlt_f32_e32 vcc, s2, v3
	s_nop 1
	v_cndmask_b32_e32 v64, v4, v1, vcc
	v_ldexp_f32 v1, v5, v6
	v_sub_f32_e32 v5, v15, v32
	v_mul_f32_e32 v3, 0x3fb8aa3b, v5
	v_fma_f32 v6, v5, s4, -v3
	v_rndne_f32_e32 v7, v3
	v_cmp_ngt_f32_e32 vcc, s3, v2
	v_fmac_f32_e32 v6, 0x32a5705f, v5
	v_sub_f32_e32 v3, v3, v7
	v_cndmask_b32_e32 v1, 0, v1, vcc
	v_cmp_nlt_f32_e32 vcc, s2, v2
	v_add_f32_e32 v3, v3, v6
	v_exp_f32_e32 v3, v3
	v_cndmask_b32_e32 v65, v4, v1, vcc
	v_mul_hi_u32 v1, v16, s8
	v_cvt_i32_f32_e32 v6, v7
	v_add_u32_e32 v0, v1, v0
	v_mul_lo_u32 v1, v17, s8
	v_add_u32_e32 v1, v0, v1
	v_mul_lo_u32 v0, v16, s8
	v_lshlrev_b64 v[0:1], 2, v[0:1]
	v_lshl_add_u64 v[0:1], s[0:1], 0, v[0:1]
	v_ldexp_f32 v69, v3, v6
	v_lshl_add_u64 v[2:3], v[48:49], 2, v[0:1]
	v_lshl_add_u64 v[6:7], v[2:3], 0, v[18:19]
	;; [unrolled: 1-line block ×8, first 2 shown]
	global_load_dwordx4 v[0:3], v[6:7], off
	global_load_dwordx4 v[12:15], v[8:9], off
	;; [unrolled: 1-line block ×4, first 2 shown]
	v_mul_f32_e32 v6, 0x3fb8aa3b, v70
	v_fma_f32 v7, v70, s4, -v6
	v_rndne_f32_e32 v8, v6
	v_fmac_f32_e32 v7, 0x32a5705f, v70
	v_sub_f32_e32 v6, v6, v8
	v_add_f32_e32 v6, v6, v7
	v_exp_f32_e32 v6, v6
	v_cvt_i32_f32_e32 v7, v8
	v_cmp_ngt_f32_e32 vcc, s3, v5
	v_sub_f32_e32 v11, v114, v32
	v_mul_f32_e32 v51, 0x3fb8aa3b, v11
	v_cndmask_b32_e32 v8, 0, v69, vcc
	v_cmp_nlt_f32_e32 vcc, s2, v5
	v_ldexp_f32 v5, v6, v7
	v_sub_f32_e32 v6, v66, v32
	v_mul_f32_e32 v7, 0x3fb8aa3b, v6
	v_cndmask_b32_e32 v48, v4, v8, vcc
	v_fma_f32 v8, v6, s4, -v7
	v_rndne_f32_e32 v9, v7
	v_fmac_f32_e32 v8, 0x32a5705f, v6
	v_sub_f32_e32 v7, v7, v9
	v_add_f32_e32 v7, v7, v8
	v_exp_f32_e32 v7, v7
	v_cvt_i32_f32_e32 v8, v9
	v_cmp_ngt_f32_e32 vcc, s3, v70
	v_fma_f32 v52, v11, s4, -v51
	v_rndne_f32_e32 v53, v51
	v_cndmask_b32_e32 v5, 0, v5, vcc
	v_cmp_nlt_f32_e32 vcc, s2, v70
	v_fmac_f32_e32 v52, 0x32a5705f, v11
	v_sub_f32_e32 v51, v51, v53
	v_cndmask_b32_e32 v49, v4, v5, vcc
	v_ldexp_f32 v5, v7, v8
	v_sub_f32_e32 v8, v67, v32
	v_mul_f32_e32 v7, 0x3fb8aa3b, v8
	v_fma_f32 v9, v8, s4, -v7
	v_rndne_f32_e32 v10, v7
	v_fmac_f32_e32 v9, 0x32a5705f, v8
	v_sub_f32_e32 v7, v7, v10
	v_add_f32_e32 v7, v7, v9
	v_exp_f32_e32 v7, v7
	v_cvt_i32_f32_e32 v9, v10
	v_cmp_ngt_f32_e32 vcc, s3, v6
	v_add_f32_e32 v51, v51, v52
	v_exp_f32_e32 v51, v51
	v_cndmask_b32_e32 v5, 0, v5, vcc
	v_cmp_nlt_f32_e32 vcc, s2, v6
	v_cvt_i32_f32_e32 v52, v53
	s_mov_b32 s0, 0xc1a00000
	v_cndmask_b32_e32 v50, v4, v5, vcc
	v_ldexp_f32 v5, v7, v9
	v_sub_f32_e32 v7, v68, v32
	v_mul_f32_e32 v6, 0x3fb8aa3b, v7
	v_fma_f32 v9, v7, s4, -v6
	v_rndne_f32_e32 v10, v6
	v_cmp_ngt_f32_e32 vcc, s3, v8
	v_fmac_f32_e32 v9, 0x32a5705f, v7
	v_sub_f32_e32 v6, v6, v10
	v_cndmask_b32_e32 v5, 0, v5, vcc
	v_add_f32_e32 v6, v6, v9
	v_cvt_i32_f32_e32 v9, v10
	v_ldexp_f32 v10, v51, v52
	v_cmp_ngt_f32_e32 vcc, s3, v11
	v_exp_f32_e32 v6, v6
	s_waitcnt vmcnt(3)
	ds_write_b128 v28, v[0:3]
	s_waitcnt vmcnt(2)
	ds_write_b128 v29, v[12:15]
	s_waitcnt vmcnt(1)
	ds_write_b128 v30, v[16:19]
	s_waitcnt vmcnt(0)
	ds_write_b128 v31, v[34:37]
	v_cndmask_b32_e32 v10, 0, v10, vcc
	v_cmp_nlt_f32_e32 vcc, s2, v11
	s_waitcnt lgkmcnt(0)
	s_barrier
	v_cndmask_b32_e32 v10, v4, v10, vcc
	v_cmp_le_f32_e32 vcc, s0, v11
	s_mov_b32 s0, 0x5040100
	s_nop 0
	v_cndmask_b32_e32 v51, 0, v10, vcc
	v_cvt_f16_f32_e32 v11, v51
	v_cmp_nlt_f32_e32 vcc, s2, v8
	v_ldexp_f32 v10, v6, v9
	v_add3_u32 v6, 0, v88, v86
	v_mul_u32_u24_e32 v53, 0x10001, v11
	v_cndmask_b32_e32 v52, v4, v5, vcc
	v_pk_mul_f16 v8, v23, v53
	v_pk_mul_f16 v9, v22, v53
	v_add3_u32 v5, 0, v87, v86
	v_cvt_f32_f16_e32 v0, v8
	v_cvt_f32_f16_sdwa v1, v8 dst_sel:DWORD dst_unused:UNUSED_PAD src0_sel:WORD_1
	v_cvt_f32_f16_e32 v2, v9
	v_cvt_f32_f16_sdwa v3, v9 dst_sel:DWORD dst_unused:UNUSED_PAD src0_sel:WORD_1
	ds_read_u16 v11, v5 offset:544
	ds_read_u16 v8, v5 offset:576
	;; [unrolled: 1-line block ×8, first 2 shown]
	ds_read_u16 v13, v6
	ds_read_u16 v17, v6 offset:32
	ds_read_u16 v23, v6 offset:64
	;; [unrolled: 1-line block ×7, first 2 shown]
	s_waitcnt lgkmcnt(7)
	v_perm_b32 v15, v13, v11, s0
	ds_read_u16 v11, v5
	ds_read_u16 v13, v5 offset:32
	ds_read_u16 v68, v5 offset:64
	;; [unrolled: 1-line block ×15, first 2 shown]
	s_waitcnt lgkmcnt(7)
	v_perm_b32 v14, v14, v11, s0
	v_cvt_pk_f16_f32 v29, v57, v58
	v_cvt_pk_f16_f32 v28, v26, v27
	v_cmp_ngt_f32_e32 vcc, s3, v7
	v_cvt_pk_f16_f32 v31, v61, v62
	v_mfma_f32_16x16x16_f16 v[0:3], v[14:15], v[28:29], v[0:3]
	v_cndmask_b32_e32 v19, 0, v10, vcc
	ds_read_u16 v10, v5 offset:4896
	ds_read_u16 v14, v5 offset:4928
	;; [unrolled: 1-line block ×16, first 2 shown]
	s_waitcnt lgkmcnt(7)
	v_perm_b32 v11, v11, v10, s0
	v_cvt_f16_f32_e32 v0, v0
	v_cvt_f16_f32_e32 v1, v1
	;; [unrolled: 1-line block ×4, first 2 shown]
	ds_read_u16 v10, v5 offset:4352
	ds_read_u16 v108, v5 offset:4384
	;; [unrolled: 1-line block ×16, first 2 shown]
	s_waitcnt lgkmcnt(7)
	v_perm_b32 v10, v30, v10, s0
	v_cvt_f32_f16_e32 v0, v0
	v_cvt_f32_f16_e32 v1, v1
	;; [unrolled: 1-line block ×4, first 2 shown]
	v_cvt_pk_f16_f32 v30, v59, v60
	v_cmp_nlt_f32_e32 vcc, s2, v7
	v_cvt_pk_f16_f32 v35, v65, v48
	v_mfma_f32_16x16x16_f16 v[0:3], v[10:11], v[30:31], v[0:3]
	v_cndmask_b32_e32 v124, v4, v19, vcc
	ds_read_u16 v4, v5 offset:9248
	ds_read_u16 v19, v5 offset:9280
	;; [unrolled: 1-line block ×16, first 2 shown]
	s_waitcnt lgkmcnt(7)
	v_perm_b32 v11, v7, v4, s0
	v_cvt_f16_f32_e32 v0, v0
	v_cvt_f16_f32_e32 v1, v1
	;; [unrolled: 1-line block ×4, first 2 shown]
	ds_read_u16 v4, v5 offset:8704
	ds_read_u16 v138, v5 offset:8736
	;; [unrolled: 1-line block ×16, first 2 shown]
	s_waitcnt lgkmcnt(7)
	v_perm_b32 v10, v7, v4, s0
	v_cvt_f32_f16_e32 v0, v0
	v_cvt_f32_f16_e32 v1, v1
	;; [unrolled: 1-line block ×4, first 2 shown]
	v_cvt_pk_f16_f32 v34, v63, v64
	ds_read_u16 v4, v5 offset:13600
	ds_read_u16 v152, v5 offset:13632
	;; [unrolled: 1-line block ×16, first 2 shown]
	v_mfma_f32_16x16x16_f16 v[0:3], v[10:11], v[34:35], v[0:3]
	s_waitcnt lgkmcnt(7)
	v_perm_b32 v7, v7, v4, s0
	ds_read_u16 v4, v5 offset:13056
	ds_read_u16 v171, v5 offset:13088
	;; [unrolled: 1-line block ×16, first 2 shown]
	s_waitcnt lgkmcnt(7)
	v_perm_b32 v6, v6, v4, s0
	v_cvt_f16_f32_e32 v0, v0
	v_cvt_f16_f32_e32 v1, v1
	;; [unrolled: 1-line block ×4, first 2 shown]
	v_cvt_f32_f16_e32 v0, v0
	v_cvt_f32_f16_e32 v1, v1
	;; [unrolled: 1-line block ×4, first 2 shown]
	v_pk_mul_f16 v21, v21, v53
	v_pk_mul_f16 v20, v20, v53
	v_cvt_pk_f16_f32 v37, v52, v124
	v_cvt_pk_f16_f32 v36, v49, v50
	v_perm_b32 v11, v17, v8, s0
	v_perm_b32 v10, v18, v13, s0
	v_mfma_f32_16x16x16_f16 v[0:3], v[6:7], v[36:37], v[0:3]
	v_cvt_f32_f16_e32 v4, v21
	v_cvt_f32_f16_sdwa v5, v21 dst_sel:DWORD dst_unused:UNUSED_PAD src0_sel:WORD_1
	v_cvt_f32_f16_e32 v6, v20
	v_cvt_f32_f16_sdwa v7, v20 dst_sel:DWORD dst_unused:UNUSED_PAD src0_sel:WORD_1
	v_pk_mul_f16 v8, v25, v53
	v_pk_mul_f16 v13, v24, v53
	v_mfma_f32_16x16x16_f16 v[4:7], v[10:11], v[28:29], v[4:7]
	v_perm_b32 v11, v99, v14, s0
	v_perm_b32 v10, v117, v108, s0
	v_cvt_f32_f16_e32 v18, v8
	v_perm_b32 v9, v23, v9, s0
	s_nop 3
	v_cvt_f16_f32_e32 v4, v4
	v_cvt_f16_f32_e32 v5, v5
	;; [unrolled: 1-line block ×4, first 2 shown]
	v_cvt_f32_f16_e32 v4, v4
	v_cvt_f32_f16_e32 v5, v5
	;; [unrolled: 1-line block ×5, first 2 shown]
	v_cvt_f32_f16_sdwa v21, v13 dst_sel:DWORD dst_unused:UNUSED_PAD src0_sel:WORD_1
	v_mfma_f32_16x16x16_f16 v[4:7], v[10:11], v[30:31], v[4:7]
	v_perm_b32 v11, v131, v19, s0
	v_perm_b32 v10, v145, v138, s0
	v_cvt_f32_f16_sdwa v19, v8 dst_sel:DWORD dst_unused:UNUSED_PAD src0_sel:WORD_1
	v_perm_b32 v8, v77, v68, s0
	s_nop 3
	v_cvt_f16_f32_e32 v4, v4
	v_cvt_f16_f32_e32 v5, v5
	;; [unrolled: 1-line block ×4, first 2 shown]
	v_cvt_f32_f16_e32 v4, v4
	v_cvt_f32_f16_e32 v5, v5
	;; [unrolled: 1-line block ×4, first 2 shown]
	v_perm_b32 v15, v100, v15, s0
	v_perm_b32 v14, v118, v110, s0
	v_mfma_f32_16x16x16_f16 v[4:7], v[10:11], v[34:35], v[4:7]
	v_perm_b32 v11, v159, v152, s0
	s_waitcnt lgkmcnt(6)
	v_perm_b32 v10, v178, v171, s0
	v_pk_mul_f16 v13, v46, v53
	v_pk_mul_f16 v17, v43, v53
	s_nop 2
	v_cvt_f16_f32_e32 v4, v4
	v_cvt_f16_f32_e32 v5, v5
	;; [unrolled: 1-line block ×4, first 2 shown]
	v_cvt_f32_f16_e32 v4, v4
	v_cvt_f32_f16_e32 v5, v5
	;; [unrolled: 1-line block ×4, first 2 shown]
	v_pk_mul_f16 v23, v42, v53
	v_pk_mul_f16 v24, v38, v53
	v_mfma_f32_16x16x16_f16 v[4:7], v[10:11], v[36:37], v[4:7]
	v_cvt_f32_f16_e32 v68, v24
	v_perm_b32 v25, v104, v95, s0
	v_perm_b32 v43, v71, v55, s0
	v_mfma_f32_16x16x16_f16 v[8:11], v[8:9], v[28:29], v[18:21]
	v_perm_b32 v42, v91, v76, s0
	s_mov_b32 s1, 0
	v_cmp_gt_u32_e32 vcc, 16, v78
	v_cvt_f32_f16_e32 v18, v13
	v_cvt_f32_f16_sdwa v19, v13 dst_sel:DWORD dst_unused:UNUSED_PAD src0_sel:WORD_1
	s_nop 2
	v_cvt_f16_f32_e32 v8, v8
	v_cvt_f16_f32_e32 v9, v9
	;; [unrolled: 1-line block ×4, first 2 shown]
	v_cvt_f32_f16_e32 v8, v8
	v_cvt_f32_f16_e32 v9, v9
	;; [unrolled: 1-line block ×4, first 2 shown]
	v_perm_b32 v13, v66, v12, s0
	v_perm_b32 v12, v86, v72, s0
	v_mfma_f32_16x16x16_f16 v[8:11], v[14:15], v[30:31], v[8:11]
	v_perm_b32 v15, v132, v125, s0
	v_perm_b32 v14, v146, v139, s0
	v_cvt_f32_f16_e32 v20, v17
	v_cvt_f32_f16_sdwa v21, v17 dst_sel:DWORD dst_unused:UNUSED_PAD src0_sel:WORD_1
	s_nop 3
	v_cvt_f16_f32_e32 v8, v8
	v_cvt_f16_f32_e32 v9, v9
	;; [unrolled: 1-line block ×4, first 2 shown]
	v_cvt_f32_f16_e32 v8, v8
	v_cvt_f32_f16_e32 v9, v9
	;; [unrolled: 1-line block ×4, first 2 shown]
	v_pk_mul_f16 v17, v39, v53
	v_cvt_f32_f16_e32 v66, v23
	v_mfma_f32_16x16x16_f16 v[8:11], v[14:15], v[34:35], v[8:11]
	v_perm_b32 v15, v160, v153, s0
	s_waitcnt lgkmcnt(5)
	v_perm_b32 v14, v179, v172, s0
	s_waitcnt lgkmcnt(0)
	s_barrier
	s_nop 2
	v_cvt_f16_f32_e32 v8, v8
	v_cvt_f16_f32_e32 v9, v9
	;; [unrolled: 1-line block ×4, first 2 shown]
	v_cvt_f32_f16_e32 v8, v8
	v_cvt_f32_f16_e32 v9, v9
	;; [unrolled: 1-line block ×4, first 2 shown]
	s_nop 1
	v_mfma_f32_16x16x16_f16 v[8:11], v[14:15], v[36:37], v[8:11]
	s_barrier
	v_mfma_f32_16x16x16_f16 v[12:15], v[12:13], v[28:29], v[18:21]
	s_nop 2
	v_perm_b32 v19, v102, v92, s0
	v_perm_b32 v18, v119, v111, s0
	s_nop 2
	v_cvt_f16_f32_e32 v12, v12
	v_cvt_f16_f32_e32 v13, v13
	;; [unrolled: 1-line block ×4, first 2 shown]
	v_cvt_f32_f16_e32 v12, v12
	v_cvt_f32_f16_e32 v13, v13
	;; [unrolled: 1-line block ×4, first 2 shown]
	v_pk_mul_f16 v21, v33, v53
	v_pk_mul_f16 v33, v41, v53
	v_mfma_f32_16x16x16_f16 v[12:15], v[18:19], v[30:31], v[12:15]
	v_perm_b32 v19, v133, v126, s0
	v_perm_b32 v18, v147, v140, s0
	v_cvt_f32_f16_e32 v20, v21
	v_cvt_f32_f16_sdwa v21, v21 dst_sel:DWORD dst_unused:UNUSED_PAD src0_sel:WORD_1
	s_nop 3
	v_cvt_f16_f32_e32 v12, v12
	v_cvt_f16_f32_e32 v13, v13
	;; [unrolled: 1-line block ×4, first 2 shown]
	v_cvt_f32_f16_e32 v12, v12
	v_cvt_f32_f16_e32 v13, v13
	v_cvt_f32_f16_e32 v14, v14
	v_cvt_f32_f16_e32 v15, v15
	v_pk_mul_f16 v41, v40, v53
	v_cvt_f32_f16_e32 v38, v33
	v_mfma_f32_16x16x16_f16 v[12:15], v[18:19], v[34:35], v[12:15]
	v_perm_b32 v19, v161, v154, s0
	v_perm_b32 v18, v180, v173, s0
	v_cvt_f32_f16_sdwa v39, v33 dst_sel:DWORD dst_unused:UNUSED_PAD src0_sel:WORD_1
	v_cvt_f32_f16_e32 v40, v41
	s_nop 3
	v_cvt_f16_f32_e32 v12, v12
	v_cvt_f16_f32_e32 v13, v13
	v_cvt_f16_f32_e32 v14, v14
	v_cvt_f16_f32_e32 v15, v15
	v_cvt_f32_f16_e32 v12, v12
	v_cvt_f32_f16_e32 v13, v13
	;; [unrolled: 1-line block ×4, first 2 shown]
	v_cvt_f32_f16_sdwa v41, v41 dst_sel:DWORD dst_unused:UNUSED_PAD src0_sel:WORD_1
	s_nop 0
	v_mfma_f32_16x16x16_f16 v[12:15], v[18:19], v[36:37], v[12:15]
	v_cvt_f32_f16_e32 v18, v17
	v_cvt_f32_f16_sdwa v19, v17 dst_sel:DWORD dst_unused:UNUSED_PAD src0_sel:WORD_1
	v_perm_b32 v17, v67, v16, s0
	v_perm_b32 v16, v87, v73, s0
	v_cvt_f32_f16_sdwa v67, v23 dst_sel:DWORD dst_unused:UNUSED_PAD src0_sel:WORD_1
	s_nop 0
	v_mfma_f32_16x16x16_f16 v[16:19], v[16:17], v[28:29], v[18:21]
	s_nop 2
	v_perm_b32 v21, v103, v94, s0
	v_perm_b32 v20, v120, v112, s0
	s_nop 2
	v_cvt_f16_f32_e32 v16, v16
	v_cvt_f16_f32_e32 v17, v17
	v_cvt_f16_f32_e32 v18, v18
	v_cvt_f16_f32_e32 v19, v19
	v_cvt_f32_f16_e32 v16, v16
	v_cvt_f32_f16_e32 v17, v17
	v_cvt_f32_f16_e32 v18, v18
	v_cvt_f32_f16_e32 v19, v19
	s_nop 1
	v_mfma_f32_16x16x16_f16 v[16:19], v[20:21], v[30:31], v[16:19]
	v_perm_b32 v21, v134, v127, s0
	v_perm_b32 v20, v148, v141, s0
	s_nop 5
	v_cvt_f16_f32_e32 v16, v16
	v_cvt_f16_f32_e32 v17, v17
	v_cvt_f16_f32_e32 v18, v18
	v_cvt_f16_f32_e32 v19, v19
	v_cvt_f32_f16_e32 v16, v16
	v_cvt_f32_f16_e32 v17, v17
	v_cvt_f32_f16_e32 v18, v18
	v_cvt_f32_f16_e32 v19, v19
	s_nop 1
	v_mfma_f32_16x16x16_f16 v[16:19], v[20:21], v[34:35], v[16:19]
	;; [unrolled: 13-line block ×3, first 2 shown]
	v_perm_b32 v21, v69, v22, s0
	v_perm_b32 v20, v88, v74, s0
	v_cvt_f32_f16_sdwa v69, v24 dst_sel:DWORD dst_unused:UNUSED_PAD src0_sel:WORD_1
	v_perm_b32 v24, v121, v114, s0
	s_nop 0
	v_mfma_f32_16x16x16_f16 v[20:23], v[20:21], v[28:29], v[66:69]
	s_nop 7
	v_cvt_f16_f32_e32 v20, v20
	v_cvt_f16_f32_e32 v21, v21
	v_cvt_f16_f32_e32 v22, v22
	v_cvt_f16_f32_e32 v23, v23
	v_cvt_f32_f16_e32 v20, v20
	v_cvt_f32_f16_e32 v21, v21
	v_cvt_f32_f16_e32 v22, v22
	v_cvt_f32_f16_e32 v23, v23
	s_nop 1
	v_mfma_f32_16x16x16_f16 v[20:23], v[24:25], v[30:31], v[20:23]
	v_perm_b32 v25, v135, v128, s0
	v_perm_b32 v24, v149, v142, s0
	s_nop 5
	v_cvt_f16_f32_e32 v20, v20
	v_cvt_f16_f32_e32 v21, v21
	v_cvt_f16_f32_e32 v22, v22
	v_cvt_f16_f32_e32 v23, v23
	v_cvt_f32_f16_e32 v20, v20
	v_cvt_f32_f16_e32 v21, v21
	v_cvt_f32_f16_e32 v22, v22
	v_cvt_f32_f16_e32 v23, v23
	s_nop 1
	v_mfma_f32_16x16x16_f16 v[20:23], v[24:25], v[34:35], v[20:23]
	v_perm_b32 v25, v163, v156, s0
	v_perm_b32 v24, v182, v175, s0
	s_nop 5
	v_cvt_f16_f32_e32 v20, v20
	v_cvt_f16_f32_e32 v21, v21
	v_cvt_f16_f32_e32 v22, v22
	v_cvt_f16_f32_e32 v23, v23
	v_cvt_f32_f16_e32 v20, v20
	v_cvt_f32_f16_e32 v21, v21
	v_cvt_f32_f16_e32 v22, v22
	v_cvt_f32_f16_e32 v23, v23
	s_nop 1
	v_mfma_f32_16x16x16_f16 v[20:23], v[24:25], v[36:37], v[20:23]
	v_perm_b32 v25, v70, v54, s0
	v_perm_b32 v24, v90, v75, s0
	s_nop 1
	v_mfma_f32_16x16x16_f16 v[38:41], v[24:25], v[28:29], v[38:41]
	s_nop 7
	v_cvt_f16_f32_e32 v24, v38
	v_cvt_f16_f32_e32 v25, v39
	;; [unrolled: 1-line block ×4, first 2 shown]
	v_cvt_f32_f16_e32 v38, v24
	v_cvt_f32_f16_e32 v39, v25
	v_perm_b32 v25, v106, v96, s0
	v_perm_b32 v24, v122, v115, s0
	v_cvt_f32_f16_e32 v40, v33
	v_cvt_f32_f16_e32 v41, v41
	v_add_f32_e32 v33, v26, v27
	v_add_f32_e32 v33, v57, v33
	v_mfma_f32_16x16x16_f16 v[24:27], v[24:25], v[30:31], v[38:41]
	v_add_f32_e32 v33, v58, v33
	v_add_f32_e32 v33, v59, v33
	s_nop 0
	v_perm_b32 v39, v136, v129, s0
	v_perm_b32 v38, v150, v143, s0
	s_nop 2
	v_cvt_f16_f32_e32 v24, v24
	v_cvt_f16_f32_e32 v25, v25
	;; [unrolled: 1-line block ×4, first 2 shown]
	v_cvt_f32_f16_e32 v24, v24
	v_cvt_f32_f16_e32 v25, v25
	;; [unrolled: 1-line block ×4, first 2 shown]
	v_pk_mul_f16 v40, v45, v53
	v_pk_mul_f16 v41, v44, v53
	v_mfma_f32_16x16x16_f16 v[24:27], v[38:39], v[34:35], v[24:27]
	v_perm_b32 v39, v168, v157, s0
	v_perm_b32 v38, v183, v176, s0
	v_add_f32_e32 v33, v60, v33
	v_add_f32_e32 v33, v61, v33
	s_nop 3
	v_cvt_f16_f32_e32 v24, v24
	v_cvt_f16_f32_e32 v25, v25
	;; [unrolled: 1-line block ×4, first 2 shown]
	v_cvt_f32_f16_e32 v24, v24
	v_cvt_f32_f16_e32 v25, v25
	;; [unrolled: 1-line block ×4, first 2 shown]
	v_add_f32_e32 v33, v62, v33
	v_add_f32_e32 v33, v63, v33
	v_mfma_f32_16x16x16_f16 v[24:27], v[38:39], v[36:37], v[24:27]
	v_cvt_f32_f16_e32 v38, v40
	v_cvt_f32_f16_sdwa v39, v40 dst_sel:DWORD dst_unused:UNUSED_PAD src0_sel:WORD_1
	v_cvt_f32_f16_e32 v40, v41
	v_cvt_f32_f16_sdwa v41, v41 dst_sel:DWORD dst_unused:UNUSED_PAD src0_sel:WORD_1
	v_add_f32_e32 v33, v64, v33
	v_add_f32_e32 v33, v65, v33
	v_mfma_f32_16x16x16_f16 v[38:41], v[42:43], v[28:29], v[38:41]
	v_add_f32_e32 v33, v48, v33
	v_add_f32_e32 v33, v49, v33
	;; [unrolled: 1-line block ×4, first 2 shown]
	s_nop 3
	v_cvt_f16_f32_e32 v28, v38
	v_cvt_f16_f32_e32 v29, v39
	;; [unrolled: 1-line block ×4, first 2 shown]
	v_cvt_f32_f16_e32 v38, v28
	v_cvt_f32_f16_e32 v39, v29
	v_perm_b32 v29, v107, v98, s0
	v_perm_b32 v28, v123, v116, s0
	v_cvt_f32_f16_e32 v40, v40
	v_cvt_f32_f16_e32 v41, v41
	v_add_f32_e32 v33, v124, v33
	v_fmac_f32_e32 v33, v84, v51
	v_mfma_f32_16x16x16_f16 v[28:31], v[28:29], v[30:31], v[38:41]
	s_nop 2
	v_perm_b32 v39, v137, v130, s0
	v_perm_b32 v38, v151, v144, s0
	s_nop 2
	v_cvt_f16_f32_e32 v28, v28
	v_cvt_f16_f32_e32 v29, v29
	v_cvt_f16_f32_e32 v30, v30
	v_cvt_f16_f32_e32 v31, v31
	v_cvt_f32_f16_e32 v28, v28
	v_cvt_f32_f16_e32 v29, v29
	v_cvt_f32_f16_e32 v30, v30
	v_cvt_f32_f16_e32 v31, v31
	s_nop 1
	v_mfma_f32_16x16x16_f16 v[28:31], v[38:39], v[34:35], v[28:31]
	ds_bpermute_b32 v38, v47, v33
	v_perm_b32 v35, v169, v158, s0
	v_perm_b32 v34, v184, v177, s0
	s_waitcnt lgkmcnt(0)
	v_add_f32_e32 v33, v33, v38
	s_nop 2
	v_cvt_f16_f32_e32 v28, v28
	v_cvt_f16_f32_e32 v29, v29
	;; [unrolled: 1-line block ×4, first 2 shown]
	v_cvt_f32_f16_e32 v28, v28
	v_cvt_f32_f16_e32 v29, v29
	;; [unrolled: 1-line block ×4, first 2 shown]
	s_nop 1
	v_mfma_f32_16x16x16_f16 v[28:31], v[34:35], v[36:37], v[28:31]
	ds_bpermute_b32 v34, v56, v33
	s_and_saveexec_b64 s[4:5], vcc
	s_cbranch_execz .LBB24_432
; %bb.431:
	v_readlane_b32 s0, v255, 5
	s_add_i32 s0, s0, s10
	s_lshl_b32 s0, s0, 6
	s_lshl_b64 s[2:3], s[0:1], 3
	s_add_u32 s2, s22, s2
	s_addc_u32 s3, s23, s3
	v_or_b32_e32 v36, v83, v78
	v_mov_b32_e32 v37, 0
	v_lshl_add_u64 v[36:37], v[36:37], 3, s[2:3]
	s_waitcnt lgkmcnt(0)
	v_add_f32_e32 v33, v33, v34
	global_store_dwordx2 v[36:37], v[32:33], off
.LBB24_432:
	s_or_b64 exec, exec, s[4:5]
	s_load_dword s0, s[12:13], 0x0
	s_load_dword s2, s[12:13], 0x10
	v_cvt_pk_f16_f32 v2, v2, v3
	v_cvt_pk_f16_f32 v3, v4, v5
	;; [unrolled: 1-line block ×4, first 2 shown]
	s_waitcnt lgkmcnt(0)
	s_lshr_b32 s2, s2, 16
	v_or_b32_e32 v16, v83, v80
	s_cmp_lg_u32 s2, 0
	v_mul_i32_i24_e32 v16, 0x110, v16
	s_cselect_b64 s[2:3], -1, 0
	v_cvt_pk_f16_f32 v0, v0, v1
	v_cvt_pk_f16_f32 v8, v18, v19
	s_movk_i32 s4, 0x110
	v_add3_u32 v16, 0, v82, v16
	s_cmp_lg_u64 s[2:3], 0
	v_cvt_pk_f16_f32 v1, v6, v7
	v_cvt_pk_f16_f32 v4, v10, v11
	;; [unrolled: 1-line block ×10, first 2 shown]
	s_addc_u32 s0, s0, 0
	ds_write2_b32 v16, v0, v2 offset1:1
	ds_write2_b32 v16, v3, v1 offset0:8 offset1:9
	ds_write2_b32 v16, v5, v4 offset0:16 offset1:17
	ds_write2_b32 v16, v7, v6 offset0:24 offset1:25
	ds_write2_b32 v16, v9, v8 offset0:32 offset1:33
	ds_write2_b32 v16, v11, v10 offset0:40 offset1:41
	ds_write2_b32 v16, v13, v12 offset0:48 offset1:49
	ds_write2_b32 v16, v15, v14 offset0:56 offset1:57
	v_mad_u32_u24 v8, v167, s4, v79
	s_lshl_b32 s0, s0, 7
	s_waitcnt lgkmcnt(0)
	s_barrier
	ds_read_b32 v1, v8
	ds_read_b32 v2, v8 offset:1088
	ds_read_b32 v7, v8 offset:2176
	;; [unrolled: 1-line block ×7, first 2 shown]
	s_lshl_b32 s2, s10, 12
	s_mov_b32 s3, s1
	s_lshl_b64 s[0:1], s[0:1], 3
	s_waitcnt lgkmcnt(7)
	v_cvt_f32_f16_e32 v0, v1
	v_cvt_f32_f16_sdwa v1, v1 dst_sel:DWORD dst_unused:UNUSED_PAD src0_sel:WORD_1
	s_add_u32 s5, s22, s0
	s_addc_u32 s6, s23, s1
	s_lshl_b64 s[0:1], s[2:3], 3
	s_add_u32 s0, s5, s0
	v_lshlrev_b32_e32 v3, 6, v167
	s_addc_u32 s1, s6, s1
	v_add_lshl_u32 v3, v3, v78, 3
	v_pk_add_f32 v[0:1], v[0:1], 0 op_sel_hi:[1,0]
	global_store_dwordx2 v3, v[0:1], s[0:1]
	s_waitcnt lgkmcnt(6)
	v_cvt_f32_f16_e32 v0, v2
	v_cvt_f32_f16_sdwa v1, v2 dst_sel:DWORD dst_unused:UNUSED_PAD src0_sel:WORD_1
	v_lshl_add_u32 v2, v170, 6, v78
	v_mov_b32_e32 v3, 0
	s_waitcnt lgkmcnt(5)
	v_cvt_f32_f16_e32 v6, v7
	v_cvt_f32_f16_sdwa v7, v7 dst_sel:DWORD dst_unused:UNUSED_PAD src0_sel:WORD_1
	v_lshl_add_u64 v[4:5], v[2:3], 3, s[0:1]
	v_pk_add_f32 v[0:1], v[0:1], 0 op_sel_hi:[1,0]
	global_store_dwordx2 v[4:5], v[0:1], off
	v_add_u32_e32 v0, 8, v167
	v_lshlrev_b32_e32 v0, 6, v0
	v_add_lshl_u32 v2, v0, v78, 3
	v_pk_add_f32 v[0:1], v[6:7], 0 op_sel_hi:[1,0]
	global_store_dwordx2 v2, v[0:1], s[0:1]
	v_add_u32_e32 v0, 12, v167
	v_lshl_add_u32 v2, v0, 6, v78
	s_waitcnt lgkmcnt(4)
	v_cvt_f32_f16_e32 v4, v9
	v_cvt_f32_f16_sdwa v5, v9 dst_sel:DWORD dst_unused:UNUSED_PAD src0_sel:WORD_1
	v_lshl_add_u64 v[0:1], v[2:3], 3, s[0:1]
	v_and_b32_e32 v2, 15, v167
	s_movk_i32 s2, 0x7f0
	v_and_or_b32 v6, v166, s2, v2
	v_and_or_b32 v7, v109, s2, v2
	v_mad_u32_u24 v6, v6, s4, v79
	v_mad_u32_u24 v7, v7, s4, v79
	v_and_or_b32 v2, v93, s2, v2
	v_mad_u32_u24 v2, v2, s4, v79
	ds_read_b32 v9, v6
	ds_read_b32 v14, v7
	ds_read_b32 v15, v8 offset:10880
	ds_read_b32 v16, v8 offset:11968
	ds_read_b32 v17, v2
	ds_read_b32 v18, v8 offset:14144
	ds_read_b32 v19, v8 offset:15232
	;; [unrolled: 1-line block ×3, first 2 shown]
	s_waitcnt lgkmcnt(7)
	v_cvt_f32_f16_e32 v6, v9
	v_cvt_f32_f16_sdwa v7, v9 dst_sel:DWORD dst_unused:UNUSED_PAD src0_sel:WORD_1
	v_pk_add_f32 v[4:5], v[4:5], 0 op_sel_hi:[1,0]
	global_store_dwordx2 v[0:1], v[4:5], off
	v_cvt_f32_f16_e32 v4, v10
	v_cvt_f32_f16_sdwa v5, v10 dst_sel:DWORD dst_unused:UNUSED_PAD src0_sel:WORD_1
	v_lshlrev_b32_e32 v0, 6, v166
	v_add_lshl_u32 v2, v0, v78, 3
	v_pk_add_f32 v[0:1], v[6:7], 0 op_sel_hi:[1,0]
	global_store_dwordx2 v2, v[0:1], s[0:1]
	v_lshl_add_u32 v2, v165, 6, v78
	v_cvt_f32_f16_e32 v6, v11
	v_cvt_f32_f16_sdwa v7, v11 dst_sel:DWORD dst_unused:UNUSED_PAD src0_sel:WORD_1
	v_lshl_add_u64 v[0:1], v[2:3], 3, s[0:1]
	v_pk_add_f32 v[4:5], v[4:5], 0 op_sel_hi:[1,0]
	global_store_dwordx2 v[0:1], v[4:5], off
	v_cvt_f32_f16_e32 v4, v12
	v_cvt_f32_f16_sdwa v5, v12 dst_sel:DWORD dst_unused:UNUSED_PAD src0_sel:WORD_1
	v_lshlrev_b32_e32 v0, 6, v164
	v_add_lshl_u32 v2, v0, v78, 3
	v_pk_add_f32 v[0:1], v[6:7], 0 op_sel_hi:[1,0]
	global_store_dwordx2 v2, v[0:1], s[0:1]
	v_lshl_add_u32 v2, v113, 6, v78
	s_waitcnt lgkmcnt(6)
	v_cvt_f32_f16_e32 v6, v14
	v_cvt_f32_f16_sdwa v7, v14 dst_sel:DWORD dst_unused:UNUSED_PAD src0_sel:WORD_1
	v_lshl_add_u64 v[0:1], v[2:3], 3, s[0:1]
	v_pk_add_f32 v[4:5], v[4:5], 0 op_sel_hi:[1,0]
	global_store_dwordx2 v[0:1], v[4:5], off
	v_cvt_f32_f16_e32 v4, v13
	v_cvt_f32_f16_sdwa v5, v13 dst_sel:DWORD dst_unused:UNUSED_PAD src0_sel:WORD_1
	v_lshlrev_b32_e32 v0, 6, v109
	v_add_lshl_u32 v2, v0, v78, 3
	v_pk_add_f32 v[0:1], v[6:7], 0 op_sel_hi:[1,0]
	global_store_dwordx2 v2, v[0:1], s[0:1]
	v_lshl_add_u32 v2, v105, 6, v78
	s_waitcnt lgkmcnt(5)
	v_cvt_f32_f16_e32 v6, v15
	v_cvt_f32_f16_sdwa v7, v15 dst_sel:DWORD dst_unused:UNUSED_PAD src0_sel:WORD_1
	v_lshl_add_u64 v[0:1], v[2:3], 3, s[0:1]
	v_pk_add_f32 v[4:5], v[4:5], 0 op_sel_hi:[1,0]
	global_store_dwordx2 v[0:1], v[4:5], off
	s_waitcnt lgkmcnt(4)
	v_cvt_f32_f16_e32 v4, v16
	v_cvt_f32_f16_sdwa v5, v16 dst_sel:DWORD dst_unused:UNUSED_PAD src0_sel:WORD_1
	v_lshlrev_b32_e32 v0, 6, v101
	v_add_lshl_u32 v2, v0, v78, 3
	v_pk_add_f32 v[0:1], v[6:7], 0 op_sel_hi:[1,0]
	global_store_dwordx2 v2, v[0:1], s[0:1]
	v_lshl_add_u32 v2, v97, 6, v78
	s_waitcnt lgkmcnt(3)
	v_cvt_f32_f16_e32 v6, v17
	v_cvt_f32_f16_sdwa v7, v17 dst_sel:DWORD dst_unused:UNUSED_PAD src0_sel:WORD_1
	v_lshl_add_u64 v[0:1], v[2:3], 3, s[0:1]
	v_pk_add_f32 v[4:5], v[4:5], 0 op_sel_hi:[1,0]
	global_store_dwordx2 v[0:1], v[4:5], off
	s_waitcnt lgkmcnt(2)
	;; [unrolled: 14-line block ×3, first 2 shown]
	v_cvt_f32_f16_e32 v4, v8
	v_cvt_f32_f16_sdwa v5, v8 dst_sel:DWORD dst_unused:UNUSED_PAD src0_sel:WORD_1
	v_lshlrev_b32_e32 v0, 6, v85
	v_add_lshl_u32 v2, v0, v78, 3
	v_pk_add_f32 v[0:1], v[6:7], 0 op_sel_hi:[1,0]
	global_store_dwordx2 v2, v[0:1], s[0:1]
	v_lshl_add_u32 v2, v81, 6, v78
	v_lshl_add_u64 v[0:1], v[2:3], 3, s[0:1]
	v_pk_add_f32 v[2:3], v[4:5], 0 op_sel_hi:[1,0]
	global_store_dwordx2 v[0:1], v[2:3], off
.LBB24_433:
	s_endpgm
	.section	.rodata,"a",@progbits
	.p2align	6, 0x0
	.amdhsa_kernel _ZL18flash_attn_ext_f16ILi128ELi128ELi8ELi8ELb0ELb0EEvPKcS1_S1_S1_S1_PKiPfP15HIP_vector_typeIfLj2EEffffjfiS5_IjLj3EEiiiiiiiiiiiliiliiiiil
		.amdhsa_group_segment_fixed_size 0
		.amdhsa_private_segment_fixed_size 84
		.amdhsa_kernarg_size 464
		.amdhsa_user_sgpr_count 2
		.amdhsa_user_sgpr_dispatch_ptr 0
		.amdhsa_user_sgpr_queue_ptr 0
		.amdhsa_user_sgpr_kernarg_segment_ptr 1
		.amdhsa_user_sgpr_dispatch_id 0
		.amdhsa_user_sgpr_kernarg_preload_length 0
		.amdhsa_user_sgpr_kernarg_preload_offset 0
		.amdhsa_user_sgpr_private_segment_size 0
		.amdhsa_uses_dynamic_stack 0
		.amdhsa_enable_private_segment 1
		.amdhsa_system_sgpr_workgroup_id_x 1
		.amdhsa_system_sgpr_workgroup_id_y 0
		.amdhsa_system_sgpr_workgroup_id_z 0
		.amdhsa_system_sgpr_workgroup_info 0
		.amdhsa_system_vgpr_workitem_id 1
		.amdhsa_next_free_vgpr 256
		.amdhsa_next_free_sgpr 100
		.amdhsa_accum_offset 256
		.amdhsa_reserve_vcc 1
		.amdhsa_float_round_mode_32 0
		.amdhsa_float_round_mode_16_64 0
		.amdhsa_float_denorm_mode_32 3
		.amdhsa_float_denorm_mode_16_64 3
		.amdhsa_dx10_clamp 1
		.amdhsa_ieee_mode 1
		.amdhsa_fp16_overflow 0
		.amdhsa_tg_split 0
		.amdhsa_exception_fp_ieee_invalid_op 0
		.amdhsa_exception_fp_denorm_src 0
		.amdhsa_exception_fp_ieee_div_zero 0
		.amdhsa_exception_fp_ieee_overflow 0
		.amdhsa_exception_fp_ieee_underflow 0
		.amdhsa_exception_fp_ieee_inexact 0
		.amdhsa_exception_int_div_zero 0
	.end_amdhsa_kernel
	.section	.text._ZL18flash_attn_ext_f16ILi128ELi128ELi8ELi8ELb0ELb0EEvPKcS1_S1_S1_S1_PKiPfP15HIP_vector_typeIfLj2EEffffjfiS5_IjLj3EEiiiiiiiiiiiliiliiiiil,"axG",@progbits,_ZL18flash_attn_ext_f16ILi128ELi128ELi8ELi8ELb0ELb0EEvPKcS1_S1_S1_S1_PKiPfP15HIP_vector_typeIfLj2EEffffjfiS5_IjLj3EEiiiiiiiiiiiliiliiiiil,comdat
.Lfunc_end24:
	.size	_ZL18flash_attn_ext_f16ILi128ELi128ELi8ELi8ELb0ELb0EEvPKcS1_S1_S1_S1_PKiPfP15HIP_vector_typeIfLj2EEffffjfiS5_IjLj3EEiiiiiiiiiiiliiliiiiil, .Lfunc_end24-_ZL18flash_attn_ext_f16ILi128ELi128ELi8ELi8ELb0ELb0EEvPKcS1_S1_S1_S1_PKiPfP15HIP_vector_typeIfLj2EEffffjfiS5_IjLj3EEiiiiiiiiiiiliiliiiiil
                                        ; -- End function
	.set _ZL18flash_attn_ext_f16ILi128ELi128ELi8ELi8ELb0ELb0EEvPKcS1_S1_S1_S1_PKiPfP15HIP_vector_typeIfLj2EEffffjfiS5_IjLj3EEiiiiiiiiiiiliiliiiiil.num_vgpr, 256
	.set _ZL18flash_attn_ext_f16ILi128ELi128ELi8ELi8ELb0ELb0EEvPKcS1_S1_S1_S1_PKiPfP15HIP_vector_typeIfLj2EEffffjfiS5_IjLj3EEiiiiiiiiiiiliiliiiiil.num_agpr, 0
	.set _ZL18flash_attn_ext_f16ILi128ELi128ELi8ELi8ELb0ELb0EEvPKcS1_S1_S1_S1_PKiPfP15HIP_vector_typeIfLj2EEffffjfiS5_IjLj3EEiiiiiiiiiiiliiliiiiil.numbered_sgpr, 100
	.set _ZL18flash_attn_ext_f16ILi128ELi128ELi8ELi8ELb0ELb0EEvPKcS1_S1_S1_S1_PKiPfP15HIP_vector_typeIfLj2EEffffjfiS5_IjLj3EEiiiiiiiiiiiliiliiiiil.num_named_barrier, 0
	.set _ZL18flash_attn_ext_f16ILi128ELi128ELi8ELi8ELb0ELb0EEvPKcS1_S1_S1_S1_PKiPfP15HIP_vector_typeIfLj2EEffffjfiS5_IjLj3EEiiiiiiiiiiiliiliiiiil.private_seg_size, 84
	.set _ZL18flash_attn_ext_f16ILi128ELi128ELi8ELi8ELb0ELb0EEvPKcS1_S1_S1_S1_PKiPfP15HIP_vector_typeIfLj2EEffffjfiS5_IjLj3EEiiiiiiiiiiiliiliiiiil.uses_vcc, 1
	.set _ZL18flash_attn_ext_f16ILi128ELi128ELi8ELi8ELb0ELb0EEvPKcS1_S1_S1_S1_PKiPfP15HIP_vector_typeIfLj2EEffffjfiS5_IjLj3EEiiiiiiiiiiiliiliiiiil.uses_flat_scratch, 0
	.set _ZL18flash_attn_ext_f16ILi128ELi128ELi8ELi8ELb0ELb0EEvPKcS1_S1_S1_S1_PKiPfP15HIP_vector_typeIfLj2EEffffjfiS5_IjLj3EEiiiiiiiiiiiliiliiiiil.has_dyn_sized_stack, 0
	.set _ZL18flash_attn_ext_f16ILi128ELi128ELi8ELi8ELb0ELb0EEvPKcS1_S1_S1_S1_PKiPfP15HIP_vector_typeIfLj2EEffffjfiS5_IjLj3EEiiiiiiiiiiiliiliiiiil.has_recursion, 0
	.set _ZL18flash_attn_ext_f16ILi128ELi128ELi8ELi8ELb0ELb0EEvPKcS1_S1_S1_S1_PKiPfP15HIP_vector_typeIfLj2EEffffjfiS5_IjLj3EEiiiiiiiiiiiliiliiiiil.has_indirect_call, 0
	.section	.AMDGPU.csdata,"",@progbits
; Kernel info:
; codeLenInByte = 61468
; TotalNumSgprs: 106
; NumVgprs: 256
; NumAgprs: 0
; TotalNumVgprs: 256
; ScratchSize: 84
; MemoryBound: 0
; FloatMode: 240
; IeeeMode: 1
; LDSByteSize: 0 bytes/workgroup (compile time only)
; SGPRBlocks: 13
; VGPRBlocks: 31
; NumSGPRsForWavesPerEU: 106
; NumVGPRsForWavesPerEU: 256
; AccumOffset: 256
; Occupancy: 2
; WaveLimiterHint : 0
; COMPUTE_PGM_RSRC2:SCRATCH_EN: 1
; COMPUTE_PGM_RSRC2:USER_SGPR: 2
; COMPUTE_PGM_RSRC2:TRAP_HANDLER: 0
; COMPUTE_PGM_RSRC2:TGID_X_EN: 1
; COMPUTE_PGM_RSRC2:TGID_Y_EN: 0
; COMPUTE_PGM_RSRC2:TGID_Z_EN: 0
; COMPUTE_PGM_RSRC2:TIDIG_COMP_CNT: 1
; COMPUTE_PGM_RSRC3_GFX90A:ACCUM_OFFSET: 63
; COMPUTE_PGM_RSRC3_GFX90A:TG_SPLIT: 0
	.section	.text._ZL18flash_attn_ext_f16ILi128ELi128ELi8ELi8ELb1ELb0EEvPKcS1_S1_S1_S1_PKiPfP15HIP_vector_typeIfLj2EEffffjfiS5_IjLj3EEiiiiiiiiiiiliiliiiiil,"axG",@progbits,_ZL18flash_attn_ext_f16ILi128ELi128ELi8ELi8ELb1ELb0EEvPKcS1_S1_S1_S1_PKiPfP15HIP_vector_typeIfLj2EEffffjfiS5_IjLj3EEiiiiiiiiiiiliiliiiiil,comdat
	.globl	_ZL18flash_attn_ext_f16ILi128ELi128ELi8ELi8ELb1ELb0EEvPKcS1_S1_S1_S1_PKiPfP15HIP_vector_typeIfLj2EEffffjfiS5_IjLj3EEiiiiiiiiiiiliiliiiiil ; -- Begin function _ZL18flash_attn_ext_f16ILi128ELi128ELi8ELi8ELb1ELb0EEvPKcS1_S1_S1_S1_PKiPfP15HIP_vector_typeIfLj2EEffffjfiS5_IjLj3EEiiiiiiiiiiiliiliiiiil
	.p2align	8
	.type	_ZL18flash_attn_ext_f16ILi128ELi128ELi8ELi8ELb1ELb0EEvPKcS1_S1_S1_S1_PKiPfP15HIP_vector_typeIfLj2EEffffjfiS5_IjLj3EEiiiiiiiiiiiliiliiiiil,@function
_ZL18flash_attn_ext_f16ILi128ELi128ELi8ELi8ELb1ELb0EEvPKcS1_S1_S1_S1_PKiPfP15HIP_vector_typeIfLj2EEffffjfiS5_IjLj3EEiiiiiiiiiiiliiliiiiil: ; @_ZL18flash_attn_ext_f16ILi128ELi128ELi8ELi8ELb1ELb0EEvPKcS1_S1_S1_S1_PKiPfP15HIP_vector_typeIfLj2EEffffjfiS5_IjLj3EEiiiiiiiiiiiliiliiiiil
; %bb.0:
	s_mov_b32 s23, s2
	s_load_dwordx2 s[2:3], s[0:1], 0x80
	s_load_dwordx4 s[24:27], s[0:1], 0x64
                                        ; implicit-def: $vgpr255 : SGPR spill to VGPR lane
	s_mov_b32 s6, 0
	s_waitcnt lgkmcnt(0)
	s_abs_i32 s4, s3
	v_cvt_f32_u32_e32 v1, s4
	s_sub_i32 s8, 0, s4
	s_abs_i32 s7, s25
	s_xor_b32 s5, s25, s3
	v_rcp_iflag_f32_e32 v1, v1
	s_ashr_i32 s5, s5, 31
	v_mul_f32_e32 v1, 0x4f7ffffe, v1
	v_cvt_u32_f32_e32 v1, v1
	s_nop 0
	v_readfirstlane_b32 s9, v1
	s_mul_i32 s8, s8, s9
	s_mul_hi_u32 s8, s9, s8
	s_add_i32 s9, s9, s8
	s_mul_hi_u32 s8, s7, s9
	s_mul_i32 s9, s8, s4
	s_sub_i32 s7, s7, s9
	s_add_i32 s10, s8, 1
	s_sub_i32 s9, s7, s4
	s_cmp_ge_u32 s7, s4
	s_cselect_b32 s8, s10, s8
	s_cselect_b32 s7, s9, s7
	s_add_i32 s9, s8, 1
	s_cmp_ge_u32 s7, s4
	s_cselect_b32 s4, s9, s8
	s_add_i32 s2, s2, 63
	s_xor_b32 s4, s4, s5
	s_ashr_i32 s7, s2, 31
	s_sub_i32 s34, s4, s5
	s_lshr_b32 s4, s7, 26
	s_add_i32 s2, s2, s4
	s_ashr_i32 s62, s2, 6
	s_add_i32 s2, s24, 7
	s_lshr_b32 s5, s2, 3
	s_add_i32 s2, s34, 7
	s_ashr_i32 s4, s2, 31
	s_lshr_b32 s4, s4, 29
	s_add_i32 s2, s2, s4
	s_ashr_i32 s2, s2, 3
	v_writelane_b32 v255, s5, 0
	s_mul_i32 s4, s5, s62
	v_writelane_b32 v255, s4, 1
	s_mul_i32 s2, s4, s2
	;; [unrolled: 2-line block ×4, first 2 shown]
	s_ashr_i32 s3, s2, 31
	s_mul_i32 s4, s3, s23
	s_mul_hi_u32 s5, s2, s23
	s_load_dword s26, s[0:1], 0xd0
	s_add_i32 s7, s5, s4
	s_add_u32 s28, s0, 0xd0
	s_addc_u32 s29, s1, 0
	s_cmp_lg_u64 s[6:7], 0
	s_mul_i32 s6, s2, s23
	s_cbranch_scc0 .LBB25_5
; %bb.1:
	s_waitcnt lgkmcnt(0)
	s_add_u32 s4, s26, 0
	s_addc_u32 s5, 0, 0
	s_xor_b64 s[8:9], s[4:5], 0
	v_cvt_f32_u32_e32 v1, s8
	v_cvt_f32_u32_e32 v2, s9
	s_sub_u32 s12, 0, s8
	s_subb_u32 s13, 0, s9
	v_fmamk_f32 v1, v2, 0x4f800000, v1
	v_rcp_f32_e32 v1, v1
	s_nop 0
	v_mul_f32_e32 v1, 0x5f7ffffc, v1
	v_mul_f32_e32 v2, 0x2f800000, v1
	v_trunc_f32_e32 v2, v2
	v_fmamk_f32 v1, v2, 0xcf800000, v1
	v_cvt_u32_f32_e32 v2, v2
	v_cvt_u32_f32_e32 v1, v1
	v_readfirstlane_b32 s14, v2
	v_readfirstlane_b32 s10, v1
	s_mul_i32 s11, s12, s14
	s_mul_hi_u32 s16, s12, s10
	s_mul_i32 s15, s13, s10
	s_add_i32 s11, s16, s11
	s_add_i32 s11, s11, s15
	s_mul_i32 s17, s12, s10
	s_mul_i32 s16, s10, s11
	s_mul_hi_u32 s18, s10, s17
	s_mul_hi_u32 s15, s10, s11
	s_add_u32 s16, s18, s16
	s_addc_u32 s15, 0, s15
	s_mul_hi_u32 s19, s14, s17
	s_mul_i32 s17, s14, s17
	s_add_u32 s16, s16, s17
	s_mul_hi_u32 s18, s14, s11
	s_addc_u32 s15, s15, s19
	s_addc_u32 s16, s18, 0
	s_mul_i32 s11, s14, s11
	s_add_u32 s11, s15, s11
	s_addc_u32 s15, 0, s16
	s_add_u32 s16, s10, s11
	s_cselect_b64 s[10:11], -1, 0
	s_cmp_lg_u64 s[10:11], 0
	s_addc_u32 s14, s14, s15
	s_mul_i32 s10, s12, s14
	s_mul_hi_u32 s11, s12, s16
	s_add_i32 s10, s11, s10
	s_mul_i32 s13, s13, s16
	s_add_i32 s10, s10, s13
	s_mul_i32 s12, s12, s16
	s_mul_hi_u32 s13, s14, s12
	s_mul_i32 s15, s14, s12
	s_mul_i32 s18, s16, s10
	s_mul_hi_u32 s12, s16, s12
	s_mul_hi_u32 s17, s16, s10
	s_add_u32 s12, s12, s18
	s_addc_u32 s17, 0, s17
	s_add_u32 s12, s12, s15
	s_mul_hi_u32 s11, s14, s10
	s_addc_u32 s12, s17, s13
	s_addc_u32 s11, s11, 0
	s_mul_i32 s10, s14, s10
	s_add_u32 s10, s12, s10
	s_addc_u32 s12, 0, s11
	s_add_u32 s15, s16, s10
	s_cselect_b64 s[10:11], -1, 0
	s_cmp_lg_u64 s[10:11], 0
	s_addc_u32 s14, s14, s12
	s_ashr_i32 s10, s7, 31
	s_add_u32 s12, s6, s10
	s_mov_b32 s11, s10
	s_addc_u32 s13, s7, s10
	s_xor_b64 s[12:13], s[12:13], s[10:11]
	s_mul_i32 s16, s12, s14
	s_mul_hi_u32 s17, s12, s15
	s_mul_hi_u32 s7, s12, s14
	s_add_u32 s16, s17, s16
	s_addc_u32 s7, 0, s7
	s_mul_hi_u32 s18, s13, s15
	s_mul_i32 s15, s13, s15
	s_add_u32 s15, s16, s15
	s_mul_hi_u32 s17, s13, s14
	s_addc_u32 s7, s7, s18
	s_addc_u32 s15, s17, 0
	s_mul_i32 s14, s13, s14
	s_add_u32 s7, s7, s14
	s_addc_u32 s18, 0, s15
	s_mul_i32 s14, s8, s18
	s_mul_hi_u32 s15, s8, s7
	s_add_i32 s14, s15, s14
	s_mul_i32 s15, s9, s7
	s_add_i32 s19, s14, s15
	s_sub_i32 s16, s13, s19
	s_mul_i32 s14, s8, s7
	s_sub_u32 s12, s12, s14
	s_cselect_b64 s[14:15], -1, 0
	s_cmp_lg_u64 s[14:15], 0
	s_subb_u32 s20, s16, s9
	s_sub_u32 s21, s12, s8
	s_cselect_b64 s[16:17], -1, 0
	s_cmp_lg_u64 s[16:17], 0
	s_subb_u32 s16, s20, 0
	s_cmp_ge_u32 s16, s9
	s_cselect_b32 s17, -1, 0
	s_cmp_ge_u32 s21, s8
	s_cselect_b32 s20, -1, 0
	s_cmp_eq_u32 s16, s9
	s_cselect_b32 s16, s20, s17
	s_add_u32 s17, s7, 1
	s_addc_u32 s20, s18, 0
	s_add_u32 s21, s7, 2
	s_addc_u32 s22, s18, 0
	s_cmp_lg_u32 s16, 0
	s_cselect_b32 s16, s21, s17
	s_cselect_b32 s17, s22, s20
	s_cmp_lg_u64 s[14:15], 0
	s_subb_u32 s13, s13, s19
	s_cmp_ge_u32 s13, s9
	s_cselect_b32 s14, -1, 0
	s_cmp_ge_u32 s12, s8
	s_cselect_b32 s8, -1, 0
	s_cmp_eq_u32 s13, s9
	s_cselect_b32 s8, s8, s14
	s_cmp_lg_u32 s8, 0
	s_cselect_b32 s9, s17, s18
	s_cselect_b32 s8, s16, s7
	s_xor_b64 s[10:11], s[10:11], 0
	s_xor_b64 s[8:9], s[8:9], s[10:11]
	s_sub_u32 s50, s8, s10
	s_load_dwordx2 s[48:49], s[0:1], 0x74
	v_cvt_f32_u32_e32 v1, s26
	s_cbranch_execnz .LBB25_3
.LBB25_2:
	v_rcp_iflag_f32_e32 v2, v1
	s_sub_i32 s4, 0, s26
	v_mul_f32_e32 v2, 0x4f7ffffe, v2
	v_cvt_u32_f32_e32 v2, v2
	s_nop 0
	v_readfirstlane_b32 s5, v2
	s_mul_i32 s4, s4, s5
	s_mul_hi_u32 s4, s5, s4
	s_add_i32 s5, s5, s4
	s_mul_hi_u32 s4, s6, s5
	s_mul_i32 s7, s4, s26
	s_sub_i32 s6, s6, s7
	s_add_i32 s5, s4, 1
	s_sub_i32 s7, s6, s26
	s_cmp_ge_u32 s6, s26
	s_cselect_b32 s4, s5, s4
	s_cselect_b32 s6, s7, s6
	s_add_i32 s5, s4, 1
	s_cmp_ge_u32 s6, s26
	s_cselect_b32 s50, s5, s4
.LBB25_3:
	s_add_i32 s4, s23, 1
	s_mul_i32 s3, s3, s4
	s_mul_hi_u32 s5, s2, s4
	s_add_i32 s9, s5, s3
	s_mov_b32 s8, 0
	s_cmp_lg_u64 s[8:9], 0
	s_mul_i32 s2, s2, s4
	s_cbranch_scc0 .LBB25_6
; %bb.4:
	s_add_u32 s4, s26, 0
	s_addc_u32 s5, 0, 0
	s_xor_b64 s[6:7], s[4:5], 0
	v_cvt_f32_u32_e32 v2, s6
	v_cvt_f32_u32_e32 v3, s7
	s_sub_u32 s3, 0, s6
	s_subb_u32 s8, 0, s7
	s_mov_b64 s[4:5], 0
	v_fmamk_f32 v2, v3, 0x4f800000, v2
	v_rcp_f32_e32 v2, v2
	s_nop 0
	v_mul_f32_e32 v2, 0x5f7ffffc, v2
	v_mul_f32_e32 v3, 0x2f800000, v2
	v_trunc_f32_e32 v3, v3
	v_fmamk_f32 v2, v3, 0xcf800000, v2
	v_cvt_u32_f32_e32 v3, v3
	v_cvt_u32_f32_e32 v2, v2
	v_readfirstlane_b32 s12, v3
	v_readfirstlane_b32 s10, v2
	s_mul_i32 s11, s3, s12
	s_mul_hi_u32 s14, s3, s10
	s_mul_i32 s13, s8, s10
	s_add_i32 s11, s14, s11
	s_add_i32 s11, s11, s13
	s_mul_i32 s15, s3, s10
	s_mul_i32 s14, s10, s11
	s_mul_hi_u32 s16, s10, s15
	s_mul_hi_u32 s13, s10, s11
	s_add_u32 s14, s16, s14
	s_addc_u32 s13, 0, s13
	s_mul_hi_u32 s17, s12, s15
	s_mul_i32 s15, s12, s15
	s_add_u32 s14, s14, s15
	s_mul_hi_u32 s16, s12, s11
	s_addc_u32 s13, s13, s17
	s_addc_u32 s14, s16, 0
	s_mul_i32 s11, s12, s11
	s_add_u32 s11, s13, s11
	s_addc_u32 s13, 0, s14
	s_add_u32 s14, s10, s11
	s_cselect_b64 s[10:11], -1, 0
	s_cmp_lg_u64 s[10:11], 0
	s_addc_u32 s12, s12, s13
	s_mul_i32 s10, s3, s12
	s_mul_hi_u32 s11, s3, s14
	s_add_i32 s10, s11, s10
	s_mul_i32 s8, s8, s14
	s_add_i32 s10, s10, s8
	s_mul_i32 s3, s3, s14
	s_mul_hi_u32 s11, s12, s3
	s_mul_i32 s13, s12, s3
	s_mul_i32 s16, s14, s10
	s_mul_hi_u32 s3, s14, s3
	s_mul_hi_u32 s15, s14, s10
	s_add_u32 s3, s3, s16
	s_addc_u32 s15, 0, s15
	s_add_u32 s3, s3, s13
	s_mul_hi_u32 s8, s12, s10
	s_addc_u32 s3, s15, s11
	s_addc_u32 s8, s8, 0
	s_mul_i32 s10, s12, s10
	s_add_u32 s3, s3, s10
	s_addc_u32 s8, 0, s8
	s_add_u32 s3, s14, s3
	s_cselect_b64 s[10:11], -1, 0
	s_cmp_lg_u64 s[10:11], 0
	s_addc_u32 s12, s12, s8
	s_ashr_i32 s10, s9, 31
	s_add_u32 s8, s2, s10
	s_mov_b32 s11, s10
	s_addc_u32 s9, s9, s10
	s_xor_b64 s[8:9], s[8:9], s[10:11]
	s_mul_i32 s14, s8, s12
	s_mul_hi_u32 s15, s8, s3
	s_mul_hi_u32 s13, s8, s12
	s_add_u32 s14, s15, s14
	s_addc_u32 s13, 0, s13
	s_mul_hi_u32 s16, s9, s3
	s_mul_i32 s3, s9, s3
	s_add_u32 s3, s14, s3
	s_mul_hi_u32 s15, s9, s12
	s_addc_u32 s3, s13, s16
	s_addc_u32 s13, s15, 0
	s_mul_i32 s12, s9, s12
	s_add_u32 s3, s3, s12
	s_addc_u32 s16, 0, s13
	s_mul_i32 s12, s6, s16
	s_mul_hi_u32 s13, s6, s3
	s_add_i32 s12, s13, s12
	s_mul_i32 s13, s7, s3
	s_add_i32 s17, s12, s13
	s_sub_i32 s14, s9, s17
	s_mul_i32 s12, s6, s3
	s_sub_u32 s8, s8, s12
	s_cselect_b64 s[12:13], -1, 0
	s_cmp_lg_u64 s[12:13], 0
	s_subb_u32 s18, s14, s7
	s_sub_u32 s19, s8, s6
	s_cselect_b64 s[14:15], -1, 0
	s_cmp_lg_u64 s[14:15], 0
	s_subb_u32 s14, s18, 0
	s_cmp_ge_u32 s14, s7
	s_cselect_b32 s15, -1, 0
	s_cmp_ge_u32 s19, s6
	s_cselect_b32 s18, -1, 0
	s_cmp_eq_u32 s14, s7
	s_cselect_b32 s14, s18, s15
	s_add_u32 s15, s3, 1
	s_addc_u32 s18, s16, 0
	s_add_u32 s19, s3, 2
	s_addc_u32 s20, s16, 0
	s_cmp_lg_u32 s14, 0
	s_cselect_b32 s14, s19, s15
	s_cselect_b32 s15, s20, s18
	s_cmp_lg_u64 s[12:13], 0
	s_subb_u32 s9, s9, s17
	s_cmp_ge_u32 s9, s7
	s_cselect_b32 s12, -1, 0
	s_cmp_ge_u32 s8, s6
	s_cselect_b32 s6, -1, 0
	s_cmp_eq_u32 s9, s7
	s_cselect_b32 s6, s6, s12
	s_cmp_lg_u32 s6, 0
	s_cselect_b32 s7, s15, s16
	s_cselect_b32 s6, s14, s3
	s_xor_b64 s[8:9], s[10:11], 0
	s_xor_b64 s[6:7], s[6:7], s[8:9]
	s_sub_u32 s54, s6, s8
	s_branch .LBB25_7
.LBB25_5:
                                        ; implicit-def: $sgpr50_sgpr51
	s_load_dwordx2 s[48:49], s[0:1], 0x74
	s_waitcnt lgkmcnt(0)
	v_cvt_f32_u32_e32 v1, s26
	s_branch .LBB25_2
.LBB25_6:
	s_mov_b64 s[4:5], -1
                                        ; implicit-def: $sgpr54_sgpr55
.LBB25_7:
	s_load_dwordx2 s[40:41], s[0:1], 0x5c
	v_writelane_b32 v255, s28, 4
	s_andn2_b64 vcc, exec, s[4:5]
	s_nop 0
	v_writelane_b32 v255, s29, 5
	v_writelane_b32 v255, s23, 6
	s_cbranch_vccnz .LBB25_9
; %bb.8:
	v_rcp_iflag_f32_e32 v1, v1
	s_sub_i32 s3, 0, s26
	v_mul_f32_e32 v1, 0x4f7ffffe, v1
	v_cvt_u32_f32_e32 v1, v1
	s_nop 0
	v_readfirstlane_b32 s4, v1
	s_mul_i32 s3, s3, s4
	s_mul_hi_u32 s3, s4, s3
	s_add_i32 s4, s4, s3
	s_mul_hi_u32 s3, s2, s4
	s_mul_i32 s5, s3, s26
	s_sub_i32 s2, s2, s5
	s_add_i32 s4, s3, 1
	s_sub_i32 s5, s2, s26
	s_cmp_ge_u32 s2, s26
	s_cselect_b32 s3, s4, s3
	s_cselect_b32 s2, s5, s2
	s_add_i32 s4, s3, 1
	s_cmp_ge_u32 s2, s26
	s_cselect_b32 s54, s4, s3
.LBB25_9:
	s_abs_i32 s55, s62
	v_cvt_f32_u32_e32 v1, s55
	s_load_dwordx16 s[8:23], s[0:1], 0x0
	s_load_dword s2, s[0:1], 0x40
	s_load_dword s33, s[0:1], 0x54
	s_load_dwordx2 s[4:5], s[0:1], 0x8c
	s_load_dwordx4 s[28:31], s[0:1], 0x98
	s_load_dwordx2 s[42:43], s[0:1], 0xa8
	s_load_dwordx2 s[58:59], s[0:1], 0xb8
	;; [unrolled: 1-line block ×3, first 2 shown]
	s_sub_i32 s3, 0, s55
	v_writelane_b32 v255, s26, 7
	v_rcp_iflag_f32_e32 v1, v1
	s_waitcnt lgkmcnt(0)
	s_mov_b32 s1, s5
	v_writelane_b32 v255, s0, 8
	s_ashr_i32 s35, s27, 3
	v_mul_f32_e32 v1, 0x4f7ffffe, v1
	v_cvt_u32_f32_e32 v1, v1
	v_writelane_b32 v255, s1, 9
	s_abs_i32 s1, s50
	s_ashr_i32 s53, s48, 3
	v_readfirstlane_b32 s46, v1
	s_mul_i32 s3, s3, s46
	s_mul_hi_u32 s3, s46, s3
	s_add_i32 s46, s46, s3
	s_mul_hi_u32 s3, s1, s46
	s_mul_i32 s3, s3, s55
	s_sub_i32 s1, s1, s3
	s_ashr_i32 s36, s4, 2
	s_ashr_i32 s38, s59, 1
	;; [unrolled: 1-line block ×5, first 2 shown]
	s_sub_i32 s3, s1, s55
	s_cmp_ge_u32 s1, s55
	s_cselect_b32 s1, s3, s1
	s_sub_i32 s3, s1, s55
	s_cmp_ge_u32 s1, s55
	s_cselect_b32 s1, s3, s1
	s_xor_b32 s1, s1, s0
	s_sub_i32 s52, s1, s0
	s_sub_i32 s0, s54, s50
	s_add_i32 s6, s0, s52
	s_min_i32 s3, s62, s6
	s_cmp_gt_i32 s54, s50
	s_cselect_b64 s[4:5], -1, 0
	s_cmp_le_i32 s54, s50
	s_cselect_b64 s[0:1], -1, 0
	s_cmp_gt_i32 s62, s6
	v_cvt_f16_f32_e32 v4, s2
	s_cselect_b64 s[6:7], -1, 0
	s_or_b64 s[0:1], s[6:7], s[0:1]
	v_bfe_u32 v170, v0, 10, 10
	s_mov_b32 s57, 0
	s_and_b64 vcc, exec, s[0:1]
	v_bfe_u32 v46, v0, 10, 3
	v_lshlrev_b32_e32 v1, 4, v170
	v_lshrrev_b32_e32 v47, 10, v0
	v_add_u32_e32 v192, 4, v170
	v_add_u32_e32 v191, 8, v170
	;; [unrolled: 1-line block ×15, first 2 shown]
	v_writelane_b32 v255, s53, 10
	s_cbranch_vccz .LBB25_12
; %bb.10:
	s_andn2_b64 vcc, exec, s[4:5]
	s_cbranch_vccz .LBB25_617
.LBB25_11:
	s_endpgm
.LBB25_12:
	s_cmp_eq_u64 s[16:17], 0
	s_cselect_b64 s[0:1], -1, 0
	v_writelane_b32 v255, s0, 11
	s_cmp_lg_u64 s[18:19], 0
	v_mov_b32_e32 v10, v4
	v_writelane_b32 v255, s1, 12
	s_cselect_b64 s[0:1], -1, 0
	v_writelane_b32 v255, s0, 13
	v_and_b32_e32 v4, 15, v0
	v_bfe_u32 v6, v0, 1, 9
	v_writelane_b32 v255, s1, 14
	s_movk_i32 s0, 0x1100
	v_and_b32_e32 v48, 0x3ff, v0
	v_mad_u32_u24 v3, v170, s0, 0
	v_mul_u32_u24_e32 v5, 0x110, v4
	v_and_b32_e32 v7, 0x78, v6
	v_add3_u32 v49, v3, v5, v7
	v_bfe_u32 v3, v0, 5, 5
	v_lshlrev_b32_e32 v5, 1, v48
	v_lshlrev_b32_e32 v2, 2, v48
	v_lshl_add_u32 v51, v170, 1, v3
	v_and_b32_e32 v50, 62, v5
	v_bfe_u32 v5, v0, 4, 6
	v_mul_u32_u24_e32 v3, 0x90, v51
	v_lshl_add_u32 v5, v170, 2, v5
	v_and_b32_e32 v54, 60, v2
	v_lshlrev_b32_e32 v9, 1, v50
	v_mul_u32_u24_e32 v8, 0x110, v5
	v_add3_u32 v55, 0, v3, v9
	v_lshlrev_b32_e32 v3, 2, v54
	v_mul_lo_u32 v56, s36, v5
	s_lshl_b32 s1, s36, 4
	v_add3_u32 v77, 0, v8, v3
	v_and_or_b32 v8, v0, 8, v1
	s_movk_i32 s0, 0x90
	v_add_u32_e32 v58, s1, v56
	v_lshrrev_b32_e32 v8, 3, v8
	v_add_u32_e32 v60, s1, v58
	v_mad_u32_u24 v8, v8, s0, 0
	s_movk_i32 s0, 0x1fc
	v_add_u32_e32 v62, s1, v60
	v_bitop3_b32 v6, v6, s0, 4 bitop3:0xc8
	v_readlane_b32 s0, v255, 6
	s_mov_b32 s1, s57
	s_lshl_b32 s56, s0, 6
	v_writelane_b32 v255, s0, 15
	s_ashr_i32 s39, s38, 31
	s_ashr_i32 s37, s36, 31
	;; [unrolled: 1-line block ×3, first 2 shown]
	s_lshl_b32 s5, s26, 4
	v_writelane_b32 v255, s1, 16
	s_lshl_b64 s[0:1], s[56:57], 3
	s_add_u32 s0, s22, s0
	v_readlane_b32 s30, v255, 3
	s_addc_u32 s1, s23, s1
	s_abs_i32 s51, s30
	v_add_u32_e32 v177, v8, v6
	v_cvt_f32_u32_e32 v6, s51
	v_bfe_u32 v3, v0, 2, 8
	v_add_u32_e32 v175, 0, v7
	v_and_b32_e32 v7, 60, v3
	v_lshl_add_u32 v176, v7, 1, v8
	v_mul_lo_u32 v64, s26, v5
	v_mul_u32_u24_e32 v5, 0x110, v7
	v_lshlrev_b32_e32 v7, 1, v4
	v_add3_u32 v178, 0, v5, v7
	v_rcp_iflag_f32_e32 v5, v6
	v_or_b32_e32 v3, 3, v3
	v_mul_u32_u24_e32 v3, 0x110, v3
	v_readlane_b32 s7, v255, 2
	v_add3_u32 v179, 0, v3, v7
	v_or_b32_e32 v3, v1, v48
	s_abs_i32 s56, s7
	v_lshlrev_b32_e32 v52, 3, v3
	v_mul_f32_e32 v3, 0x4f7ffffe, v5
	v_cvt_f32_u32_e32 v5, s56
	v_cvt_u32_f32_e32 v3, v3
	v_mov_b32_e32 v53, 0
	v_lshl_add_u64 v[68:69], s[0:1], 0, v[52:53]
	v_rcp_iflag_f32_e32 v5, v5
	s_sub_i32 s0, 0, s51
	v_mul_lo_u32 v6, s0, v3
	v_readlane_b32 s6, v255, 1
	v_mul_hi_u32 v6, v3, v6
	s_abs_i32 s57, s6
	v_add_u32_e32 v180, v3, v6
	v_mul_f32_e32 v3, 0x4f7ffffe, v5
	v_cvt_f32_u32_e32 v5, s57
	v_cvt_u32_f32_e32 v3, v3
	s_abs_i32 s60, s58
	v_cvt_f32_u32_e32 v7, s60
	v_rcp_iflag_f32_e32 v5, v5
	s_sub_i32 s0, 0, s56
	v_mul_lo_u32 v6, s0, v3
	v_mul_hi_u32 v6, v3, v6
	v_mul_f32_e32 v5, 0x4f7ffffe, v5
	v_cvt_u32_f32_e32 v5, v5
	v_add_u32_e32 v181, v3, v6
	v_rcp_iflag_f32_e32 v3, v7
	s_sub_i32 s0, 0, s57
	v_mul_lo_u32 v6, s0, v5
	v_mul_hi_u32 v6, v5, v6
	s_movk_i32 s4, 0x110
	v_add_u32_e32 v182, v5, v6
	v_mov_b32_e32 v5, 0x440
	v_mul_f32_e32 v3, 0x4f7ffffe, v3
	v_mad_u32_u24 v184, v170, s4, v5
	v_mov_b32_e32 v5, 0x880
	v_cvt_u32_f32_e32 v3, v3
	v_mad_u32_u24 v185, v170, s4, v5
	v_mov_b32_e32 v5, 0xcc0
	v_mad_u32_u24 v186, v170, s4, v5
	v_mov_b32_e32 v5, 0x1100
	v_mad_u32_u24 v194, v170, s4, 0
	v_mad_u32_u24 v187, v170, s4, v5
	v_mov_b32_e32 v5, 0x1540
	v_add_u32_e32 v11, 0x440, v194
	v_mad_u32_u24 v188, v170, s4, v5
	v_mov_b32_e32 v5, 0x1980
	v_add_u32_e32 v171, v11, v2
	v_add_u32_e32 v11, 0x880, v194
	v_readfirstlane_b32 s0, v3
	v_and_b32_e32 v3, 31, v0
	v_mad_u32_u24 v189, v170, s4, v5
	s_movk_i32 s1, 0x1f0
	v_bfe_u32 v5, v0, 10, 4
	v_add_u32_e32 v11, v11, v2
	v_lshlrev_b32_e32 v52, 2, v3
	v_or_b32_e32 v3, v1, v4
	v_and_or_b32 v6, v169, s1, v5
	scratch_store_dword off, v11, off       ; 4-byte Folded Spill
	v_add_u32_e32 v11, 0xcc0, v194
	v_mul_u32_u24_e32 v183, 0x110, v3
	v_add_u32_e32 v3, v1, v48
	v_mad_u32_u24 v1, v6, s4, 0
	v_add_u32_e32 v11, v11, v2
	scratch_store_dword off, v11, off offset:8 ; 4-byte Folded Spill
	scratch_store_dword off, v1, off offset:16 ; 4-byte Folded Spill
	v_add_u32_e32 v1, v1, v2
	scratch_store_dword off, v1, off offset:20 ; 4-byte Folded Spill
	v_add_u32_e32 v1, 0x1540, v194
	v_add_u32_e32 v1, v1, v2
	scratch_store_dword off, v1, off offset:24 ; 4-byte Folded Spill
	v_add_u32_e32 v1, 0x1980, v194
	v_add_u32_e32 v1, v1, v2
	v_and_or_b32 v7, v109, s1, v5
	scratch_store_dword off, v1, off offset:28 ; 4-byte Folded Spill
	v_add_u32_e32 v1, 0x1dc0, v194
	v_mad_u32_u24 v9, v7, s4, 0
	v_add_u32_e32 v1, v1, v2
	scratch_store_dword off, v1, off offset:32 ; 4-byte Folded Spill
	scratch_store_dword off, v9, off offset:40 ; 4-byte Folded Spill
	v_add_u32_e32 v1, v9, v2
	scratch_store_dword off, v1, off offset:44 ; 4-byte Folded Spill
	v_add_u32_e32 v1, 0x2640, v194
	v_add_u32_e32 v1, v1, v2
	scratch_store_dword off, v1, off offset:48 ; 4-byte Folded Spill
	v_add_u32_e32 v1, 0x2a80, v194
	v_add_u32_e32 v1, v1, v2
	v_and_or_b32 v5, v93, s1, v5
	scratch_store_dword off, v1, off offset:52 ; 4-byte Folded Spill
	v_add_u32_e32 v1, 0x2ec0, v194
	v_cmp_gt_u32_e64 s[64:65], 16, v48
	v_mul_u32_u24_e32 v8, 0x110, v6
	v_mul_u32_u24_e32 v6, 0x110, v7
	;; [unrolled: 1-line block ×3, first 2 shown]
	v_mad_u32_u24 v5, v5, s4, 0
	v_add_u32_e32 v1, v1, v2
	v_writelane_b32 v255, s64, 17
	scratch_store_dword off, v1, off offset:56 ; 4-byte Folded Spill
	scratch_store_dword off, v5, off offset:64 ; 4-byte Folded Spill
	v_add_u32_e32 v1, v5, v2
	v_writelane_b32 v255, s65, 18
	scratch_store_dword off, v1, off offset:68 ; 4-byte Folded Spill
	v_add_u32_e32 v1, 0x3740, v194
	s_ashr_i32 s1, s30, 31
	v_add_u32_e32 v1, v1, v2
	v_writelane_b32 v255, s1, 19
	s_ashr_i32 s1, s7, 31
	scratch_store_dword off, v1, off offset:72 ; 4-byte Folded Spill
	v_add_u32_e32 v1, 0x3b80, v194
	v_writelane_b32 v255, s1, 20
	s_ashr_i32 s1, s6, 31
	v_add_u32_e32 v1, v1, v2
	v_writelane_b32 v255, s1, 21
	s_sub_i32 s1, 0, s60
	scratch_store_dword off, v1, off offset:76 ; 4-byte Folded Spill
	v_add_u32_e32 v1, 0x3fc0, v194
	s_mul_i32 s1, s1, s0
	v_add_u32_e32 v66, s5, v64
	v_add_u32_e32 v193, 0, v2
	;; [unrolled: 1-line block ×3, first 2 shown]
	s_mul_hi_u32 s1, s0, s1
	v_add_u32_e32 v70, s5, v66
	scratch_store_dword off, v1, off offset:80 ; 4-byte Folded Spill
	s_add_i32 s0, s0, s1
	v_add_u32_e32 v1, v193, v8
	v_add_u32_e32 v72, s5, v70
	;; [unrolled: 1-line block ×3, first 2 shown]
	v_writelane_b32 v255, s0, 22
	s_lshl_b64 s[0:1], s[38:39], 1
                                        ; implicit-def: $vgpr2
                                        ; implicit-def: $vgpr2
                                        ; implicit-def: $vgpr2
	scratch_store_dword off, v1, off offset:12 ; 4-byte Folded Spill
	v_add_u32_e32 v1, v193, v6
	s_mov_b32 s2, 0x10001
	v_ashrrev_i32_e32 v57, 31, v56
	v_ashrrev_i32_e32 v59, 31, v58
	;; [unrolled: 1-line block ×8, first 2 shown]
	v_mul_u32_u24_e32 v3, 0x110, v3
	v_writelane_b32 v255, s0, 23
	scratch_store_dword off, v1, off offset:36 ; 4-byte Folded Spill
	v_add_u32_e32 v1, v193, v7
	v_mbcnt_lo_u32_b32 v2, -1, 0
	v_and_b32_e32 v80, 7, v192
	v_and_b32_e32 v84, 7, v190
	;; [unrolled: 1-line block ×8, first 2 shown]
	v_writelane_b32 v255, s1, 24
	v_mad_u32_u24 v223, v4, s4, v175
	v_lshlrev_b32_e32 v74, 4, v4
	v_mov_b32_e32 v75, v53
	s_lshl_b64 s[64:65], s[26:27], 8
	s_lshl_b64 s[66:67], s[36:37], 8
	s_mov_b32 s39, 0x3f200000
	s_mov_b32 s61, 0x3fb8aa3b
	s_mov_b32 s30, 0xc2ce8ed0
	s_mov_b32 s47, 0x42b17218
	s_brev_b32 s0, -2
	s_mov_b32 s1, 0xc1a00000
	s_mov_b32 s63, 0x5040100
	scratch_store_dword off, v1, off offset:60 ; 4-byte Folded Spill
	v_add_u32_e32 v227, 0, v3
	v_mbcnt_hi_u32_b32 v228, -1, v2
	v_mul_lo_u32 v229, v10, s2
	v_add_u32_e32 v230, 0x1100, v77
	v_add_u32_e32 v231, 0x2200, v77
	;; [unrolled: 1-line block ×6, first 2 shown]
	v_mul_u32_u24_e32 v236, 0x110, v170
	v_lshrrev_b32_e32 v237, 3, v192
	v_lshrrev_b32_e32 v238, 3, v191
	v_lshrrev_b32_e32 v239, 3, v190
	v_lshrrev_b32_e32 v240, 3, v169
	v_lshrrev_b32_e32 v241, 3, v168
	v_lshrrev_b32_e32 v242, 3, v167
	v_lshrrev_b32_e32 v243, 3, v166
	v_lshrrev_b32_e32 v244, 3, v109
	v_lshrrev_b32_e32 v245, 3, v105
	v_lshrrev_b32_e32 v246, 3, v101
	v_lshrrev_b32_e32 v247, 3, v97
	v_lshrrev_b32_e32 v248, 3, v93
	v_lshrrev_b32_e32 v249, 3, v89
	v_lshrrev_b32_e32 v250, 3, v85
	v_lshrrev_b32_e32 v251, 3, v81
	v_mov_b32_e32 v252, 0x3ca908c9
	v_mov_b32_e32 v253, 0x7f800000
	v_and_b32_e32 v76, 7, v0
	v_mad_u64_u32 v[78:79], s[4:5], v46, s53, v[48:49]
	v_mad_u64_u32 v[82:83], s[4:5], v80, s53, v[48:49]
	;; [unrolled: 1-line block ×9, first 2 shown]
	v_lshl_add_u64 v[112:113], s[14:15], 0, v[52:53]
	v_lshl_add_u64 v[114:115], v[64:65], 2, s[12:13]
	;; [unrolled: 1-line block ×9, first 2 shown]
	v_mov_b32_e32 v173, v190
	v_mov_b32_e32 v174, v191
	;; [unrolled: 1-line block ×3, first 2 shown]
	scratch_store_dword off, v10, off offset:4 ; 4-byte Folded Spill
	s_branch .LBB25_14
.LBB25_13:                              ;   in Loop: Header=BB25_14 Depth=1
	s_or_b64 exec, exec, s[4:5]
	s_add_i32 s2, s50, s62
	s_abs_i32 s4, s2
	s_mul_hi_u32 s5, s4, s46
	s_mul_i32 s5, s5, s55
	s_sub_i32 s4, s4, s5
	s_ashr_i32 s3, s2, 31
	s_sub_i32 s5, s4, s55
	s_cmp_ge_u32 s4, s55
	s_cselect_b32 s4, s5, s4
	s_sub_i32 s5, s4, s55
	s_cmp_ge_u32 s4, s55
	s_cselect_b32 s4, s5, s4
	s_xor_b32 s4, s4, s3
	s_sub_i32 s3, s3, s4
	s_add_i32 s50, s2, s3
	s_sub_i32 s2, s54, s50
	s_min_i32 s3, s62, s2
	s_cmp_gt_i32 s54, s50
	s_cselect_b64 s[4:5], -1, 0
	s_cmp_le_i32 s62, s2
	s_cselect_b64 s[6:7], -1, 0
	s_and_b64 s[6:7], s[6:7], s[4:5]
	s_mov_b32 s52, 0
	s_and_b64 vcc, exec, s[6:7]
	s_cbranch_vccz .LBB25_616
.LBB25_14:                              ; =>This Loop Header: Depth=1
                                        ;     Child Loop BB25_85 Depth 2
                                        ;     Child Loop BB25_384 Depth 2
	s_ashr_i32 s2, s50, 31
	v_readlane_b32 s4, v255, 19
	s_xor_b32 s2, s2, s4
	s_abs_i32 s4, s50
	v_mul_hi_u32 v2, s4, v180
	v_mul_lo_u32 v3, v2, s51
	v_sub_u32_e32 v3, s4, v3
	v_add_u32_e32 v4, 1, v2
	v_subrev_u32_e32 v5, s51, v3
	v_cmp_le_u32_e32 vcc, s51, v3
	v_readlane_b32 s4, v255, 13
	v_readlane_b32 s5, v255, 14
	v_cndmask_b32_e32 v2, v2, v4, vcc
	v_cndmask_b32_e32 v3, v3, v5, vcc
	v_add_u32_e32 v4, 1, v2
	v_cmp_le_u32_e32 vcc, s51, v3
	s_nop 1
	v_cndmask_b32_e32 v2, v2, v4, vcc
	v_xor_b32_e32 v2, s2, v2
	v_subrev_u32_e32 v2, s2, v2
	v_readlane_b32 s2, v255, 3
	s_nop 1
	v_mul_lo_u32 v3, v2, s2
	v_sub_u32_e32 v4, s50, v3
	v_sub_u32_e32 v5, 0, v4
	v_max_i32_e32 v5, v4, v5
	v_mul_hi_u32 v6, v5, v181
	v_mul_lo_u32 v7, v6, s56
	v_sub_u32_e32 v5, v5, v7
	v_add_u32_e32 v7, 1, v6
	v_subrev_u32_e32 v8, s56, v5
	v_cmp_le_u32_e32 vcc, s56, v5
	v_ashrrev_i32_e32 v3, 31, v4
	v_readlane_b32 s2, v255, 20
	v_cndmask_b32_e32 v6, v6, v7, vcc
	v_cndmask_b32_e32 v5, v5, v8, vcc
	v_add_u32_e32 v7, 1, v6
	v_cmp_le_u32_e32 vcc, s56, v5
	v_xor_b32_e32 v3, s2, v3
	v_readlane_b32 s2, v255, 2
	v_cndmask_b32_e32 v5, v6, v7, vcc
	v_xor_b32_e32 v5, v5, v3
	v_sub_u32_e32 v3, v5, v3
	v_mul_lo_u32 v5, v3, s2
	v_sub_u32_e32 v4, v4, v5
	v_sub_u32_e32 v6, 0, v4
	v_max_i32_e32 v6, v4, v6
	v_mul_hi_u32 v7, v6, v182
	v_mul_lo_u32 v8, v7, s57
	v_sub_u32_e32 v6, v6, v8
	v_add_u32_e32 v8, 1, v7
	v_subrev_u32_e32 v9, s57, v6
	v_cmp_le_u32_e32 vcc, s57, v6
	v_ashrrev_i32_e32 v5, 31, v4
	v_readlane_b32 s2, v255, 21
	v_cndmask_b32_e32 v7, v7, v8, vcc
	v_cndmask_b32_e32 v6, v6, v9, vcc
	v_add_u32_e32 v8, 1, v7
	v_cmp_le_u32_e32 vcc, s57, v6
	v_xor_b32_e32 v5, s2, v5
	v_readlane_b32 s2, v255, 1
	v_cndmask_b32_e32 v6, v7, v8, vcc
	v_xor_b32_e32 v6, v6, v5
	v_sub_u32_e32 v5, v6, v5
	v_mul_lo_u32 v6, v5, s2
	v_sub_u32_e32 v4, v4, v6
	v_sub_u32_e32 v7, 0, v4
	v_ashrrev_i32_e32 v6, 31, v4
	v_max_i32_e32 v4, v4, v7
	v_mul_hi_u32 v7, v4, s46
	v_mul_lo_u32 v8, v7, s55
	v_sub_u32_e32 v4, v4, v8
	v_add_u32_e32 v8, 1, v7
	v_subrev_u32_e32 v9, s55, v4
	v_cmp_le_u32_e32 vcc, s55, v4
	v_xor_b32_e32 v6, s59, v6
	s_nop 0
	v_cndmask_b32_e32 v7, v7, v8, vcc
	v_cndmask_b32_e32 v4, v4, v9, vcc
	v_add_u32_e32 v8, 1, v7
	v_cmp_le_u32_e32 vcc, s55, v4
	s_nop 1
	v_cndmask_b32_e32 v4, v7, v8, vcc
	v_xor_b32_e32 v4, v4, v6
	s_andn2_b64 vcc, exec, s[4:5]
	v_sub_u32_e32 v4, v4, v6
	s_cbranch_vccnz .LBB25_16
; %bb.15:                               ;   in Loop: Header=BB25_14 Depth=1
	v_readlane_b32 s2, v255, 0
	s_nop 1
	v_mul_lo_u32 v6, v2, s2
	v_add_u32_e32 v6, v4, v6
	v_ashrrev_i32_e32 v7, 31, v6
	v_lshlrev_b64 v[6:7], 2, v[6:7]
	v_lshl_add_u64 v[6:7], s[18:19], 0, v[6:7]
	global_load_dword v6, v[6:7], off
	s_waitcnt vmcnt(0)
	v_readfirstlane_b32 s2, v6
	s_ashr_i32 s4, s2, 31
	s_lshr_b32 s4, s4, 26
	s_add_i32 s2, s2, s4
	s_ashr_i32 s2, s2, 6
	s_min_i32 s3, s3, s2
.LBB25_16:                              ;   in Loop: Header=BB25_14 Depth=1
	v_mul_lo_u32 v6, v3, s34
	v_lshlrev_b32_e32 v91, 3, v5
	v_add_u32_e32 v6, v91, v6
	v_mul_lo_u32 v8, v2, s49
	v_ashrrev_i32_e32 v9, 31, v8
	v_mul_lo_u32 v10, v6, s48
	v_lshl_add_u64 v[8:9], s[8:9], 0, v[8:9]
	v_ashrrev_i32_e32 v11, 31, v10
	v_ashrrev_i32_e32 v5, 31, v2
	v_lshl_add_u64 v[150:151], v[8:9], 0, v[10:11]
	v_mul_hi_u32 v7, s28, v2
	v_mul_lo_u32 v8, s28, v5
	v_readlane_b32 s4, v255, 8
	v_add_u32_e32 v7, v7, v8
	v_mul_lo_u32 v8, s29, v2
	v_readlane_b32 s5, v255, 9
	v_add_u32_e32 v141, v7, v8
	v_mul_lo_u32 v140, s28, v2
	v_mul_lo_u32 v142, v3, s5
	v_sub_u32_e32 v7, 0, v2
	v_lshl_add_u64 v[8:9], s[10:11], 0, v[140:141]
	v_ashrrev_i32_e32 v143, 31, v142
	v_max_i32_e32 v7, v2, v7
	v_readlane_b32 s2, v255, 22
	v_lshl_add_u64 v[136:137], v[8:9], 0, v[142:143]
	v_mul_lo_u32 v146, s42, v2
	v_mul_hi_u32 v8, v7, s2
	v_mul_lo_u32 v8, v8, s60
	v_sub_u32_e32 v7, v7, v8
	v_subrev_u32_e32 v8, s60, v7
	v_cmp_le_u32_e32 vcc, s60, v7
	s_mul_i32 s2, s24, s25
	v_mul_lo_u32 v148, v3, s31
	v_cndmask_b32_e32 v7, v7, v8, vcc
	v_subrev_u32_e32 v8, s60, v7
	v_cmp_le_u32_e32 vcc, s60, v7
	v_readlane_b32 s4, v255, 11
	v_readlane_b32 s5, v255, 12
	v_cndmask_b32_e32 v7, v7, v8, vcc
	v_xor_b32_e32 v7, v7, v5
	v_sub_u32_e32 v7, v7, v5
	v_ashrrev_i32_e32 v8, 31, v7
	v_mul_lo_u32 v8, s44, v8
	v_mul_hi_u32 v9, s44, v7
	v_add_u32_e32 v8, v9, v8
	v_mul_lo_u32 v9, s45, v7
	v_mul_lo_u32 v144, s44, v7
	;; [unrolled: 1-line block ×3, first 2 shown]
	v_add_u32_e32 v7, v6, v7
	v_lshlrev_b32_e32 v52, 6, v7
	v_mul_hi_u32 v7, s42, v2
	v_mul_lo_u32 v5, s42, v5
	v_add_u32_e32 v5, v7, v5
	v_mul_lo_u32 v7, s43, v2
	v_add_u32_e32 v147, v5, v7
	v_ashrrev_i32_e32 v7, 31, v6
	v_lshlrev_b64 v[2:3], 2, v[6:7]
	v_add_u32_e32 v145, v8, v9
	v_lshlrev_b64 v[8:9], 3, v[52:53]
	v_lshl_add_u64 v[2:3], s[16:17], 0, v[2:3]
	v_lshl_add_u64 v[130:131], s[20:21], 0, v[8:9]
	;; [unrolled: 1-line block ×3, first 2 shown]
	v_ashrrev_i32_e32 v149, 31, v148
	v_cndmask_b32_e64 v132, v2, 0, s[4:5]
	v_lshlrev_b32_e32 v95, 3, v4
	v_bfe_u32 v2, v47, 3, 7
	v_lshl_add_u64 v[138:139], s[14:15], 0, v[144:145]
	v_lshl_add_u64 v[134:135], v[8:9], 0, v[148:149]
	v_cndmask_b32_e64 v133, v3, 0, s[4:5]
	s_cmp_lg_u32 s52, 0
	v_add_u32_e32 v79, v2, v95
	v_or_b32_e32 v83, v46, v91
	s_cbranch_scc0 .LBB25_151
; %bb.17:                               ;   in Loop: Header=BB25_14 Depth=1
	v_cmp_le_i32_e64 s[4:5], s24, v79
	v_cmp_le_i32_e64 s[6:7], s34, v83
	v_cmp_gt_i32_e32 vcc, s34, v83
	s_or_b64 s[4:5], s[4:5], s[6:7]
	s_and_saveexec_b64 s[6:7], s[4:5]
	s_xor_b64 s[4:5], exec, s[6:7]
; %bb.18:                               ;   in Loop: Header=BB25_14 Depth=1
	v_add_u32_e32 v2, v193, v236
	ds_write_b32 v2, v53
; %bb.19:                               ;   in Loop: Header=BB25_14 Depth=1
	s_andn2_saveexec_b64 s[4:5], s[4:5]
	s_cbranch_execz .LBB25_21
; %bb.20:                               ;   in Loop: Header=BB25_14 Depth=1
	v_mad_u64_u32 v[2:3], s[6:7], v79, s35, v[78:79]
	v_ashrrev_i32_e32 v3, 31, v2
	v_lshl_add_u64 v[2:3], v[2:3], 3, v[150:151]
	global_load_dwordx2 v[2:3], v[2:3], off
	s_waitcnt vmcnt(0)
	v_cvt_pk_f16_f32 v2, v2, v3
	v_pk_mul_f16 v2, v2, v229
	v_add_u32_e32 v3, v193, v236
	ds_write_b32 v3, v2
.LBB25_21:                              ;   in Loop: Header=BB25_14 Depth=1
	s_or_b64 exec, exec, s[4:5]
	v_add_u32_e32 v211, v237, v95
	v_or_b32_e32 v207, v80, v91
	v_cmp_le_i32_e64 s[4:5], s24, v211
	v_cmp_le_i32_e64 s[6:7], s34, v207
	s_or_b64 s[4:5], s[4:5], s[6:7]
	s_and_saveexec_b64 s[6:7], s[4:5]
	s_xor_b64 s[4:5], exec, s[6:7]
; %bb.22:                               ;   in Loop: Header=BB25_14 Depth=1
	v_add_u32_e32 v2, v193, v184
	ds_write_b32 v2, v53
; %bb.23:                               ;   in Loop: Header=BB25_14 Depth=1
	s_andn2_saveexec_b64 s[4:5], s[4:5]
	s_cbranch_execz .LBB25_25
; %bb.24:                               ;   in Loop: Header=BB25_14 Depth=1
	v_mad_u64_u32 v[2:3], s[6:7], v211, s35, v[82:83]
	v_ashrrev_i32_e32 v3, 31, v2
	v_lshl_add_u64 v[2:3], v[2:3], 3, v[150:151]
	global_load_dwordx2 v[2:3], v[2:3], off
	s_waitcnt vmcnt(0)
	v_cvt_pk_f16_f32 v2, v2, v3
	v_pk_mul_f16 v2, v2, v229
	v_add_u32_e32 v3, v193, v184
	ds_write_b32 v3, v2
.LBB25_25:                              ;   in Loop: Header=BB25_14 Depth=1
	s_or_b64 exec, exec, s[4:5]
	v_add_u32_e32 v213, v238, v95
	v_cmp_le_i32_e64 s[4:5], s24, v213
	s_xor_b64 s[6:7], vcc, -1
	s_or_b64 s[4:5], s[4:5], s[6:7]
	s_and_saveexec_b64 s[68:69], s[4:5]
	s_xor_b64 s[4:5], exec, s[68:69]
; %bb.26:                               ;   in Loop: Header=BB25_14 Depth=1
	v_add_u32_e32 v2, v193, v185
	ds_write_b32 v2, v53
; %bb.27:                               ;   in Loop: Header=BB25_14 Depth=1
	s_andn2_saveexec_b64 s[4:5], s[4:5]
	s_cbranch_execz .LBB25_29
; %bb.28:                               ;   in Loop: Header=BB25_14 Depth=1
	v_mad_u64_u32 v[2:3], s[68:69], v213, s35, v[78:79]
	v_ashrrev_i32_e32 v3, 31, v2
	v_lshl_add_u64 v[2:3], v[2:3], 3, v[150:151]
	global_load_dwordx2 v[2:3], v[2:3], off
	s_waitcnt vmcnt(0)
	v_cvt_pk_f16_f32 v2, v2, v3
	v_pk_mul_f16 v2, v2, v229
	v_add_u32_e32 v3, v193, v185
	ds_write_b32 v3, v2
.LBB25_29:                              ;   in Loop: Header=BB25_14 Depth=1
	s_or_b64 exec, exec, s[4:5]
	v_add_u32_e32 v226, v239, v95
	v_or_b32_e32 v210, v84, v91
	v_cmp_le_i32_e32 vcc, s24, v226
	v_cmp_le_i32_e64 s[4:5], s34, v210
	s_or_b64 s[4:5], vcc, s[4:5]
	s_and_saveexec_b64 s[68:69], s[4:5]
	s_xor_b64 s[4:5], exec, s[68:69]
; %bb.30:                               ;   in Loop: Header=BB25_14 Depth=1
	v_add_u32_e32 v2, v193, v186
	ds_write_b32 v2, v53
; %bb.31:                               ;   in Loop: Header=BB25_14 Depth=1
	s_andn2_saveexec_b64 s[4:5], s[4:5]
	s_cbranch_execz .LBB25_33
; %bb.32:                               ;   in Loop: Header=BB25_14 Depth=1
	v_mad_u64_u32 v[2:3], s[68:69], v226, s35, v[86:87]
	v_ashrrev_i32_e32 v3, 31, v2
	v_lshl_add_u64 v[2:3], v[2:3], 3, v[150:151]
	global_load_dwordx2 v[2:3], v[2:3], off
	s_waitcnt vmcnt(0)
	v_cvt_pk_f16_f32 v2, v2, v3
	v_pk_mul_f16 v2, v2, v229
	v_add_u32_e32 v3, v193, v186
	ds_write_b32 v3, v2
.LBB25_33:                              ;   in Loop: Header=BB25_14 Depth=1
	s_or_b64 exec, exec, s[4:5]
	v_add_u32_e32 v215, v240, v95
	v_cmp_le_i32_e32 vcc, s24, v215
	s_or_b64 s[4:5], vcc, s[6:7]
	s_and_saveexec_b64 s[68:69], s[4:5]
	s_xor_b64 s[4:5], exec, s[68:69]
; %bb.34:                               ;   in Loop: Header=BB25_14 Depth=1
	v_add_u32_e32 v2, v193, v187
	ds_write_b32 v2, v53
; %bb.35:                               ;   in Loop: Header=BB25_14 Depth=1
	s_andn2_saveexec_b64 s[4:5], s[4:5]
	s_cbranch_execz .LBB25_37
; %bb.36:                               ;   in Loop: Header=BB25_14 Depth=1
	v_mad_u64_u32 v[2:3], s[68:69], v215, s35, v[78:79]
	v_ashrrev_i32_e32 v3, 31, v2
	v_lshl_add_u64 v[2:3], v[2:3], 3, v[150:151]
	global_load_dwordx2 v[2:3], v[2:3], off
	s_waitcnt vmcnt(0)
	v_cvt_pk_f16_f32 v2, v2, v3
	v_pk_mul_f16 v2, v2, v229
	v_add_u32_e32 v3, v193, v187
	ds_write_b32 v3, v2
.LBB25_37:                              ;   in Loop: Header=BB25_14 Depth=1
	s_or_b64 exec, exec, s[4:5]
	v_add_u32_e32 v254, v241, v95
	v_or_b32_e32 v212, v88, v91
	v_cmp_le_i32_e32 vcc, s24, v254
	v_cmp_le_i32_e64 s[4:5], s34, v212
	s_or_b64 s[4:5], vcc, s[4:5]
	s_and_saveexec_b64 s[68:69], s[4:5]
	s_xor_b64 s[4:5], exec, s[68:69]
; %bb.38:                               ;   in Loop: Header=BB25_14 Depth=1
	v_add_u32_e32 v2, v193, v188
	ds_write_b32 v2, v53
; %bb.39:                               ;   in Loop: Header=BB25_14 Depth=1
	s_andn2_saveexec_b64 s[4:5], s[4:5]
	s_cbranch_execz .LBB25_41
; %bb.40:                               ;   in Loop: Header=BB25_14 Depth=1
	v_mad_u64_u32 v[2:3], s[68:69], v254, s35, v[90:91]
	v_ashrrev_i32_e32 v3, 31, v2
	v_lshl_add_u64 v[2:3], v[2:3], 3, v[150:151]
	global_load_dwordx2 v[2:3], v[2:3], off
	s_waitcnt vmcnt(0)
	v_cvt_pk_f16_f32 v2, v2, v3
	v_pk_mul_f16 v2, v2, v229
	v_add_u32_e32 v3, v193, v188
	ds_write_b32 v3, v2
.LBB25_41:                              ;   in Loop: Header=BB25_14 Depth=1
	s_or_b64 exec, exec, s[4:5]
	v_add_u32_e32 v222, v242, v95
	v_cmp_le_i32_e32 vcc, s24, v222
	s_or_b64 s[4:5], vcc, s[6:7]
	s_and_saveexec_b64 s[68:69], s[4:5]
	s_xor_b64 s[4:5], exec, s[68:69]
; %bb.42:                               ;   in Loop: Header=BB25_14 Depth=1
	v_add_u32_e32 v2, v193, v189
	ds_write_b32 v2, v53
; %bb.43:                               ;   in Loop: Header=BB25_14 Depth=1
	s_andn2_saveexec_b64 s[4:5], s[4:5]
	s_cbranch_execz .LBB25_45
; %bb.44:                               ;   in Loop: Header=BB25_14 Depth=1
	v_mad_u64_u32 v[2:3], s[68:69], v222, s35, v[78:79]
	v_ashrrev_i32_e32 v3, 31, v2
	v_lshl_add_u64 v[2:3], v[2:3], 3, v[150:151]
	global_load_dwordx2 v[2:3], v[2:3], off
	s_waitcnt vmcnt(0)
	v_cvt_pk_f16_f32 v2, v2, v3
	v_pk_mul_f16 v2, v2, v229
	v_add_u32_e32 v3, v193, v189
	ds_write_b32 v3, v2
.LBB25_45:                              ;   in Loop: Header=BB25_14 Depth=1
	s_or_b64 exec, exec, s[4:5]
	v_add_u32_e32 v221, v243, v95
	v_or_b32_e32 v216, v92, v91
	v_cmp_le_i32_e32 vcc, s24, v221
	v_cmp_le_i32_e64 s[4:5], s34, v216
	s_or_b64 s[4:5], vcc, s[4:5]
	s_and_saveexec_b64 s[68:69], s[4:5]
	s_xor_b64 s[4:5], exec, s[68:69]
; %bb.46:                               ;   in Loop: Header=BB25_14 Depth=1
	v_add_u32_e32 v2, v193, v189
	ds_write_b32 v2, v53 offset:1088
; %bb.47:                               ;   in Loop: Header=BB25_14 Depth=1
	s_andn2_saveexec_b64 s[4:5], s[4:5]
	s_cbranch_execz .LBB25_49
; %bb.48:                               ;   in Loop: Header=BB25_14 Depth=1
	v_mad_u64_u32 v[2:3], s[68:69], v221, s35, v[94:95]
	v_ashrrev_i32_e32 v3, 31, v2
	v_lshl_add_u64 v[2:3], v[2:3], 3, v[150:151]
	global_load_dwordx2 v[2:3], v[2:3], off
	s_waitcnt vmcnt(0)
	v_cvt_pk_f16_f32 v2, v2, v3
	v_pk_mul_f16 v2, v2, v229
	v_add_u32_e32 v3, v193, v189
	ds_write_b32 v3, v2 offset:1088
.LBB25_49:                              ;   in Loop: Header=BB25_14 Depth=1
	s_or_b64 exec, exec, s[4:5]
	v_add_u32_e32 v220, v244, v95
	v_cmp_le_i32_e32 vcc, s24, v220
	s_or_b64 s[4:5], vcc, s[6:7]
	s_and_saveexec_b64 s[68:69], s[4:5]
	s_xor_b64 s[4:5], exec, s[68:69]
; %bb.50:                               ;   in Loop: Header=BB25_14 Depth=1
	v_add_u32_e32 v2, v193, v189
	ds_write_b32 v2, v53 offset:2176
; %bb.51:                               ;   in Loop: Header=BB25_14 Depth=1
	s_andn2_saveexec_b64 s[4:5], s[4:5]
	s_cbranch_execz .LBB25_53
; %bb.52:                               ;   in Loop: Header=BB25_14 Depth=1
	v_mad_u64_u32 v[2:3], s[68:69], v220, s35, v[78:79]
	v_ashrrev_i32_e32 v3, 31, v2
	v_lshl_add_u64 v[2:3], v[2:3], 3, v[150:151]
	global_load_dwordx2 v[2:3], v[2:3], off
	s_waitcnt vmcnt(0)
	v_cvt_pk_f16_f32 v2, v2, v3
	v_pk_mul_f16 v2, v2, v229
	v_add_u32_e32 v3, v193, v189
	ds_write_b32 v3, v2 offset:2176
.LBB25_53:                              ;   in Loop: Header=BB25_14 Depth=1
	s_or_b64 exec, exec, s[4:5]
	v_add_u32_e32 v218, v245, v95
	v_or_b32_e32 v219, v96, v91
	v_cmp_le_i32_e32 vcc, s24, v218
	v_cmp_le_i32_e64 s[4:5], s34, v219
	s_or_b64 s[4:5], vcc, s[4:5]
	s_and_saveexec_b64 s[68:69], s[4:5]
	s_xor_b64 s[4:5], exec, s[68:69]
; %bb.54:                               ;   in Loop: Header=BB25_14 Depth=1
	v_add_u32_e32 v2, v193, v189
	ds_write_b32 v2, v53 offset:3264
; %bb.55:                               ;   in Loop: Header=BB25_14 Depth=1
	s_andn2_saveexec_b64 s[4:5], s[4:5]
	s_cbranch_execz .LBB25_57
; %bb.56:                               ;   in Loop: Header=BB25_14 Depth=1
	v_mad_u64_u32 v[2:3], s[68:69], v218, s35, v[98:99]
	v_ashrrev_i32_e32 v3, 31, v2
	v_lshl_add_u64 v[2:3], v[2:3], 3, v[150:151]
	global_load_dwordx2 v[2:3], v[2:3], off
	s_waitcnt vmcnt(0)
	v_cvt_pk_f16_f32 v2, v2, v3
	v_pk_mul_f16 v2, v2, v229
	v_add_u32_e32 v3, v193, v189
	ds_write_b32 v3, v2 offset:3264
.LBB25_57:                              ;   in Loop: Header=BB25_14 Depth=1
	s_or_b64 exec, exec, s[4:5]
	v_add_u32_e32 v217, v246, v95
	v_cmp_le_i32_e32 vcc, s24, v217
	s_or_b64 s[4:5], vcc, s[6:7]
	s_and_saveexec_b64 s[68:69], s[4:5]
	s_xor_b64 s[4:5], exec, s[68:69]
; %bb.58:                               ;   in Loop: Header=BB25_14 Depth=1
	v_add_u32_e32 v2, v193, v189
	ds_write_b32 v2, v53 offset:4352
; %bb.59:                               ;   in Loop: Header=BB25_14 Depth=1
	s_andn2_saveexec_b64 s[4:5], s[4:5]
	s_cbranch_execz .LBB25_61
; %bb.60:                               ;   in Loop: Header=BB25_14 Depth=1
	v_mad_u64_u32 v[2:3], s[68:69], v217, s35, v[78:79]
	v_ashrrev_i32_e32 v3, 31, v2
	v_lshl_add_u64 v[2:3], v[2:3], 3, v[150:151]
	global_load_dwordx2 v[2:3], v[2:3], off
	s_waitcnt vmcnt(0)
	v_cvt_pk_f16_f32 v2, v2, v3
	v_pk_mul_f16 v2, v2, v229
	v_add_u32_e32 v3, v193, v189
	ds_write_b32 v3, v2 offset:4352
.LBB25_61:                              ;   in Loop: Header=BB25_14 Depth=1
	;; [unrolled: 48-line block ×4, first 2 shown]
	s_or_b64 exec, exec, s[4:5]
	v_add_u32_e32 v87, v251, v95
	v_or_b32_e32 v99, v108, v91
	v_cmp_le_i32_e32 vcc, s24, v87
	v_cmp_le_i32_e64 s[4:5], s34, v99
	s_or_b64 s[4:5], vcc, s[4:5]
	s_and_saveexec_b64 s[6:7], s[4:5]
	s_xor_b64 s[4:5], exec, s[6:7]
; %bb.78:                               ;   in Loop: Header=BB25_14 Depth=1
	v_add_u32_e32 v2, v193, v189
	ds_write_b32 v2, v53 offset:9792
; %bb.79:                               ;   in Loop: Header=BB25_14 Depth=1
	s_andn2_saveexec_b64 s[4:5], s[4:5]
	s_cbranch_execz .LBB25_81
; %bb.80:                               ;   in Loop: Header=BB25_14 Depth=1
	v_mad_u64_u32 v[2:3], s[6:7], v87, s35, v[110:111]
	v_ashrrev_i32_e32 v3, 31, v2
	v_lshl_add_u64 v[2:3], v[2:3], 3, v[150:151]
	global_load_dwordx2 v[2:3], v[2:3], off
	s_waitcnt vmcnt(0)
	v_cvt_pk_f16_f32 v2, v2, v3
	v_pk_mul_f16 v2, v2, v229
	v_add_u32_e32 v3, v193, v189
	ds_write_b32 v3, v2 offset:9792
.LBB25_81:                              ;   in Loop: Header=BB25_14 Depth=1
	s_or_b64 exec, exec, s[4:5]
	s_waitcnt lgkmcnt(0)
	s_barrier
	ds_read2_b64 v[14:17], v49 offset1:4
	ds_read2_b64 v[10:13], v49 offset0:8 offset1:12
	ds_read2_b64 v[6:9], v49 offset0:16 offset1:20
	;; [unrolled: 1-line block ×3, first 2 shown]
	s_add_i32 s53, s3, -1
	s_cmp_lt_i32 s52, s53
	s_mov_b64 s[4:5], -1
	s_waitcnt lgkmcnt(0)
	s_barrier
	s_cbranch_scc1 .LBB25_83
; %bb.82:                               ;   in Loop: Header=BB25_14 Depth=1
	s_mov_b64 s[4:5], 0
.LBB25_83:                              ;   in Loop: Header=BB25_14 Depth=1
	v_add_u32_e32 v18, v95, v51
	v_mul_hi_u32 v19, s40, v18
	v_add_u32_e32 v19, v18, v19
	v_lshrrev_b32_e32 v19, s41, v19
	v_mul_lo_u32 v19, v19, s24
	v_sub_u32_e32 v18, v18, v19
	s_andn2_b64 vcc, exec, s[4:5]
	v_mad_i64_i32 v[152:153], s[4:5], v18, s38, 0
	s_cbranch_vccnz .LBB25_152
; %bb.84:                               ;   in Loop: Header=BB25_14 Depth=1
	v_lshl_add_u64 v[18:19], v[152:153], 1, v[138:139]
	v_lshlrev_b32_e32 v52, 1, v50
	v_lshl_add_u64 v[154:155], v[18:19], 0, v[52:53]
	v_and_b32_e32 v18, 64, v228
	v_add_u32_e32 v18, 64, v18
	v_xor_b32_e32 v19, 32, v228
	v_cmp_lt_i32_e32 vcc, v19, v18
	s_lshl_b32 s4, s52, 6
	v_mov_b32_e32 v156, 0
	v_cndmask_b32_e32 v19, v228, v19, vcc
	v_lshlrev_b32_e32 v205, 2, v19
	v_xor_b32_e32 v19, 16, v228
	v_cmp_lt_i32_e32 vcc, v19, v18
	v_mov_b32_e32 v161, 0xfeffffff
	v_mov_b32_e32 v160, 0
	v_cndmask_b32_e32 v18, v228, v19, vcc
	v_lshlrev_b32_e32 v208, 2, v18
	v_mov_b32_e32 v157, 0
	v_mov_b32_e32 v43, 0
	;; [unrolled: 1-line block ×15, first 2 shown]
.LBB25_85:                              ;   Parent Loop BB25_14 Depth=1
                                        ; =>  This Inner Loop Header: Depth=2
	s_ashr_i32 s5, s4, 31
	v_lshl_add_u64 v[18:19], s[4:5], 1, v[154:155]
	global_load_dword v18, v[18:19], off
	s_mul_hi_i32 s7, s4, s36
	s_mul_i32 s6, s4, s36
	s_lshl_b64 s[6:7], s[6:7], 2
	v_lshlrev_b32_e32 v52, 2, v54
	v_add_u32_e32 v30, 0x1000, v223
	v_add_u32_e32 v162, 0x2000, v223
	s_waitcnt vmcnt(0)
	ds_write_b32 v55, v18 offset:17408
	v_lshl_add_u64 v[18:19], v[136:137], 0, s[6:7]
	v_lshl_add_u64 v[20:21], v[56:57], 2, v[18:19]
	;; [unrolled: 1-line block ×7, first 2 shown]
	global_load_dwordx4 v[18:21], v[20:21], off
	v_lshl_add_u64 v[22:23], v[22:23], 0, v[52:53]
	v_lshl_add_u64 v[24:25], v[24:25], 0, v[52:53]
	s_waitcnt vmcnt(0)
	ds_write_b128 v77, v[18:21]
	global_load_dwordx4 v[18:21], v[22:23], off
	s_waitcnt vmcnt(0)
	ds_write_b128 v230, v[18:21]
	global_load_dwordx4 v[18:21], v[24:25], off
	;; [unrolled: 3-line block ×3, first 2 shown]
	s_waitcnt vmcnt(0)
	ds_write_b128 v232, v[18:21]
	s_waitcnt lgkmcnt(0)
	s_barrier
	ds_read2_b64 v[18:21], v223 offset1:4
	s_waitcnt lgkmcnt(0)
	v_mfma_f32_16x16x16_f16 v[22:25], v[18:19], v[14:15], 0
	v_mfma_f32_16x16x16_f16 v[18:21], v[20:21], v[16:17], v[22:25]
	s_nop 6
	ds_read2_b64 v[22:25], v223 offset0:8 offset1:12
	s_waitcnt lgkmcnt(0)
	v_mfma_f32_16x16x16_f16 v[18:21], v[22:23], v[10:11], v[18:21]
	v_mfma_f32_16x16x16_f16 v[18:21], v[24:25], v[12:13], v[18:21]
	ds_read2_b64 v[22:25], v223 offset0:16 offset1:20
	s_waitcnt lgkmcnt(0)
	v_mfma_f32_16x16x16_f16 v[18:21], v[22:23], v[6:7], v[18:21]
	v_mfma_f32_16x16x16_f16 v[18:21], v[24:25], v[8:9], v[18:21]
	;; [unrolled: 4-line block ×3, first 2 shown]
	ds_read2_b64 v[22:25], v30 offset0:32 offset1:36
	s_waitcnt lgkmcnt(0)
	v_mfma_f32_16x16x16_f16 v[26:29], v[22:23], v[14:15], 0
	s_nop 4
	v_cmp_nlt_f32_e64 s[6:7], |v18|, s39
	v_mfma_f32_16x16x16_f16 v[22:25], v[24:25], v[16:17], v[26:29]
	s_nop 2
	ds_read2_b64 v[26:29], v30 offset0:40 offset1:44
	s_waitcnt lgkmcnt(0)
	v_mfma_f32_16x16x16_f16 v[22:25], v[26:27], v[10:11], v[22:25]
	v_mfma_f32_16x16x16_f16 v[22:25], v[28:29], v[12:13], v[22:25]
	ds_read2_b64 v[26:29], v30 offset0:48 offset1:52
	s_waitcnt lgkmcnt(0)
	v_mfma_f32_16x16x16_f16 v[22:25], v[26:27], v[6:7], v[22:25]
	v_mfma_f32_16x16x16_f16 v[22:25], v[28:29], v[8:9], v[22:25]
	;; [unrolled: 4-line block ×4, first 2 shown]
	s_nop 6
	ds_read2_b64 v[30:33], v162 offset0:72 offset1:76
	s_waitcnt lgkmcnt(0)
	v_mfma_f32_16x16x16_f16 v[26:29], v[30:31], v[10:11], v[26:29]
	v_mfma_f32_16x16x16_f16 v[26:29], v[32:33], v[12:13], v[26:29]
	ds_read2_b64 v[30:33], v162 offset0:80 offset1:84
	s_waitcnt lgkmcnt(0)
	v_mfma_f32_16x16x16_f16 v[26:29], v[30:31], v[6:7], v[26:29]
	v_mfma_f32_16x16x16_f16 v[26:29], v[32:33], v[8:9], v[26:29]
	ds_read2_b64 v[30:33], v162 offset0:88 offset1:92
	v_add_u32_e32 v162, 0x3000, v223
	s_waitcnt lgkmcnt(0)
	v_mfma_f32_16x16x16_f16 v[26:29], v[30:31], v[2:3], v[26:29]
	v_mfma_f32_16x16x16_f16 v[26:29], v[32:33], v[4:5], v[26:29]
	ds_read2_b64 v[30:33], v162 offset0:96 offset1:100
	s_waitcnt lgkmcnt(0)
	v_mfma_f32_16x16x16_f16 v[200:203], v[30:31], v[14:15], 0
	v_mfma_f32_16x16x16_f16 v[30:33], v[32:33], v[16:17], v[200:203]
	s_nop 6
	ds_read2_b64 v[200:203], v162 offset0:104 offset1:108
	s_waitcnt lgkmcnt(0)
	v_mfma_f32_16x16x16_f16 v[30:33], v[200:201], v[10:11], v[30:33]
	v_mfma_f32_16x16x16_f16 v[30:33], v[202:203], v[12:13], v[30:33]
	ds_read2_b64 v[200:203], v162 offset0:112 offset1:116
	s_waitcnt lgkmcnt(0)
	v_mfma_f32_16x16x16_f16 v[30:33], v[200:201], v[6:7], v[30:33]
	v_mfma_f32_16x16x16_f16 v[30:33], v[202:203], v[8:9], v[30:33]
	ds_read2_b64 v[200:203], v162 offset0:120 offset1:124
	s_waitcnt lgkmcnt(0)
	s_barrier
	v_mfma_f32_16x16x16_f16 v[30:33], v[200:201], v[2:3], v[30:33]
                                        ; implicit-def: $vgpr162
	v_mfma_f32_16x16x16_f16 v[30:33], v[202:203], v[4:5], v[30:33]
	s_and_saveexec_b64 s[68:69], s[6:7]
	s_xor_b64 s[6:7], exec, s[68:69]
	s_cbranch_execz .LBB25_87
; %bb.86:                               ;   in Loop: Header=BB25_85 Depth=2
	v_add_f32_e64 v162, |v18|, |v18|
	v_mul_f32_e32 v163, 0x3fb8aa3b, v162
	v_rndne_f32_e32 v172, v163
	v_sub_f32_e32 v190, v163, v172
	v_fma_f32 v163, v162, s61, -v163
	v_fmac_f32_e32 v163, 0x32a5705f, v162
	v_add_f32_e32 v163, v190, v163
	v_cvt_i32_f32_e32 v172, v172
	v_exp_f32_e32 v163, v163
	v_cmp_ngt_f32_e32 vcc, s30, v162
	v_ldexp_f32 v163, v163, v172
	s_nop 0
	v_cndmask_b32_e32 v163, 0, v163, vcc
	v_cmp_nlt_f32_e32 vcc, s47, v162
	s_nop 1
	v_cndmask_b32_e32 v162, v253, v163, vcc
	v_add_f32_e32 v162, 1.0, v162
	v_rcp_f32_e32 v162, v162
	s_nop 0
	v_fma_f32 v162, v162, -2.0, 1.0
.LBB25_87:                              ;   in Loop: Header=BB25_85 Depth=2
	s_andn2_saveexec_b64 s[6:7], s[6:7]
; %bb.88:                               ;   in Loop: Header=BB25_85 Depth=2
	v_mul_f32_e32 v162, v18, v18
	v_fmamk_f32 v163, v162, 0xbbbac73d, v252
	v_fmaak_f32 v163, v162, v163, 0xbd5c1c4e
	v_fmaak_f32 v163, v162, v163, 0x3e088382
	;; [unrolled: 1-line block ×3, first 2 shown]
	v_mul_f32_e64 v163, |v18|, v163
	v_fma_f32 v162, v162, v163, |v18|
; %bb.89:                               ;   in Loop: Header=BB25_85 Depth=2
	s_or_b64 exec, exec, s[6:7]
	v_cmp_nlt_f32_e64 s[6:7], |v19|, s39
                                        ; implicit-def: $vgpr163
	s_and_saveexec_b64 s[68:69], s[6:7]
	s_xor_b64 s[6:7], exec, s[68:69]
	s_cbranch_execz .LBB25_91
; %bb.90:                               ;   in Loop: Header=BB25_85 Depth=2
	v_add_f32_e64 v163, |v19|, |v19|
	v_mul_f32_e32 v172, 0x3fb8aa3b, v163
	v_rndne_f32_e32 v190, v172
	v_sub_f32_e32 v191, v172, v190
	v_fma_f32 v172, v163, s61, -v172
	v_fmac_f32_e32 v172, 0x32a5705f, v163
	v_add_f32_e32 v172, v191, v172
	v_cvt_i32_f32_e32 v190, v190
	v_exp_f32_e32 v172, v172
	v_cmp_ngt_f32_e32 vcc, s30, v163
	v_ldexp_f32 v172, v172, v190
	s_nop 0
	v_cndmask_b32_e32 v172, 0, v172, vcc
	v_cmp_nlt_f32_e32 vcc, s47, v163
	s_nop 1
	v_cndmask_b32_e32 v163, v253, v172, vcc
	v_add_f32_e32 v163, 1.0, v163
	v_rcp_f32_e32 v163, v163
	s_nop 0
	v_fma_f32 v163, v163, -2.0, 1.0
.LBB25_91:                              ;   in Loop: Header=BB25_85 Depth=2
	s_andn2_saveexec_b64 s[6:7], s[6:7]
; %bb.92:                               ;   in Loop: Header=BB25_85 Depth=2
	v_mul_f32_e32 v163, v19, v19
	v_fmamk_f32 v172, v163, 0xbbbac73d, v252
	v_fmaak_f32 v172, v163, v172, 0xbd5c1c4e
	v_fmaak_f32 v172, v163, v172, 0x3e088382
	;; [unrolled: 1-line block ×3, first 2 shown]
	v_mul_f32_e64 v172, |v19|, v172
	v_fma_f32 v163, v163, v172, |v19|
; %bb.93:                               ;   in Loop: Header=BB25_85 Depth=2
	s_or_b64 exec, exec, s[6:7]
	v_cmp_nlt_f32_e64 s[6:7], |v20|, s39
                                        ; implicit-def: $vgpr172
	s_and_saveexec_b64 s[68:69], s[6:7]
	s_xor_b64 s[6:7], exec, s[68:69]
	s_cbranch_execz .LBB25_95
; %bb.94:                               ;   in Loop: Header=BB25_85 Depth=2
	v_add_f32_e64 v172, |v20|, |v20|
	v_mul_f32_e32 v190, 0x3fb8aa3b, v172
	v_rndne_f32_e32 v191, v190
	v_sub_f32_e32 v192, v190, v191
	v_fma_f32 v190, v172, s61, -v190
	v_fmac_f32_e32 v190, 0x32a5705f, v172
	v_add_f32_e32 v190, v192, v190
	v_cvt_i32_f32_e32 v191, v191
	v_exp_f32_e32 v190, v190
	v_cmp_ngt_f32_e32 vcc, s30, v172
	v_ldexp_f32 v190, v190, v191
	s_nop 0
	v_cndmask_b32_e32 v190, 0, v190, vcc
	v_cmp_nlt_f32_e32 vcc, s47, v172
	s_nop 1
	v_cndmask_b32_e32 v172, v253, v190, vcc
	v_add_f32_e32 v172, 1.0, v172
	v_rcp_f32_e32 v172, v172
	s_nop 0
	v_fma_f32 v172, v172, -2.0, 1.0
.LBB25_95:                              ;   in Loop: Header=BB25_85 Depth=2
	s_andn2_saveexec_b64 s[6:7], s[6:7]
; %bb.96:                               ;   in Loop: Header=BB25_85 Depth=2
	v_mul_f32_e32 v172, v20, v20
	v_fmamk_f32 v190, v172, 0xbbbac73d, v252
	v_fmaak_f32 v190, v172, v190, 0xbd5c1c4e
	v_fmaak_f32 v190, v172, v190, 0x3e088382
	;; [unrolled: 1-line block ×3, first 2 shown]
	v_mul_f32_e64 v190, |v20|, v190
	v_fma_f32 v172, v172, v190, |v20|
; %bb.97:                               ;   in Loop: Header=BB25_85 Depth=2
	s_or_b64 exec, exec, s[6:7]
	v_cmp_nlt_f32_e64 s[6:7], |v21|, s39
                                        ; implicit-def: $vgpr191
	s_and_saveexec_b64 s[68:69], s[6:7]
	s_xor_b64 s[6:7], exec, s[68:69]
	s_cbranch_execz .LBB25_99
; %bb.98:                               ;   in Loop: Header=BB25_85 Depth=2
	v_add_f32_e64 v190, |v21|, |v21|
	v_mul_f32_e32 v191, 0x3fb8aa3b, v190
	v_rndne_f32_e32 v192, v191
	v_sub_f32_e32 v196, v191, v192
	v_fma_f32 v191, v190, s61, -v191
	v_fmac_f32_e32 v191, 0x32a5705f, v190
	v_add_f32_e32 v191, v196, v191
	v_cvt_i32_f32_e32 v192, v192
	v_exp_f32_e32 v191, v191
	v_cmp_ngt_f32_e32 vcc, s30, v190
	v_ldexp_f32 v191, v191, v192
	s_nop 0
	v_cndmask_b32_e32 v191, 0, v191, vcc
	v_cmp_nlt_f32_e32 vcc, s47, v190
	s_nop 1
	v_cndmask_b32_e32 v190, v253, v191, vcc
	v_add_f32_e32 v190, 1.0, v190
	v_rcp_f32_e32 v190, v190
	s_nop 0
	v_fma_f32 v191, v190, -2.0, 1.0
.LBB25_99:                              ;   in Loop: Header=BB25_85 Depth=2
	s_andn2_saveexec_b64 s[6:7], s[6:7]
; %bb.100:                              ;   in Loop: Header=BB25_85 Depth=2
	v_mul_f32_e32 v190, v21, v21
	v_fmamk_f32 v191, v190, 0xbbbac73d, v252
	v_fmaak_f32 v191, v190, v191, 0xbd5c1c4e
	v_fmaak_f32 v191, v190, v191, 0x3e088382
	;; [unrolled: 1-line block ×3, first 2 shown]
	v_mul_f32_e64 v191, |v21|, v191
	v_fma_f32 v191, v190, v191, |v21|
; %bb.101:                              ;   in Loop: Header=BB25_85 Depth=2
	s_or_b64 exec, exec, s[6:7]
	v_cmp_nlt_f32_e64 s[6:7], |v22|, s39
                                        ; implicit-def: $vgpr192
	s_and_saveexec_b64 s[68:69], s[6:7]
	s_xor_b64 s[6:7], exec, s[68:69]
	s_cbranch_execz .LBB25_103
; %bb.102:                              ;   in Loop: Header=BB25_85 Depth=2
	v_add_f32_e64 v190, |v22|, |v22|
	v_mul_f32_e32 v192, 0x3fb8aa3b, v190
	v_rndne_f32_e32 v196, v192
	v_sub_f32_e32 v197, v192, v196
	v_fma_f32 v192, v190, s61, -v192
	v_fmac_f32_e32 v192, 0x32a5705f, v190
	v_add_f32_e32 v192, v197, v192
	v_cvt_i32_f32_e32 v196, v196
	v_exp_f32_e32 v192, v192
	v_cmp_ngt_f32_e32 vcc, s30, v190
	v_ldexp_f32 v192, v192, v196
	s_nop 0
	v_cndmask_b32_e32 v192, 0, v192, vcc
	v_cmp_nlt_f32_e32 vcc, s47, v190
	s_nop 1
	v_cndmask_b32_e32 v190, v253, v192, vcc
	v_add_f32_e32 v190, 1.0, v190
	v_rcp_f32_e32 v190, v190
	s_nop 0
	v_fma_f32 v192, v190, -2.0, 1.0
.LBB25_103:                             ;   in Loop: Header=BB25_85 Depth=2
	s_andn2_saveexec_b64 s[6:7], s[6:7]
; %bb.104:                              ;   in Loop: Header=BB25_85 Depth=2
	v_mul_f32_e32 v190, v22, v22
	v_fmamk_f32 v192, v190, 0xbbbac73d, v252
	v_fmaak_f32 v192, v190, v192, 0xbd5c1c4e
	v_fmaak_f32 v192, v190, v192, 0x3e088382
	;; [unrolled: 1-line block ×3, first 2 shown]
	v_mul_f32_e64 v192, |v22|, v192
	v_fma_f32 v192, v190, v192, |v22|
; %bb.105:                              ;   in Loop: Header=BB25_85 Depth=2
	s_or_b64 exec, exec, s[6:7]
	v_cmp_nlt_f32_e64 s[6:7], |v23|, s39
                                        ; implicit-def: $vgpr198
	s_and_saveexec_b64 s[68:69], s[6:7]
	s_xor_b64 s[6:7], exec, s[68:69]
	s_cbranch_execz .LBB25_107
; %bb.106:                              ;   in Loop: Header=BB25_85 Depth=2
	v_add_f32_e64 v190, |v23|, |v23|
	v_mul_f32_e32 v196, 0x3fb8aa3b, v190
	v_rndne_f32_e32 v197, v196
	v_sub_f32_e32 v198, v196, v197
	v_fma_f32 v196, v190, s61, -v196
	v_fmac_f32_e32 v196, 0x32a5705f, v190
	v_add_f32_e32 v196, v198, v196
	v_cvt_i32_f32_e32 v197, v197
	v_exp_f32_e32 v196, v196
	v_cmp_ngt_f32_e32 vcc, s30, v190
	v_ldexp_f32 v196, v196, v197
	s_nop 0
	v_cndmask_b32_e32 v196, 0, v196, vcc
	v_cmp_nlt_f32_e32 vcc, s47, v190
	s_nop 1
	v_cndmask_b32_e32 v190, v253, v196, vcc
	v_add_f32_e32 v190, 1.0, v190
	v_rcp_f32_e32 v190, v190
	s_nop 0
	v_fma_f32 v198, v190, -2.0, 1.0
.LBB25_107:                             ;   in Loop: Header=BB25_85 Depth=2
	s_andn2_saveexec_b64 s[6:7], s[6:7]
; %bb.108:                              ;   in Loop: Header=BB25_85 Depth=2
	v_mul_f32_e32 v190, v23, v23
	v_fmamk_f32 v196, v190, 0xbbbac73d, v252
	v_fmaak_f32 v196, v190, v196, 0xbd5c1c4e
	v_fmaak_f32 v196, v190, v196, 0x3e088382
	;; [unrolled: 1-line block ×3, first 2 shown]
	v_mul_f32_e64 v196, |v23|, v196
	v_fma_f32 v198, v190, v196, |v23|
; %bb.109:                              ;   in Loop: Header=BB25_85 Depth=2
	s_or_b64 exec, exec, s[6:7]
	v_cmp_nlt_f32_e64 s[6:7], |v24|, s39
                                        ; implicit-def: $vgpr200
	s_and_saveexec_b64 s[68:69], s[6:7]
	s_xor_b64 s[6:7], exec, s[68:69]
	s_cbranch_execz .LBB25_111
; %bb.110:                              ;   in Loop: Header=BB25_85 Depth=2
	v_add_f32_e64 v190, |v24|, |v24|
	v_mul_f32_e32 v196, 0x3fb8aa3b, v190
	v_rndne_f32_e32 v197, v196
	v_sub_f32_e32 v199, v196, v197
	v_fma_f32 v196, v190, s61, -v196
	v_fmac_f32_e32 v196, 0x32a5705f, v190
	v_add_f32_e32 v196, v199, v196
	v_cvt_i32_f32_e32 v197, v197
	v_exp_f32_e32 v196, v196
	v_cmp_ngt_f32_e32 vcc, s30, v190
	v_ldexp_f32 v196, v196, v197
	s_nop 0
	v_cndmask_b32_e32 v196, 0, v196, vcc
	v_cmp_nlt_f32_e32 vcc, s47, v190
	s_nop 1
	v_cndmask_b32_e32 v190, v253, v196, vcc
	v_add_f32_e32 v190, 1.0, v190
	v_rcp_f32_e32 v190, v190
	s_nop 0
	v_fma_f32 v200, v190, -2.0, 1.0
.LBB25_111:                             ;   in Loop: Header=BB25_85 Depth=2
	s_andn2_saveexec_b64 s[6:7], s[6:7]
; %bb.112:                              ;   in Loop: Header=BB25_85 Depth=2
	v_mul_f32_e32 v190, v24, v24
	v_fmamk_f32 v196, v190, 0xbbbac73d, v252
	v_fmaak_f32 v196, v190, v196, 0xbd5c1c4e
	v_fmaak_f32 v196, v190, v196, 0x3e088382
	;; [unrolled: 1-line block ×3, first 2 shown]
	v_mul_f32_e64 v196, |v24|, v196
	v_fma_f32 v200, v190, v196, |v24|
; %bb.113:                              ;   in Loop: Header=BB25_85 Depth=2
	s_or_b64 exec, exec, s[6:7]
	v_cmp_nlt_f32_e64 s[6:7], |v25|, s39
                                        ; implicit-def: $vgpr201
	s_and_saveexec_b64 s[68:69], s[6:7]
	s_xor_b64 s[6:7], exec, s[68:69]
	s_cbranch_execz .LBB25_115
; %bb.114:                              ;   in Loop: Header=BB25_85 Depth=2
	v_add_f32_e64 v190, |v25|, |v25|
	v_mul_f32_e32 v196, 0x3fb8aa3b, v190
	v_rndne_f32_e32 v197, v196
	v_sub_f32_e32 v199, v196, v197
	v_fma_f32 v196, v190, s61, -v196
	v_fmac_f32_e32 v196, 0x32a5705f, v190
	v_add_f32_e32 v196, v199, v196
	v_cvt_i32_f32_e32 v197, v197
	v_exp_f32_e32 v196, v196
	v_cmp_ngt_f32_e32 vcc, s30, v190
	v_ldexp_f32 v196, v196, v197
	s_nop 0
	v_cndmask_b32_e32 v196, 0, v196, vcc
	v_cmp_nlt_f32_e32 vcc, s47, v190
	s_nop 1
	v_cndmask_b32_e32 v190, v253, v196, vcc
	v_add_f32_e32 v190, 1.0, v190
	v_rcp_f32_e32 v190, v190
	s_nop 0
	v_fma_f32 v201, v190, -2.0, 1.0
.LBB25_115:                             ;   in Loop: Header=BB25_85 Depth=2
	s_andn2_saveexec_b64 s[6:7], s[6:7]
; %bb.116:                              ;   in Loop: Header=BB25_85 Depth=2
	v_mul_f32_e32 v190, v25, v25
	v_fmamk_f32 v196, v190, 0xbbbac73d, v252
	v_fmaak_f32 v196, v190, v196, 0xbd5c1c4e
	v_fmaak_f32 v196, v190, v196, 0x3e088382
	;; [unrolled: 1-line block ×3, first 2 shown]
	v_mul_f32_e64 v196, |v25|, v196
	v_fma_f32 v201, v190, v196, |v25|
; %bb.117:                              ;   in Loop: Header=BB25_85 Depth=2
	s_or_b64 exec, exec, s[6:7]
	v_cmp_nlt_f32_e64 s[6:7], |v26|, s39
                                        ; implicit-def: $vgpr202
	s_and_saveexec_b64 s[68:69], s[6:7]
	s_xor_b64 s[6:7], exec, s[68:69]
	s_cbranch_execz .LBB25_119
; %bb.118:                              ;   in Loop: Header=BB25_85 Depth=2
	v_add_f32_e64 v190, |v26|, |v26|
	v_mul_f32_e32 v196, 0x3fb8aa3b, v190
	v_rndne_f32_e32 v197, v196
	v_sub_f32_e32 v199, v196, v197
	v_fma_f32 v196, v190, s61, -v196
	v_fmac_f32_e32 v196, 0x32a5705f, v190
	v_add_f32_e32 v196, v199, v196
	v_cvt_i32_f32_e32 v197, v197
	v_exp_f32_e32 v196, v196
	v_cmp_ngt_f32_e32 vcc, s30, v190
	v_ldexp_f32 v196, v196, v197
	s_nop 0
	v_cndmask_b32_e32 v196, 0, v196, vcc
	v_cmp_nlt_f32_e32 vcc, s47, v190
	s_nop 1
	v_cndmask_b32_e32 v190, v253, v196, vcc
	v_add_f32_e32 v190, 1.0, v190
	v_rcp_f32_e32 v190, v190
	s_nop 0
	v_fma_f32 v202, v190, -2.0, 1.0
.LBB25_119:                             ;   in Loop: Header=BB25_85 Depth=2
	s_andn2_saveexec_b64 s[6:7], s[6:7]
; %bb.120:                              ;   in Loop: Header=BB25_85 Depth=2
	v_mul_f32_e32 v190, v26, v26
	v_fmamk_f32 v196, v190, 0xbbbac73d, v252
	v_fmaak_f32 v196, v190, v196, 0xbd5c1c4e
	v_fmaak_f32 v196, v190, v196, 0x3e088382
	v_fmaak_f32 v196, v190, v196, 0xbeaaaa99
	v_mul_f32_e64 v196, |v26|, v196
	v_fma_f32 v202, v190, v196, |v26|
; %bb.121:                              ;   in Loop: Header=BB25_85 Depth=2
	s_or_b64 exec, exec, s[6:7]
	v_cmp_nlt_f32_e64 s[6:7], |v27|, s39
                                        ; implicit-def: $vgpr203
	s_and_saveexec_b64 s[68:69], s[6:7]
	s_xor_b64 s[6:7], exec, s[68:69]
	s_cbranch_execz .LBB25_123
; %bb.122:                              ;   in Loop: Header=BB25_85 Depth=2
	v_add_f32_e64 v190, |v27|, |v27|
	v_mul_f32_e32 v196, 0x3fb8aa3b, v190
	v_rndne_f32_e32 v197, v196
	v_sub_f32_e32 v199, v196, v197
	v_fma_f32 v196, v190, s61, -v196
	v_fmac_f32_e32 v196, 0x32a5705f, v190
	v_add_f32_e32 v196, v199, v196
	v_cvt_i32_f32_e32 v197, v197
	v_exp_f32_e32 v196, v196
	v_cmp_ngt_f32_e32 vcc, s30, v190
	v_ldexp_f32 v196, v196, v197
	s_nop 0
	v_cndmask_b32_e32 v196, 0, v196, vcc
	v_cmp_nlt_f32_e32 vcc, s47, v190
	s_nop 1
	v_cndmask_b32_e32 v190, v253, v196, vcc
	v_add_f32_e32 v190, 1.0, v190
	v_rcp_f32_e32 v190, v190
	s_nop 0
	v_fma_f32 v203, v190, -2.0, 1.0
.LBB25_123:                             ;   in Loop: Header=BB25_85 Depth=2
	s_andn2_saveexec_b64 s[6:7], s[6:7]
; %bb.124:                              ;   in Loop: Header=BB25_85 Depth=2
	v_mul_f32_e32 v190, v27, v27
	v_fmamk_f32 v196, v190, 0xbbbac73d, v252
	v_fmaak_f32 v196, v190, v196, 0xbd5c1c4e
	v_fmaak_f32 v196, v190, v196, 0x3e088382
	;; [unrolled: 1-line block ×3, first 2 shown]
	v_mul_f32_e64 v196, |v27|, v196
	v_fma_f32 v203, v190, v196, |v27|
; %bb.125:                              ;   in Loop: Header=BB25_85 Depth=2
	s_or_b64 exec, exec, s[6:7]
	v_cmp_nlt_f32_e64 s[6:7], |v28|, s39
                                        ; implicit-def: $vgpr204
	s_and_saveexec_b64 s[68:69], s[6:7]
	s_xor_b64 s[6:7], exec, s[68:69]
	s_cbranch_execz .LBB25_127
; %bb.126:                              ;   in Loop: Header=BB25_85 Depth=2
	v_add_f32_e64 v190, |v28|, |v28|
	v_mul_f32_e32 v196, 0x3fb8aa3b, v190
	v_rndne_f32_e32 v197, v196
	v_sub_f32_e32 v199, v196, v197
	v_fma_f32 v196, v190, s61, -v196
	v_fmac_f32_e32 v196, 0x32a5705f, v190
	v_add_f32_e32 v196, v199, v196
	v_cvt_i32_f32_e32 v197, v197
	v_exp_f32_e32 v196, v196
	v_cmp_ngt_f32_e32 vcc, s30, v190
	v_ldexp_f32 v196, v196, v197
	s_nop 0
	v_cndmask_b32_e32 v196, 0, v196, vcc
	v_cmp_nlt_f32_e32 vcc, s47, v190
	s_nop 1
	v_cndmask_b32_e32 v190, v253, v196, vcc
	v_add_f32_e32 v190, 1.0, v190
	v_rcp_f32_e32 v190, v190
	s_nop 0
	v_fma_f32 v204, v190, -2.0, 1.0
.LBB25_127:                             ;   in Loop: Header=BB25_85 Depth=2
	s_andn2_saveexec_b64 s[6:7], s[6:7]
; %bb.128:                              ;   in Loop: Header=BB25_85 Depth=2
	v_mul_f32_e32 v190, v28, v28
	v_fmamk_f32 v196, v190, 0xbbbac73d, v252
	v_fmaak_f32 v196, v190, v196, 0xbd5c1c4e
	v_fmaak_f32 v196, v190, v196, 0x3e088382
	;; [unrolled: 1-line block ×3, first 2 shown]
	v_mul_f32_e64 v196, |v28|, v196
	v_fma_f32 v204, v190, v196, |v28|
; %bb.129:                              ;   in Loop: Header=BB25_85 Depth=2
	s_or_b64 exec, exec, s[6:7]
	v_cmp_nlt_f32_e64 s[6:7], |v29|, s39
                                        ; implicit-def: $vgpr206
	s_and_saveexec_b64 s[68:69], s[6:7]
	s_xor_b64 s[6:7], exec, s[68:69]
	s_cbranch_execz .LBB25_131
; %bb.130:                              ;   in Loop: Header=BB25_85 Depth=2
	v_add_f32_e64 v190, |v29|, |v29|
	v_mul_f32_e32 v196, 0x3fb8aa3b, v190
	v_rndne_f32_e32 v197, v196
	v_sub_f32_e32 v199, v196, v197
	v_fma_f32 v196, v190, s61, -v196
	v_fmac_f32_e32 v196, 0x32a5705f, v190
	v_add_f32_e32 v196, v199, v196
	v_cvt_i32_f32_e32 v197, v197
	v_exp_f32_e32 v196, v196
	v_cmp_ngt_f32_e32 vcc, s30, v190
	v_ldexp_f32 v196, v196, v197
	s_nop 0
	v_cndmask_b32_e32 v196, 0, v196, vcc
	v_cmp_nlt_f32_e32 vcc, s47, v190
	s_nop 1
	v_cndmask_b32_e32 v190, v253, v196, vcc
	v_add_f32_e32 v190, 1.0, v190
	v_rcp_f32_e32 v190, v190
	s_nop 0
	v_fma_f32 v206, v190, -2.0, 1.0
.LBB25_131:                             ;   in Loop: Header=BB25_85 Depth=2
	s_andn2_saveexec_b64 s[6:7], s[6:7]
; %bb.132:                              ;   in Loop: Header=BB25_85 Depth=2
	v_mul_f32_e32 v190, v29, v29
	v_fmamk_f32 v196, v190, 0xbbbac73d, v252
	v_fmaak_f32 v196, v190, v196, 0xbd5c1c4e
	v_fmaak_f32 v196, v190, v196, 0x3e088382
	;; [unrolled: 1-line block ×3, first 2 shown]
	v_mul_f32_e64 v196, |v29|, v196
	v_fma_f32 v206, v190, v196, |v29|
; %bb.133:                              ;   in Loop: Header=BB25_85 Depth=2
	s_or_b64 exec, exec, s[6:7]
	v_cmp_nlt_f32_e64 s[6:7], |v30|, s39
                                        ; implicit-def: $vgpr209
	s_and_saveexec_b64 s[68:69], s[6:7]
	s_xor_b64 s[6:7], exec, s[68:69]
	s_cbranch_execz .LBB25_135
; %bb.134:                              ;   in Loop: Header=BB25_85 Depth=2
	v_add_f32_e64 v190, |v30|, |v30|
	v_mul_f32_e32 v196, 0x3fb8aa3b, v190
	v_rndne_f32_e32 v197, v196
	v_sub_f32_e32 v199, v196, v197
	v_fma_f32 v196, v190, s61, -v196
	v_fmac_f32_e32 v196, 0x32a5705f, v190
	v_add_f32_e32 v196, v199, v196
	v_cvt_i32_f32_e32 v197, v197
	v_exp_f32_e32 v196, v196
	v_cmp_ngt_f32_e32 vcc, s30, v190
	v_ldexp_f32 v196, v196, v197
	s_nop 0
	v_cndmask_b32_e32 v196, 0, v196, vcc
	v_cmp_nlt_f32_e32 vcc, s47, v190
	s_nop 1
	v_cndmask_b32_e32 v190, v253, v196, vcc
	v_add_f32_e32 v190, 1.0, v190
	v_rcp_f32_e32 v190, v190
	s_nop 0
	v_fma_f32 v209, v190, -2.0, 1.0
.LBB25_135:                             ;   in Loop: Header=BB25_85 Depth=2
	s_andn2_saveexec_b64 s[6:7], s[6:7]
; %bb.136:                              ;   in Loop: Header=BB25_85 Depth=2
	v_mul_f32_e32 v190, v30, v30
	v_fmamk_f32 v196, v190, 0xbbbac73d, v252
	v_fmaak_f32 v196, v190, v196, 0xbd5c1c4e
	v_fmaak_f32 v196, v190, v196, 0x3e088382
	v_fmaak_f32 v196, v190, v196, 0xbeaaaa99
	v_mul_f32_e64 v196, |v30|, v196
	v_fma_f32 v209, v190, v196, |v30|
; %bb.137:                              ;   in Loop: Header=BB25_85 Depth=2
	s_or_b64 exec, exec, s[6:7]
	v_cmp_nlt_f32_e64 s[6:7], |v31|, s39
                                        ; implicit-def: $vgpr224
	s_and_saveexec_b64 s[68:69], s[6:7]
	s_xor_b64 s[6:7], exec, s[68:69]
	s_cbranch_execz .LBB25_139
; %bb.138:                              ;   in Loop: Header=BB25_85 Depth=2
	v_add_f32_e64 v190, |v31|, |v31|
	v_mul_f32_e32 v196, 0x3fb8aa3b, v190
	v_rndne_f32_e32 v197, v196
	v_sub_f32_e32 v199, v196, v197
	v_fma_f32 v196, v190, s61, -v196
	v_fmac_f32_e32 v196, 0x32a5705f, v190
	v_add_f32_e32 v196, v199, v196
	v_cvt_i32_f32_e32 v197, v197
	v_exp_f32_e32 v196, v196
	v_cmp_ngt_f32_e32 vcc, s30, v190
	v_ldexp_f32 v196, v196, v197
	s_nop 0
	v_cndmask_b32_e32 v196, 0, v196, vcc
	v_cmp_nlt_f32_e32 vcc, s47, v190
	s_nop 1
	v_cndmask_b32_e32 v190, v253, v196, vcc
	v_add_f32_e32 v190, 1.0, v190
	v_rcp_f32_e32 v190, v190
	s_nop 0
	v_fma_f32 v224, v190, -2.0, 1.0
.LBB25_139:                             ;   in Loop: Header=BB25_85 Depth=2
	s_andn2_saveexec_b64 s[6:7], s[6:7]
; %bb.140:                              ;   in Loop: Header=BB25_85 Depth=2
	v_mul_f32_e32 v190, v31, v31
	v_fmamk_f32 v196, v190, 0xbbbac73d, v252
	v_fmaak_f32 v196, v190, v196, 0xbd5c1c4e
	v_fmaak_f32 v196, v190, v196, 0x3e088382
	;; [unrolled: 1-line block ×3, first 2 shown]
	v_mul_f32_e64 v196, |v31|, v196
	v_fma_f32 v224, v190, v196, |v31|
; %bb.141:                              ;   in Loop: Header=BB25_85 Depth=2
	s_or_b64 exec, exec, s[6:7]
	v_cmp_nlt_f32_e64 s[6:7], |v32|, s39
                                        ; implicit-def: $vgpr225
	s_and_saveexec_b64 s[68:69], s[6:7]
	s_xor_b64 s[6:7], exec, s[68:69]
	s_cbranch_execz .LBB25_143
; %bb.142:                              ;   in Loop: Header=BB25_85 Depth=2
	v_add_f32_e64 v190, |v32|, |v32|
	v_mul_f32_e32 v196, 0x3fb8aa3b, v190
	v_rndne_f32_e32 v197, v196
	v_sub_f32_e32 v199, v196, v197
	v_fma_f32 v196, v190, s61, -v196
	v_fmac_f32_e32 v196, 0x32a5705f, v190
	v_add_f32_e32 v196, v199, v196
	v_cvt_i32_f32_e32 v197, v197
	v_exp_f32_e32 v196, v196
	v_cmp_ngt_f32_e32 vcc, s30, v190
	v_ldexp_f32 v196, v196, v197
	s_nop 0
	v_cndmask_b32_e32 v196, 0, v196, vcc
	v_cmp_nlt_f32_e32 vcc, s47, v190
	s_nop 1
	v_cndmask_b32_e32 v190, v253, v196, vcc
	v_add_f32_e32 v190, 1.0, v190
	v_rcp_f32_e32 v190, v190
	s_nop 0
	v_fma_f32 v225, v190, -2.0, 1.0
.LBB25_143:                             ;   in Loop: Header=BB25_85 Depth=2
	s_andn2_saveexec_b64 s[6:7], s[6:7]
; %bb.144:                              ;   in Loop: Header=BB25_85 Depth=2
	v_mul_f32_e32 v190, v32, v32
	v_fmamk_f32 v196, v190, 0xbbbac73d, v252
	v_fmaak_f32 v196, v190, v196, 0xbd5c1c4e
	v_fmaak_f32 v196, v190, v196, 0x3e088382
	;; [unrolled: 1-line block ×3, first 2 shown]
	v_mul_f32_e64 v196, |v32|, v196
	v_fma_f32 v225, v190, v196, |v32|
; %bb.145:                              ;   in Loop: Header=BB25_85 Depth=2
	s_or_b64 exec, exec, s[6:7]
	v_cmp_nlt_f32_e64 s[6:7], |v33|, s39
                                        ; implicit-def: $vgpr190
	s_and_saveexec_b64 s[68:69], s[6:7]
	s_xor_b64 s[6:7], exec, s[68:69]
	s_cbranch_execz .LBB25_147
; %bb.146:                              ;   in Loop: Header=BB25_85 Depth=2
	v_add_f32_e64 v190, |v33|, |v33|
	v_mul_f32_e32 v196, 0x3fb8aa3b, v190
	v_rndne_f32_e32 v197, v196
	v_sub_f32_e32 v199, v196, v197
	v_fma_f32 v196, v190, s61, -v196
	v_fmac_f32_e32 v196, 0x32a5705f, v190
	v_add_f32_e32 v196, v199, v196
	v_cvt_i32_f32_e32 v197, v197
	v_exp_f32_e32 v196, v196
	v_cmp_ngt_f32_e32 vcc, s30, v190
	v_ldexp_f32 v196, v196, v197
	s_nop 0
	v_cndmask_b32_e32 v196, 0, v196, vcc
	v_cmp_nlt_f32_e32 vcc, s47, v190
	s_nop 1
	v_cndmask_b32_e32 v190, v253, v196, vcc
	v_add_f32_e32 v190, 1.0, v190
	v_rcp_f32_e32 v190, v190
	s_nop 0
	v_fma_f32 v190, v190, -2.0, 1.0
.LBB25_147:                             ;   in Loop: Header=BB25_85 Depth=2
	s_andn2_saveexec_b64 s[6:7], s[6:7]
; %bb.148:                              ;   in Loop: Header=BB25_85 Depth=2
	v_mul_f32_e32 v190, v33, v33
	v_fmamk_f32 v196, v190, 0xbbbac73d, v252
	v_fmaak_f32 v196, v190, v196, 0xbd5c1c4e
	v_fmaak_f32 v196, v190, v196, 0x3e088382
	;; [unrolled: 1-line block ×3, first 2 shown]
	v_mul_f32_e64 v196, |v33|, v196
	v_fma_f32 v190, v190, v196, |v33|
; %bb.149:                              ;   in Loop: Header=BB25_85 Depth=2
	s_or_b64 exec, exec, s[6:7]
	v_bfi_b32 v196, s0, v209, v30
	ds_read_b32 v30, v176 offset:17408
	v_bfi_b32 v18, s0, v162, v18
	v_bfi_b32 v21, s0, v191, v21
	;; [unrolled: 1-line block ×4, first 2 shown]
	s_waitcnt lgkmcnt(0)
	v_fma_mix_f32 v162, s33, v18, v30 op_sel_hi:[0,0,1]
	ds_read_b32 v18, v177 offset:17408
	v_bfi_b32 v33, s0, v190, v33
	v_fma_mix_f32 v163, s33, v19, v30 op_sel:[0,0,1] op_sel_hi:[0,0,1]
	v_bfi_b32 v22, s0, v192, v22
	v_bfi_b32 v23, s0, v198, v23
	s_waitcnt lgkmcnt(0)
	v_fma_mix_f32 v172, s33, v20, v18 op_sel_hi:[0,0,1]
	v_fma_mix_f32 v190, s33, v21, v18 op_sel:[0,0,1] op_sel_hi:[0,0,1]
	v_add_u32_e32 v18, 0x4400, v233
	ds_read2_b32 v[18:19], v18 offset1:1
	v_bfi_b32 v25, s0, v201, v25
	v_bfi_b32 v24, s0, v200, v24
	;; [unrolled: 1-line block ×4, first 2 shown]
	s_waitcnt lgkmcnt(0)
	v_fma_mix_f32 v191, s33, v22, v18 op_sel_hi:[0,0,1]
	v_fma_mix_f32 v192, s33, v23, v18 op_sel:[0,0,1] op_sel_hi:[0,0,1]
	v_add_u32_e32 v18, 0x4400, v234
	v_fma_mix_f32 v197, s33, v24, v19 op_sel_hi:[0,0,1]
	v_fma_mix_f32 v198, s33, v25, v19 op_sel:[0,0,1] op_sel_hi:[0,0,1]
	ds_read2_b32 v[18:19], v18 offset1:1
	v_bfi_b32 v31, s0, v224, v31
	v_bfi_b32 v32, s0, v225, v32
	v_add_f32_e32 v24, 0x40051340, v190
	v_bfi_b32 v29, s0, v206, v29
	s_waitcnt lgkmcnt(0)
	v_fma_mix_f32 v199, s33, v26, v18 op_sel_hi:[0,0,1]
	v_fma_mix_f32 v30, s33, v27, v18 op_sel:[0,0,1] op_sel_hi:[0,0,1]
	v_add_u32_e32 v18, 0x4400, v235
	ds_read2_b32 v[22:23], v18 offset1:1
	v_bfi_b32 v28, s0, v204, v28
	v_fma_mix_f32 v27, s33, v28, v19 op_sel_hi:[0,0,1]
	v_fma_mix_f32 v19, s33, v29, v19 op_sel:[0,0,1] op_sel_hi:[0,0,1]
	s_mul_hi_i32 s7, s4, s26
	s_waitcnt lgkmcnt(0)
	v_fma_mix_f32 v26, s33, v196, v22 op_sel_hi:[0,0,1]
	v_fma_mix_f32 v21, s33, v31, v22 op_sel:[0,0,1] op_sel_hi:[0,0,1]
	v_fma_mix_f32 v20, s33, v32, v23 op_sel_hi:[0,0,1]
	v_fma_mix_f32 v18, s33, v33, v23 op_sel:[0,0,1] op_sel_hi:[0,0,1]
	v_add_f32_e32 v22, 0x40051340, v162
	v_add_f32_e32 v23, 0x40051340, v163
	v_max3_f32 v22, v161, v22, v23
	v_add_f32_e32 v23, 0x40051340, v172
	v_max3_f32 v22, v22, v23, v24
	v_add_f32_e32 v23, 0x40051340, v191
	v_add_f32_e32 v24, 0x40051340, v192
	v_max3_f32 v22, v22, v23, v24
	v_add_f32_e32 v23, 0x40051340, v197
	;; [unrolled: 3-line block ×6, first 2 shown]
	v_add_f32_e32 v24, 0x40051340, v18
	v_max3_f32 v22, v22, v23, v24
	ds_bpermute_b32 v23, v205, v22
	s_mul_i32 s6, s4, s26
	s_lshl_b64 s[6:7], s[6:7], 2
	s_add_i32 s52, s52, 1
	s_add_i32 s4, s4, 64
	s_waitcnt lgkmcnt(0)
	v_max_f32_e32 v23, v23, v23
	v_max_f32_e32 v22, v22, v23
	ds_bpermute_b32 v23, v208, v22
	s_cmp_lt_i32 s52, s53
	s_waitcnt lgkmcnt(0)
	v_max_f32_e32 v23, v23, v23
	v_max_f32_e32 v209, v22, v23
	v_sub_f32_e32 v22, v162, v209
	v_mul_f32_e32 v23, 0x3fb8aa3b, v22
	v_fma_f32 v24, v22, s61, -v23
	v_rndne_f32_e32 v25, v23
	v_fmac_f32_e32 v24, 0x32a5705f, v22
	v_sub_f32_e32 v23, v23, v25
	v_add_f32_e32 v23, v23, v24
	v_exp_f32_e32 v23, v23
	v_cvt_i32_f32_e32 v24, v25
	v_cmp_ngt_f32_e32 vcc, s30, v22
	v_sub_f32_e32 v30, v30, v209
	v_sub_f32_e32 v27, v27, v209
	v_ldexp_f32 v23, v23, v24
	v_cndmask_b32_e32 v23, 0, v23, vcc
	v_cmp_nlt_f32_e32 vcc, s47, v22
	v_sub_f32_e32 v19, v19, v209
	v_sub_f32_e32 v26, v26, v209
	v_cndmask_b32_e32 v22, v253, v23, vcc
	v_sub_f32_e32 v23, v163, v209
	v_mul_f32_e32 v24, 0x3fb8aa3b, v23
	v_fma_f32 v25, v23, s61, -v24
	v_rndne_f32_e32 v28, v24
	v_fmac_f32_e32 v25, 0x32a5705f, v23
	v_sub_f32_e32 v24, v24, v28
	v_add_f32_e32 v24, v24, v25
	v_exp_f32_e32 v24, v24
	v_cvt_i32_f32_e32 v25, v28
	v_cmp_ngt_f32_e32 vcc, s30, v23
	v_sub_f32_e32 v21, v21, v209
	v_sub_f32_e32 v20, v20, v209
	v_ldexp_f32 v24, v24, v25
	v_cndmask_b32_e32 v24, 0, v24, vcc
	v_cmp_nlt_f32_e32 vcc, s47, v23
	v_sub_f32_e32 v18, v18, v209
	s_nop 0
	v_cndmask_b32_e32 v23, v253, v24, vcc
	v_sub_f32_e32 v24, v172, v209
	v_mul_f32_e32 v28, 0x3fb8aa3b, v24
	v_fma_f32 v29, v24, s61, -v28
	v_rndne_f32_e32 v31, v28
	v_fmac_f32_e32 v29, 0x32a5705f, v24
	v_sub_f32_e32 v28, v28, v31
	v_add_f32_e32 v28, v28, v29
	v_exp_f32_e32 v28, v28
	v_cvt_i32_f32_e32 v29, v31
	v_cmp_ngt_f32_e32 vcc, s30, v24
	v_add_f32_e32 v25, v22, v23
	v_ldexp_f32 v28, v28, v29
	v_cndmask_b32_e32 v28, 0, v28, vcc
	v_cmp_nlt_f32_e32 vcc, s47, v24
	s_nop 1
	v_cndmask_b32_e32 v24, v253, v28, vcc
	v_add_f32_e32 v28, v24, v25
	v_sub_f32_e32 v25, v190, v209
	v_mul_f32_e32 v29, 0x3fb8aa3b, v25
	v_fma_f32 v31, v25, s61, -v29
	v_rndne_f32_e32 v32, v29
	v_fmac_f32_e32 v31, 0x32a5705f, v25
	v_sub_f32_e32 v29, v29, v32
	v_add_f32_e32 v29, v29, v31
	v_exp_f32_e32 v29, v29
	v_cvt_i32_f32_e32 v31, v32
	v_cmp_ngt_f32_e32 vcc, s30, v25
	v_ldexp_f32 v29, v29, v31
	s_nop 0
	v_cndmask_b32_e32 v29, 0, v29, vcc
	v_cmp_nlt_f32_e32 vcc, s47, v25
	s_nop 1
	v_cndmask_b32_e32 v25, v253, v29, vcc
	v_add_f32_e32 v29, v25, v28
	v_sub_f32_e32 v28, v191, v209
	v_mul_f32_e32 v31, 0x3fb8aa3b, v28
	v_fma_f32 v32, v28, s61, -v31
	v_rndne_f32_e32 v33, v31
	v_fmac_f32_e32 v32, 0x32a5705f, v28
	v_sub_f32_e32 v31, v31, v33
	v_add_f32_e32 v31, v31, v32
	v_exp_f32_e32 v31, v31
	v_cvt_i32_f32_e32 v32, v33
	v_cmp_ngt_f32_e32 vcc, s30, v28
	v_ldexp_f32 v31, v31, v32
	s_nop 0
	;; [unrolled: 17-line block ×3, first 2 shown]
	v_cndmask_b32_e32 v32, 0, v32, vcc
	v_cmp_nlt_f32_e32 vcc, s47, v29
	s_nop 1
	v_cndmask_b32_e32 v29, v253, v32, vcc
	v_sub_f32_e32 v32, v197, v209
	v_mul_f32_e32 v33, 0x3fb8aa3b, v32
	v_fma_f32 v162, v32, s61, -v33
	v_rndne_f32_e32 v163, v33
	v_fmac_f32_e32 v162, 0x32a5705f, v32
	v_sub_f32_e32 v33, v33, v163
	v_add_f32_e32 v33, v33, v162
	v_exp_f32_e32 v33, v33
	v_cvt_i32_f32_e32 v162, v163
	v_cmp_ngt_f32_e32 vcc, s30, v32
	v_add_f32_e32 v31, v29, v31
	v_ldexp_f32 v33, v33, v162
	v_cndmask_b32_e32 v33, 0, v33, vcc
	v_cmp_nlt_f32_e32 vcc, s47, v32
	s_nop 1
	v_cndmask_b32_e32 v32, v253, v33, vcc
	v_sub_f32_e32 v33, v198, v209
	v_mul_f32_e32 v162, 0x3fb8aa3b, v33
	v_fma_f32 v163, v33, s61, -v162
	v_rndne_f32_e32 v172, v162
	v_fmac_f32_e32 v163, 0x32a5705f, v33
	v_sub_f32_e32 v162, v162, v172
	v_add_f32_e32 v162, v162, v163
	v_exp_f32_e32 v162, v162
	v_cvt_i32_f32_e32 v163, v172
	v_cmp_ngt_f32_e32 vcc, s30, v33
	v_add_f32_e32 v31, v32, v31
	v_ldexp_f32 v162, v162, v163
	v_cndmask_b32_e32 v162, 0, v162, vcc
	v_cmp_nlt_f32_e32 vcc, s47, v33
	v_sub_f32_e32 v33, v199, v209
	s_nop 0
	v_cndmask_b32_e32 v204, v253, v162, vcc
	v_mul_f32_e32 v162, 0x3fb8aa3b, v33
	v_fma_f32 v163, v33, s61, -v162
	v_rndne_f32_e32 v172, v162
	v_fmac_f32_e32 v163, 0x32a5705f, v33
	v_sub_f32_e32 v162, v162, v172
	v_add_f32_e32 v162, v162, v163
	v_exp_f32_e32 v162, v162
	v_cvt_i32_f32_e32 v163, v172
	v_cmp_ngt_f32_e32 vcc, s30, v33
	v_add_f32_e32 v31, v204, v31
	v_ldexp_f32 v162, v162, v163
	v_cndmask_b32_e32 v162, 0, v162, vcc
	v_cmp_nlt_f32_e32 vcc, s47, v33
	v_mul_f32_e32 v33, 0x3fb8aa3b, v30
	v_rndne_f32_e32 v163, v33
	v_cndmask_b32_e32 v200, v253, v162, vcc
	v_fma_f32 v162, v30, s61, -v33
	v_fmac_f32_e32 v162, 0x32a5705f, v30
	v_sub_f32_e32 v33, v33, v163
	v_add_f32_e32 v33, v33, v162
	v_exp_f32_e32 v33, v33
	v_cvt_i32_f32_e32 v162, v163
	v_cmp_ngt_f32_e32 vcc, s30, v30
	v_add_f32_e32 v31, v200, v31
	v_cvt_pk_f16_f32 v163, v24, v25
	v_ldexp_f32 v33, v33, v162
	v_cndmask_b32_e32 v33, 0, v33, vcc
	v_cmp_nlt_f32_e32 vcc, s47, v30
	s_nop 1
	v_cndmask_b32_e32 v202, v253, v33, vcc
	v_add_f32_e32 v30, v202, v31
	v_mul_f32_e32 v31, 0x3fb8aa3b, v27
	v_fma_f32 v33, v27, s61, -v31
	v_rndne_f32_e32 v162, v31
	v_fmac_f32_e32 v33, 0x32a5705f, v27
	v_sub_f32_e32 v31, v31, v162
	v_add_f32_e32 v31, v31, v33
	v_exp_f32_e32 v31, v31
	v_cvt_i32_f32_e32 v33, v162
	v_cmp_ngt_f32_e32 vcc, s30, v27
	v_cvt_pk_f16_f32 v162, v22, v23
	v_ldexp_f32 v31, v31, v33
	v_cndmask_b32_e32 v31, 0, v31, vcc
	v_cmp_nlt_f32_e32 vcc, s47, v27
	s_nop 1
	v_cndmask_b32_e32 v224, v253, v31, vcc
	v_add_f32_e32 v27, v224, v30
	v_mul_f32_e32 v30, 0x3fb8aa3b, v19
	v_fma_f32 v31, v19, s61, -v30
	v_rndne_f32_e32 v33, v30
	v_fmac_f32_e32 v31, 0x32a5705f, v19
	v_sub_f32_e32 v30, v30, v33
	v_add_f32_e32 v30, v30, v31
	v_exp_f32_e32 v30, v30
	v_cvt_i32_f32_e32 v31, v33
	v_cmp_ngt_f32_e32 vcc, s30, v19
	v_ldexp_f32 v30, v30, v31
	s_nop 0
	v_cndmask_b32_e32 v30, 0, v30, vcc
	v_cmp_nlt_f32_e32 vcc, s47, v19
	s_nop 1
	v_cndmask_b32_e32 v201, v253, v30, vcc
	v_add_f32_e32 v19, v201, v27
	v_mul_f32_e32 v27, 0x3fb8aa3b, v26
	v_fma_f32 v30, v26, s61, -v27
	v_rndne_f32_e32 v31, v27
	v_fmac_f32_e32 v30, 0x32a5705f, v26
	v_sub_f32_e32 v27, v27, v31
	v_add_f32_e32 v27, v27, v30
	v_exp_f32_e32 v27, v27
	v_cvt_i32_f32_e32 v30, v31
	v_cmp_ngt_f32_e32 vcc, s30, v26
	v_ldexp_f32 v27, v27, v30
	s_nop 0
	v_cndmask_b32_e32 v27, 0, v27, vcc
	v_cmp_nlt_f32_e32 vcc, s47, v26
	v_mul_f32_e32 v26, 0x3fb8aa3b, v21
	v_rndne_f32_e32 v30, v26
	v_cndmask_b32_e32 v198, v253, v27, vcc
	v_fma_f32 v27, v21, s61, -v26
	v_fmac_f32_e32 v27, 0x32a5705f, v21
	v_sub_f32_e32 v26, v26, v30
	v_add_f32_e32 v26, v26, v27
	v_exp_f32_e32 v26, v26
	v_cvt_i32_f32_e32 v27, v30
	v_cmp_ngt_f32_e32 vcc, s30, v21
	v_add_f32_e32 v19, v198, v19
	v_ldexp_f32 v26, v26, v27
	v_cndmask_b32_e32 v26, 0, v26, vcc
	v_cmp_nlt_f32_e32 vcc, s47, v21
	v_mul_f32_e32 v21, 0x3fb8aa3b, v20
	v_rndne_f32_e32 v27, v21
	v_cndmask_b32_e32 v192, v253, v26, vcc
	v_fma_f32 v26, v20, s61, -v21
	v_fmac_f32_e32 v26, 0x32a5705f, v20
	v_sub_f32_e32 v21, v21, v27
	v_add_f32_e32 v21, v21, v26
	v_exp_f32_e32 v21, v21
	v_cvt_i32_f32_e32 v26, v27
	v_cmp_ngt_f32_e32 vcc, s30, v20
	v_add_f32_e32 v19, v192, v19
	v_ldexp_f32 v21, v21, v26
	;; [unrolled: 14-line block ×3, first 2 shown]
	v_cndmask_b32_e32 v20, 0, v20, vcc
	v_cmp_nlt_f32_e32 vcc, s47, v18
	v_sub_f32_e32 v18, v161, v209
	v_cvt_pk_f16_f32 v161, v32, v204
	v_cndmask_b32_e32 v172, v253, v20, vcc
	v_add_f32_e32 v225, v172, v19
	v_mul_f32_e32 v19, 0x3fb8aa3b, v18
	v_fma_f32 v20, v18, s61, -v19
	v_rndne_f32_e32 v21, v19
	v_fmac_f32_e32 v20, 0x32a5705f, v18
	v_sub_f32_e32 v19, v19, v21
	v_add_f32_e32 v19, v19, v20
	v_exp_f32_e32 v19, v19
	v_cvt_i32_f32_e32 v20, v21
	v_cmp_ngt_f32_e32 vcc, s30, v18
	v_ldexp_f32 v19, v19, v20
	s_nop 0
	v_cndmask_b32_e32 v19, 0, v19, vcc
	v_cmp_nlt_f32_e32 vcc, s47, v18
	s_nop 1
	v_cndmask_b32_e32 v19, v253, v19, vcc
	v_cmp_le_f32_e32 vcc, s1, v18
	s_nop 1
	v_cndmask_b32_e32 v18, 0, v19, vcc
	v_fmac_f32_e32 v225, v160, v18
	v_cvt_f16_f32_e32 v18, v18
	v_cvt_pk_f16_f32 v160, v28, v29
	v_mul_u32_u24_e32 v18, 0x10001, v18
	v_pk_mul_f16 v159, v159, v18
	v_pk_mul_f16 v158, v158, v18
	;; [unrolled: 1-line block ×16, first 2 shown]
	v_lshl_add_u64 v[18:19], v[134:135], 0, s[6:7]
	v_lshl_add_u64 v[20:21], v[64:65], 2, v[18:19]
	;; [unrolled: 1-line block ×7, first 2 shown]
	global_load_dwordx4 v[18:21], v[20:21], off
	v_lshl_add_u64 v[36:37], v[36:37], 0, v[52:53]
	v_lshl_add_u64 v[40:41], v[40:41], 0, v[52:53]
	v_cvt_f32_f16_sdwa v199, v27 dst_sel:DWORD dst_unused:UNUSED_PAD src0_sel:WORD_1
	s_waitcnt vmcnt(0)
	ds_write_b128 v77, v[18:21]
	global_load_dwordx4 v[18:21], v[36:37], off
	s_waitcnt vmcnt(0)
	ds_write_b128 v230, v[18:21]
	global_load_dwordx4 v[18:21], v[40:41], off
	;; [unrolled: 3-line block ×3, first 2 shown]
	v_cvt_pk_f16_f32 v157, v191, v172
	v_cvt_pk_f16_f32 v156, v198, v192
	v_cvt_f32_f16_e32 v198, v27
	s_waitcnt vmcnt(0)
	ds_write_b128 v232, v[18:21]
	s_waitcnt lgkmcnt(0)
	s_barrier
	ds_read_u16 v36, v178 offset:272
	ds_read_u16 v37, v178 offset:544
	ds_read_u16 v40, v179
	ds_read_u16 v41, v179 offset:32
	v_cvt_f32_f16_e32 v18, v159
	v_cvt_f32_f16_sdwa v19, v159 dst_sel:DWORD dst_unused:UNUSED_PAD src0_sel:WORD_1
	v_cvt_f32_f16_e32 v20, v158
	s_waitcnt lgkmcnt(1)
	v_perm_b32 v37, v40, v37, s63
	ds_read_u16 v40, v178
	ds_read_u16 v44, v178 offset:32
	v_cvt_f32_f16_sdwa v21, v158 dst_sel:DWORD dst_unused:UNUSED_PAD src0_sel:WORD_1
	ds_read_u16 v22, v178 offset:4352
	ds_read_u16 v24, v178 offset:4624
	;; [unrolled: 1-line block ×4, first 2 shown]
	v_cvt_pk_f16_f32 v159, v224, v201
	s_waitcnt lgkmcnt(5)
	v_perm_b32 v36, v36, v40, s63
	s_waitcnt lgkmcnt(2)
	v_perm_b32 v22, v24, v22, s63
	v_cvt_pk_f16_f32 v158, v200, v202
	v_mfma_f32_16x16x16_f16 v[18:21], v[36:37], v[162:163], v[18:21]
	s_waitcnt lgkmcnt(0)
	v_perm_b32 v23, v25, v23, s63
	v_cvt_f32_f16_e32 v200, v26
	v_cvt_f32_f16_sdwa v201, v26 dst_sel:DWORD dst_unused:UNUSED_PAD src0_sel:WORD_1
	s_nop 3
	v_cvt_f16_f32_e32 v18, v18
	v_cvt_f16_f32_e32 v19, v19
	;; [unrolled: 1-line block ×4, first 2 shown]
	v_cvt_f32_f16_e32 v18, v18
	v_cvt_f32_f16_e32 v19, v19
	;; [unrolled: 1-line block ×4, first 2 shown]
	s_nop 1
	v_mfma_f32_16x16x16_f16 v[18:21], v[22:23], v[160:161], v[18:21]
	ds_read_u16 v22, v178 offset:8704
	ds_read_u16 v24, v178 offset:8976
	;; [unrolled: 1-line block ×4, first 2 shown]
	s_nop 3
	v_cvt_f16_f32_e32 v18, v18
	v_cvt_f16_f32_e32 v19, v19
	;; [unrolled: 1-line block ×4, first 2 shown]
	s_waitcnt lgkmcnt(0)
	v_perm_b32 v23, v25, v23, s63
	v_perm_b32 v22, v24, v22, s63
	v_cvt_f32_f16_e32 v18, v18
	v_cvt_f32_f16_e32 v19, v19
	v_cvt_f32_f16_e32 v20, v20
	v_cvt_f32_f16_e32 v21, v21
	s_nop 1
	v_mfma_f32_16x16x16_f16 v[18:21], v[22:23], v[158:159], v[18:21]
	ds_read_u16 v22, v178 offset:13056
	ds_read_u16 v24, v178 offset:13328
	;; [unrolled: 1-line block ×6, first 2 shown]
	s_nop 1
	v_cvt_f16_f32_e32 v18, v18
	v_cvt_f16_f32_e32 v19, v19
	;; [unrolled: 1-line block ×4, first 2 shown]
	s_waitcnt lgkmcnt(2)
	v_perm_b32 v23, v25, v23, s63
	v_perm_b32 v22, v24, v22, s63
	v_cvt_f32_f16_e32 v18, v18
	v_cvt_f32_f16_e32 v19, v19
	;; [unrolled: 1-line block ×4, first 2 shown]
	s_waitcnt lgkmcnt(0)
	v_perm_b32 v29, v41, v29, s63
	v_perm_b32 v28, v28, v44, s63
	v_mfma_f32_16x16x16_f16 v[18:21], v[22:23], v[156:157], v[18:21]
	v_cvt_f32_f16_e32 v22, v45
	v_cvt_f32_f16_sdwa v23, v45 dst_sel:DWORD dst_unused:UNUSED_PAD src0_sel:WORD_1
	v_cvt_f32_f16_e32 v24, v33
	v_cvt_f32_f16_sdwa v25, v33 dst_sel:DWORD dst_unused:UNUSED_PAD src0_sel:WORD_1
	s_nop 1
	v_mfma_f32_16x16x16_f16 v[22:25], v[28:29], v[162:163], v[22:25]
	ds_read_u16 v28, v178 offset:4384
	ds_read_u16 v32, v178 offset:4656
	ds_read_u16 v29, v178 offset:4928
	ds_read_u16 v33, v179 offset:4384
	s_nop 3
	v_cvt_f16_f32_e32 v22, v22
	v_cvt_f16_f32_e32 v23, v23
	v_cvt_f16_f32_e32 v24, v24
	v_cvt_f16_f32_e32 v25, v25
	s_waitcnt lgkmcnt(0)
	v_perm_b32 v29, v33, v29, s63
	v_perm_b32 v28, v32, v28, s63
	v_cvt_f32_f16_e32 v22, v22
	v_cvt_f32_f16_e32 v23, v23
	v_cvt_f32_f16_e32 v24, v24
	v_cvt_f32_f16_e32 v25, v25
	s_nop 1
	v_mfma_f32_16x16x16_f16 v[22:25], v[28:29], v[160:161], v[22:25]
	ds_read_u16 v28, v178 offset:8736
	ds_read_u16 v32, v178 offset:9008
	ds_read_u16 v29, v178 offset:9280
	ds_read_u16 v33, v179 offset:8736
	s_nop 3
	v_cvt_f16_f32_e32 v22, v22
	v_cvt_f16_f32_e32 v23, v23
	v_cvt_f16_f32_e32 v24, v24
	v_cvt_f16_f32_e32 v25, v25
	s_waitcnt lgkmcnt(0)
	v_perm_b32 v29, v33, v29, s63
	v_perm_b32 v28, v32, v28, s63
	v_cvt_f32_f16_e32 v22, v22
	v_cvt_f32_f16_e32 v23, v23
	v_cvt_f32_f16_e32 v24, v24
	v_cvt_f32_f16_e32 v25, v25
	;; [unrolled: 18-line block ×3, first 2 shown]
	s_nop 1
	v_mfma_f32_16x16x16_f16 v[22:25], v[28:29], v[156:157], v[22:25]
	ds_read_u16 v28, v178 offset:64
	ds_read_u16 v29, v178 offset:336
	ds_read_u16 v32, v178 offset:608
	ds_read_u16 v33, v179 offset:64
	s_waitcnt lgkmcnt(2)
	v_perm_b32 v26, v29, v28, s63
	s_waitcnt lgkmcnt(0)
	v_perm_b32 v27, v33, v32, s63
	ds_read_u16 v32, v178 offset:4416
	ds_read_u16 v36, v178 offset:4688
	;; [unrolled: 1-line block ×4, first 2 shown]
	v_mfma_f32_16x16x16_f16 v[26:29], v[26:27], v[162:163], v[198:201]
	s_waitcnt lgkmcnt(0)
	v_perm_b32 v33, v37, v33, s63
	v_perm_b32 v32, v36, v32, s63
	v_cvt_f32_f16_e32 v198, v31
	s_nop 3
	v_cvt_f16_f32_e32 v26, v26
	v_cvt_f16_f32_e32 v27, v27
	;; [unrolled: 1-line block ×4, first 2 shown]
	v_cvt_f32_f16_e32 v26, v26
	v_cvt_f32_f16_e32 v27, v27
	;; [unrolled: 1-line block ×4, first 2 shown]
	v_cvt_f32_f16_sdwa v199, v31 dst_sel:DWORD dst_unused:UNUSED_PAD src0_sel:WORD_1
	v_cvt_f32_f16_e32 v200, v30
	v_mfma_f32_16x16x16_f16 v[26:29], v[32:33], v[160:161], v[26:29]
	ds_read_u16 v32, v178 offset:8768
	ds_read_u16 v36, v178 offset:9040
	;; [unrolled: 1-line block ×4, first 2 shown]
	v_cvt_f32_f16_sdwa v201, v30 dst_sel:DWORD dst_unused:UNUSED_PAD src0_sel:WORD_1
	s_nop 2
	v_cvt_f16_f32_e32 v26, v26
	v_cvt_f16_f32_e32 v27, v27
	;; [unrolled: 1-line block ×4, first 2 shown]
	s_waitcnt lgkmcnt(0)
	v_perm_b32 v33, v37, v33, s63
	v_perm_b32 v32, v36, v32, s63
	v_cvt_f32_f16_e32 v26, v26
	v_cvt_f32_f16_e32 v27, v27
	;; [unrolled: 1-line block ×4, first 2 shown]
	s_nop 1
	v_mfma_f32_16x16x16_f16 v[26:29], v[32:33], v[158:159], v[26:29]
	ds_read_u16 v32, v178 offset:13120
	ds_read_u16 v36, v178 offset:13392
	ds_read_u16 v33, v178 offset:13664
	ds_read_u16 v37, v179 offset:13120
	s_nop 3
	v_cvt_f16_f32_e32 v26, v26
	v_cvt_f16_f32_e32 v27, v27
	;; [unrolled: 1-line block ×4, first 2 shown]
	s_waitcnt lgkmcnt(0)
	v_perm_b32 v33, v37, v33, s63
	v_perm_b32 v32, v36, v32, s63
	v_cvt_f32_f16_e32 v26, v26
	v_cvt_f32_f16_e32 v27, v27
	;; [unrolled: 1-line block ×4, first 2 shown]
	s_nop 1
	v_mfma_f32_16x16x16_f16 v[26:29], v[32:33], v[156:157], v[26:29]
	ds_read_u16 v32, v178 offset:96
	ds_read_u16 v33, v178 offset:368
	;; [unrolled: 1-line block ×4, first 2 shown]
	s_waitcnt lgkmcnt(2)
	v_perm_b32 v30, v33, v32, s63
	s_waitcnt lgkmcnt(0)
	v_perm_b32 v31, v37, v36, s63
	ds_read_u16 v36, v178 offset:4448
	ds_read_u16 v40, v178 offset:4720
	;; [unrolled: 1-line block ×4, first 2 shown]
	v_mfma_f32_16x16x16_f16 v[30:33], v[30:31], v[162:163], v[198:201]
	s_waitcnt lgkmcnt(0)
	v_perm_b32 v37, v41, v37, s63
	v_perm_b32 v36, v40, v36, s63
	v_cvt_f32_f16_e32 v198, v35
	s_nop 3
	v_cvt_f16_f32_e32 v30, v30
	v_cvt_f16_f32_e32 v31, v31
	;; [unrolled: 1-line block ×4, first 2 shown]
	v_cvt_f32_f16_e32 v30, v30
	v_cvt_f32_f16_e32 v31, v31
	v_cvt_f32_f16_e32 v32, v32
	v_cvt_f32_f16_e32 v33, v33
	v_cvt_f32_f16_sdwa v199, v35 dst_sel:DWORD dst_unused:UNUSED_PAD src0_sel:WORD_1
	v_cvt_f32_f16_e32 v200, v34
	v_mfma_f32_16x16x16_f16 v[30:33], v[36:37], v[160:161], v[30:33]
	ds_read_u16 v36, v178 offset:8800
	ds_read_u16 v40, v178 offset:9072
	;; [unrolled: 1-line block ×4, first 2 shown]
	v_cvt_f32_f16_sdwa v201, v34 dst_sel:DWORD dst_unused:UNUSED_PAD src0_sel:WORD_1
	s_nop 2
	v_cvt_f16_f32_e32 v30, v30
	v_cvt_f16_f32_e32 v31, v31
	;; [unrolled: 1-line block ×4, first 2 shown]
	s_waitcnt lgkmcnt(0)
	v_perm_b32 v37, v41, v37, s63
	v_perm_b32 v36, v40, v36, s63
	v_cvt_f32_f16_e32 v30, v30
	v_cvt_f32_f16_e32 v31, v31
	;; [unrolled: 1-line block ×4, first 2 shown]
	s_nop 1
	v_mfma_f32_16x16x16_f16 v[30:33], v[36:37], v[158:159], v[30:33]
	ds_read_u16 v36, v178 offset:13152
	ds_read_u16 v40, v178 offset:13424
	;; [unrolled: 1-line block ×4, first 2 shown]
	s_nop 3
	v_cvt_f16_f32_e32 v30, v30
	v_cvt_f16_f32_e32 v31, v31
	;; [unrolled: 1-line block ×4, first 2 shown]
	s_waitcnt lgkmcnt(0)
	v_perm_b32 v37, v41, v37, s63
	v_perm_b32 v36, v40, v36, s63
	v_cvt_f32_f16_e32 v30, v30
	v_cvt_f32_f16_e32 v31, v31
	v_cvt_f32_f16_e32 v32, v32
	v_cvt_f32_f16_e32 v33, v33
	s_nop 1
	v_mfma_f32_16x16x16_f16 v[30:33], v[36:37], v[156:157], v[30:33]
	ds_read_u16 v36, v178 offset:128
	ds_read_u16 v37, v178 offset:400
	;; [unrolled: 1-line block ×4, first 2 shown]
	s_waitcnt lgkmcnt(2)
	v_perm_b32 v34, v37, v36, s63
	s_waitcnt lgkmcnt(0)
	v_perm_b32 v35, v41, v40, s63
	ds_read_u16 v40, v178 offset:4480
	ds_read_u16 v44, v178 offset:4752
	;; [unrolled: 1-line block ×4, first 2 shown]
	v_mfma_f32_16x16x16_f16 v[34:37], v[34:35], v[162:163], v[198:201]
	s_waitcnt lgkmcnt(0)
	v_perm_b32 v41, v45, v41, s63
	v_perm_b32 v40, v44, v40, s63
	v_cvt_f32_f16_e32 v198, v39
	s_nop 3
	v_cvt_f16_f32_e32 v34, v34
	v_cvt_f16_f32_e32 v35, v35
	;; [unrolled: 1-line block ×4, first 2 shown]
	v_cvt_f32_f16_e32 v34, v34
	v_cvt_f32_f16_e32 v35, v35
	;; [unrolled: 1-line block ×4, first 2 shown]
	v_cvt_f32_f16_sdwa v199, v39 dst_sel:DWORD dst_unused:UNUSED_PAD src0_sel:WORD_1
	v_cvt_f32_f16_e32 v200, v38
	v_mfma_f32_16x16x16_f16 v[34:37], v[40:41], v[160:161], v[34:37]
	ds_read_u16 v40, v178 offset:8832
	ds_read_u16 v44, v178 offset:9104
	;; [unrolled: 1-line block ×4, first 2 shown]
	v_cvt_f32_f16_sdwa v201, v38 dst_sel:DWORD dst_unused:UNUSED_PAD src0_sel:WORD_1
	s_nop 2
	v_cvt_f16_f32_e32 v34, v34
	v_cvt_f16_f32_e32 v35, v35
	;; [unrolled: 1-line block ×4, first 2 shown]
	s_waitcnt lgkmcnt(0)
	v_perm_b32 v41, v45, v41, s63
	v_perm_b32 v40, v44, v40, s63
	v_cvt_f32_f16_e32 v34, v34
	v_cvt_f32_f16_e32 v35, v35
	;; [unrolled: 1-line block ×4, first 2 shown]
	s_nop 1
	v_mfma_f32_16x16x16_f16 v[34:37], v[40:41], v[158:159], v[34:37]
	ds_read_u16 v40, v178 offset:13184
	ds_read_u16 v44, v178 offset:13456
	ds_read_u16 v41, v178 offset:13728
	ds_read_u16 v45, v179 offset:13184
	s_nop 3
	v_cvt_f16_f32_e32 v34, v34
	v_cvt_f16_f32_e32 v35, v35
	;; [unrolled: 1-line block ×4, first 2 shown]
	s_waitcnt lgkmcnt(0)
	v_perm_b32 v41, v45, v41, s63
	v_perm_b32 v40, v44, v40, s63
	v_cvt_f32_f16_e32 v34, v34
	v_cvt_f32_f16_e32 v35, v35
	;; [unrolled: 1-line block ×4, first 2 shown]
	s_nop 1
	v_mfma_f32_16x16x16_f16 v[34:37], v[40:41], v[156:157], v[34:37]
	ds_read_u16 v40, v178 offset:160
	ds_read_u16 v41, v178 offset:432
	;; [unrolled: 1-line block ×4, first 2 shown]
	s_waitcnt lgkmcnt(2)
	v_perm_b32 v38, v41, v40, s63
	s_nop 1
	v_cvt_pk_f16_f32 v35, v34, v35
	s_waitcnt lgkmcnt(0)
	v_perm_b32 v39, v45, v44, s63
	ds_read_u16 v44, v178 offset:4512
	ds_read_u16 v52, v178 offset:4784
	;; [unrolled: 1-line block ×4, first 2 shown]
	v_mfma_f32_16x16x16_f16 v[38:41], v[38:39], v[162:163], v[198:201]
	s_waitcnt lgkmcnt(0)
	v_perm_b32 v45, v172, v45, s63
	v_perm_b32 v44, v52, v44, s63
	v_cvt_f32_f16_e32 v198, v43
	s_nop 3
	v_cvt_f16_f32_e32 v38, v38
	v_cvt_f16_f32_e32 v39, v39
	;; [unrolled: 1-line block ×4, first 2 shown]
	v_cvt_f32_f16_e32 v38, v38
	v_cvt_f32_f16_e32 v39, v39
	v_cvt_f32_f16_e32 v40, v40
	v_cvt_f32_f16_e32 v41, v41
	v_cvt_f32_f16_sdwa v199, v43 dst_sel:DWORD dst_unused:UNUSED_PAD src0_sel:WORD_1
	v_cvt_f32_f16_e32 v200, v42
	v_mfma_f32_16x16x16_f16 v[38:41], v[44:45], v[160:161], v[38:41]
	ds_read_u16 v44, v178 offset:8864
	ds_read_u16 v52, v178 offset:9136
	;; [unrolled: 1-line block ×4, first 2 shown]
	v_cvt_f32_f16_sdwa v201, v42 dst_sel:DWORD dst_unused:UNUSED_PAD src0_sel:WORD_1
	v_cvt_pk_f16_f32 v34, v36, v37
	s_nop 1
	v_cvt_f16_f32_e32 v38, v38
	v_cvt_f16_f32_e32 v39, v39
	;; [unrolled: 1-line block ×4, first 2 shown]
	s_waitcnt lgkmcnt(0)
	v_perm_b32 v45, v172, v45, s63
	v_perm_b32 v44, v52, v44, s63
	v_cvt_f32_f16_e32 v38, v38
	v_cvt_f32_f16_e32 v39, v39
	;; [unrolled: 1-line block ×4, first 2 shown]
	v_cvt_pk_f16_f32 v37, v30, v31
	v_cvt_pk_f16_f32 v36, v32, v33
	v_mfma_f32_16x16x16_f16 v[38:41], v[44:45], v[158:159], v[38:41]
	ds_read_u16 v44, v178 offset:13216
	ds_read_u16 v52, v178 offset:13488
	;; [unrolled: 1-line block ×4, first 2 shown]
	s_nop 3
	v_cvt_f16_f32_e32 v38, v38
	v_cvt_f16_f32_e32 v39, v39
	;; [unrolled: 1-line block ×4, first 2 shown]
	s_waitcnt lgkmcnt(0)
	v_perm_b32 v45, v172, v45, s63
	v_perm_b32 v44, v52, v44, s63
	v_cvt_f32_f16_e32 v38, v38
	v_cvt_f32_f16_e32 v39, v39
	;; [unrolled: 1-line block ×4, first 2 shown]
	s_nop 1
	v_mfma_f32_16x16x16_f16 v[38:41], v[44:45], v[156:157], v[38:41]
	ds_read_u16 v44, v178 offset:192
	ds_read_u16 v45, v178 offset:464
	;; [unrolled: 1-line block ×4, first 2 shown]
	s_waitcnt lgkmcnt(2)
	v_perm_b32 v42, v45, v44, s63
	s_nop 1
	v_cvt_pk_f16_f32 v39, v38, v39
	s_waitcnt lgkmcnt(0)
	v_perm_b32 v43, v172, v52, s63
	ds_read_u16 v52, v178 offset:4544
	ds_read_u16 v172, v178 offset:4816
	ds_read_u16 v190, v178 offset:5088
	ds_read_u16 v191, v179 offset:4544
	v_mfma_f32_16x16x16_f16 v[42:45], v[42:43], v[162:163], v[198:201]
	s_waitcnt lgkmcnt(0)
	v_perm_b32 v191, v191, v190, s63
	v_perm_b32 v190, v172, v52, s63
	v_cvt_f32_f16_e32 v198, v206
	s_nop 3
	v_cvt_f16_f32_e32 v42, v42
	v_cvt_f16_f32_e32 v43, v43
	;; [unrolled: 1-line block ×4, first 2 shown]
	v_cvt_f32_f16_e32 v42, v42
	v_cvt_f32_f16_e32 v43, v43
	;; [unrolled: 1-line block ×4, first 2 shown]
	v_cvt_f32_f16_sdwa v199, v206 dst_sel:DWORD dst_unused:UNUSED_PAD src0_sel:WORD_1
	v_cvt_f32_f16_e32 v200, v203
	v_mfma_f32_16x16x16_f16 v[42:45], v[190:191], v[160:161], v[42:45]
	ds_read_u16 v52, v178 offset:8896
	ds_read_u16 v172, v178 offset:9168
	;; [unrolled: 1-line block ×4, first 2 shown]
	v_cvt_f32_f16_sdwa v201, v203 dst_sel:DWORD dst_unused:UNUSED_PAD src0_sel:WORD_1
	v_cvt_pk_f16_f32 v38, v40, v41
	s_nop 1
	v_cvt_f16_f32_e32 v42, v42
	v_cvt_f16_f32_e32 v43, v43
	;; [unrolled: 1-line block ×4, first 2 shown]
	s_waitcnt lgkmcnt(0)
	v_perm_b32 v191, v191, v190, s63
	v_perm_b32 v190, v172, v52, s63
	v_cvt_f32_f16_e32 v42, v42
	v_cvt_f32_f16_e32 v43, v43
	;; [unrolled: 1-line block ×4, first 2 shown]
	v_cvt_pk_f16_f32 v41, v26, v27
	v_cvt_pk_f16_f32 v40, v28, v29
	v_mfma_f32_16x16x16_f16 v[42:45], v[190:191], v[158:159], v[42:45]
	ds_read_u16 v52, v178 offset:13248
	ds_read_u16 v172, v178 offset:13520
	;; [unrolled: 1-line block ×4, first 2 shown]
	s_nop 3
	v_cvt_f16_f32_e32 v42, v42
	v_cvt_f16_f32_e32 v43, v43
	;; [unrolled: 1-line block ×4, first 2 shown]
	s_waitcnt lgkmcnt(0)
	v_perm_b32 v191, v191, v190, s63
	v_perm_b32 v190, v172, v52, s63
	v_cvt_f32_f16_e32 v42, v42
	v_cvt_f32_f16_e32 v43, v43
	;; [unrolled: 1-line block ×4, first 2 shown]
	s_nop 1
	v_mfma_f32_16x16x16_f16 v[42:45], v[190:191], v[156:157], v[42:45]
	ds_read_u16 v52, v178 offset:224
	ds_read_u16 v172, v178 offset:496
	;; [unrolled: 1-line block ×4, first 2 shown]
	s_nop 3
	v_cvt_pk_f16_f32 v43, v42, v43
	v_cvt_pk_f16_f32 v42, v44, v45
	s_waitcnt lgkmcnt(0)
	v_perm_b32 v191, v191, v190, s63
	v_perm_b32 v190, v172, v52, s63
	v_cvt_pk_f16_f32 v45, v22, v23
	v_cvt_pk_f16_f32 v44, v24, v25
	v_mfma_f32_16x16x16_f16 v[198:201], v[190:191], v[162:163], v[198:201]
	ds_read_u16 v190, v178 offset:4576
	ds_read_u16 v191, v178 offset:4848
	;; [unrolled: 1-line block ×4, first 2 shown]
	s_nop 3
	v_cvt_f16_f32_e32 v162, v199
	v_cvt_f16_f32_e32 v163, v200
	;; [unrolled: 1-line block ×4, first 2 shown]
	v_cvt_f32_f16_e32 v199, v162
	v_cvt_f32_f16_e32 v200, v163
	s_waitcnt lgkmcnt(0)
	v_perm_b32 v163, v196, v192, s63
	v_perm_b32 v162, v191, v190, s63
	v_cvt_f32_f16_e32 v198, v52
	v_cvt_f32_f16_e32 v201, v172
	ds_read_u16 v172, v178 offset:8928
	ds_read_u16 v190, v178 offset:9200
	;; [unrolled: 1-line block ×4, first 2 shown]
	v_mfma_f32_16x16x16_f16 v[160:163], v[162:163], v[160:161], v[198:201]
	s_waitcnt lgkmcnt(2)
	v_perm_b32 v190, v190, v172, s63
	s_waitcnt lgkmcnt(0)
	v_perm_b32 v191, v192, v191, s63
	s_nop 3
	v_cvt_f16_f32_e32 v52, v160
	v_cvt_f16_f32_e32 v161, v161
	;; [unrolled: 1-line block ×4, first 2 shown]
	v_cvt_f32_f16_e32 v160, v52
	v_cvt_f32_f16_e32 v161, v161
	;; [unrolled: 1-line block ×4, first 2 shown]
	s_nop 1
	v_mfma_f32_16x16x16_f16 v[160:163], v[190:191], v[158:159], v[160:163]
	s_nop 7
	v_cvt_f16_f32_e32 v159, v160
	v_cvt_f16_f32_e32 v160, v161
	;; [unrolled: 1-line block ×4, first 2 shown]
	ds_read_u16 v52, v178 offset:13280
	ds_read_u16 v158, v178 offset:13552
	;; [unrolled: 1-line block ×4, first 2 shown]
	v_cvt_f32_f16_e32 v196, v159
	v_cvt_f32_f16_e32 v197, v160
	s_waitcnt lgkmcnt(2)
	v_perm_b32 v158, v158, v52, s63
	v_cvt_f32_f16_e32 v198, v161
	s_waitcnt lgkmcnt(0)
	v_perm_b32 v159, v200, v163, s63
	v_cvt_f32_f16_e32 v199, v162
	s_barrier
	s_nop 0
	v_mfma_f32_16x16x16_f16 v[156:159], v[158:159], v[156:157], v[196:199]
	s_nop 7
	v_cvt_pk_f16_f32 v156, v156, v157
	v_cvt_pk_f16_f32 v157, v158, v159
	;; [unrolled: 1-line block ×4, first 2 shown]
	s_cbranch_scc0 .LBB25_153
; %bb.150:                              ;   in Loop: Header=BB25_85 Depth=2
	v_mov_b32_e32 v160, v225
	v_mov_b32_e32 v161, v209
	s_branch .LBB25_85
.LBB25_151:                             ;   in Loop: Header=BB25_14 Depth=1
	s_mov_b64 s[68:69], 0
                                        ; implicit-def: $vgpr4_vgpr5
                                        ; implicit-def: $vgpr2
	s_cbranch_execnz .LBB25_316
	s_branch .LBB25_614
.LBB25_152:                             ;   in Loop: Header=BB25_14 Depth=1
	v_mov_b32_e32 v209, 0xfeffffff
	v_mov_b32_e32 v225, 0
	;; [unrolled: 1-line block ×18, first 2 shown]
	s_branch .LBB25_154
.LBB25_153:                             ;   in Loop: Header=BB25_14 Depth=1
	v_mov_b32_e32 v190, v173
	v_mov_b32_e32 v191, v174
	;; [unrolled: 1-line block ×3, first 2 shown]
.LBB25_154:                             ;   in Loop: Header=BB25_14 Depth=1
	s_lshl_b32 s4, s52, 6
	s_ashr_i32 s5, s4, 31
	s_lshl_b64 s[6:7], s[4:5], 1
	v_lshl_add_u64 v[18:19], v[138:139], 0, s[6:7]
	v_lshl_add_u64 v[18:19], v[152:153], 1, v[18:19]
	v_lshlrev_b32_e32 v52, 1, v50
	v_lshl_add_u64 v[18:19], v[18:19], 0, v[52:53]
	global_load_dword v18, v[18:19], off
	s_mul_hi_i32 s7, s36, s4
	s_mul_i32 s6, s36, s4
	s_lshl_b64 s[6:7], s[6:7], 2
	v_lshlrev_b32_e32 v52, 2, v54
	v_add_u32_e32 v30, 0x1000, v223
	v_add_u32_e32 v152, 0x2000, v223
	;; [unrolled: 1-line block ×3, first 2 shown]
	s_waitcnt vmcnt(0)
	ds_write_b32 v55, v18 offset:17408
	v_lshl_add_u64 v[18:19], v[136:137], 0, s[6:7]
	v_lshl_add_u64 v[20:21], v[56:57], 2, v[18:19]
	;; [unrolled: 1-line block ×7, first 2 shown]
	global_load_dwordx4 v[18:21], v[20:21], off
	v_lshl_add_u64 v[22:23], v[22:23], 0, v[52:53]
	v_lshl_add_u64 v[24:25], v[24:25], 0, v[52:53]
	s_waitcnt vmcnt(0)
	ds_write_b128 v77, v[18:21]
	global_load_dwordx4 v[18:21], v[22:23], off
	s_waitcnt vmcnt(0)
	ds_write_b128 v230, v[18:21]
	global_load_dwordx4 v[18:21], v[24:25], off
	;; [unrolled: 3-line block ×3, first 2 shown]
	s_waitcnt vmcnt(0)
	ds_write_b128 v232, v[18:21]
	s_waitcnt lgkmcnt(0)
	s_barrier
	ds_read2_b64 v[18:21], v223 offset1:4
	s_waitcnt lgkmcnt(0)
	v_mfma_f32_16x16x16_f16 v[22:25], v[18:19], v[14:15], 0
	v_mfma_f32_16x16x16_f16 v[18:21], v[20:21], v[16:17], v[22:25]
	s_nop 6
	ds_read2_b64 v[22:25], v223 offset0:8 offset1:12
	s_waitcnt lgkmcnt(0)
	v_mfma_f32_16x16x16_f16 v[18:21], v[22:23], v[10:11], v[18:21]
	v_mfma_f32_16x16x16_f16 v[18:21], v[24:25], v[12:13], v[18:21]
	ds_read2_b64 v[22:25], v223 offset0:16 offset1:20
	s_waitcnt lgkmcnt(0)
	v_mfma_f32_16x16x16_f16 v[18:21], v[22:23], v[6:7], v[18:21]
	v_mfma_f32_16x16x16_f16 v[18:21], v[24:25], v[8:9], v[18:21]
	;; [unrolled: 4-line block ×3, first 2 shown]
	ds_read2_b64 v[22:25], v30 offset0:32 offset1:36
	s_waitcnt lgkmcnt(0)
	v_mfma_f32_16x16x16_f16 v[26:29], v[22:23], v[14:15], 0
	s_nop 4
	v_cmp_nlt_f32_e64 s[6:7], |v18|, s39
	v_mfma_f32_16x16x16_f16 v[22:25], v[24:25], v[16:17], v[26:29]
	s_nop 2
	ds_read2_b64 v[26:29], v30 offset0:40 offset1:44
	s_waitcnt lgkmcnt(0)
	v_mfma_f32_16x16x16_f16 v[22:25], v[26:27], v[10:11], v[22:25]
	v_mfma_f32_16x16x16_f16 v[22:25], v[28:29], v[12:13], v[22:25]
	ds_read2_b64 v[26:29], v30 offset0:48 offset1:52
	s_waitcnt lgkmcnt(0)
	v_mfma_f32_16x16x16_f16 v[22:25], v[26:27], v[6:7], v[22:25]
	v_mfma_f32_16x16x16_f16 v[22:25], v[28:29], v[8:9], v[22:25]
	;; [unrolled: 4-line block ×4, first 2 shown]
	s_nop 6
	ds_read2_b64 v[30:33], v152 offset0:72 offset1:76
	s_waitcnt lgkmcnt(0)
	v_mfma_f32_16x16x16_f16 v[26:29], v[30:31], v[10:11], v[26:29]
	v_mfma_f32_16x16x16_f16 v[26:29], v[32:33], v[12:13], v[26:29]
	ds_read2_b64 v[30:33], v152 offset0:80 offset1:84
	s_waitcnt lgkmcnt(0)
	v_mfma_f32_16x16x16_f16 v[26:29], v[30:31], v[6:7], v[26:29]
	v_mfma_f32_16x16x16_f16 v[26:29], v[32:33], v[8:9], v[26:29]
	;; [unrolled: 4-line block ×5, first 2 shown]
	s_nop 6
	ds_read2_b64 v[14:17], v160 offset0:112 offset1:116
	s_waitcnt lgkmcnt(0)
	v_mfma_f32_16x16x16_f16 v[10:13], v[14:15], v[6:7], v[10:13]
	v_mfma_f32_16x16x16_f16 v[6:9], v[16:17], v[8:9], v[10:13]
	s_nop 6
	ds_read2_b64 v[10:13], v160 offset0:120 offset1:124
	s_waitcnt lgkmcnt(0)
	v_mfma_f32_16x16x16_f16 v[6:9], v[10:11], v[2:3], v[6:9]
	s_barrier
	v_mfma_f32_16x16x16_f16 v[2:5], v[12:13], v[4:5], v[6:9]
                                        ; implicit-def: $vgpr6
	s_and_saveexec_b64 s[52:53], s[6:7]
	s_xor_b64 s[6:7], exec, s[52:53]
	s_cbranch_execz .LBB25_156
; %bb.155:                              ;   in Loop: Header=BB25_14 Depth=1
	s_nop 2
	v_add_f32_e64 v6, |v18|, |v18|
	v_mul_f32_e32 v7, 0x3fb8aa3b, v6
	v_rndne_f32_e32 v8, v7
	v_sub_f32_e32 v9, v7, v8
	v_fma_f32 v7, v6, s61, -v7
	v_fmac_f32_e32 v7, 0x32a5705f, v6
	v_add_f32_e32 v7, v9, v7
	v_cvt_i32_f32_e32 v8, v8
	v_exp_f32_e32 v7, v7
	v_cmp_ngt_f32_e32 vcc, s30, v6
	v_ldexp_f32 v7, v7, v8
	s_nop 0
	v_cndmask_b32_e32 v7, 0, v7, vcc
	v_cmp_nlt_f32_e32 vcc, s47, v6
	s_nop 1
	v_cndmask_b32_e32 v6, v253, v7, vcc
	v_add_f32_e32 v6, 1.0, v6
	v_rcp_f32_e32 v6, v6
	s_nop 0
	v_fma_f32 v6, v6, -2.0, 1.0
.LBB25_156:                             ;   in Loop: Header=BB25_14 Depth=1
	s_andn2_saveexec_b64 s[6:7], s[6:7]
; %bb.157:                              ;   in Loop: Header=BB25_14 Depth=1
	s_nop 1
	v_mul_f32_e32 v6, v18, v18
	v_fmamk_f32 v7, v6, 0xbbbac73d, v252
	v_fmaak_f32 v7, v6, v7, 0xbd5c1c4e
	v_fmaak_f32 v7, v6, v7, 0x3e088382
	;; [unrolled: 1-line block ×3, first 2 shown]
	v_mul_f32_e64 v7, |v18|, v7
	v_fma_f32 v6, v6, v7, |v18|
; %bb.158:                              ;   in Loop: Header=BB25_14 Depth=1
	s_or_b64 exec, exec, s[6:7]
	v_cmp_nlt_f32_e64 s[6:7], |v19|, s39
                                        ; implicit-def: $vgpr7
	s_and_saveexec_b64 s[52:53], s[6:7]
	s_xor_b64 s[6:7], exec, s[52:53]
	s_cbranch_execz .LBB25_160
; %bb.159:                              ;   in Loop: Header=BB25_14 Depth=1
	v_add_f32_e64 v7, |v19|, |v19|
	v_mul_f32_e32 v8, 0x3fb8aa3b, v7
	v_rndne_f32_e32 v9, v8
	v_sub_f32_e32 v10, v8, v9
	v_fma_f32 v8, v7, s61, -v8
	v_fmac_f32_e32 v8, 0x32a5705f, v7
	v_add_f32_e32 v8, v10, v8
	v_cvt_i32_f32_e32 v9, v9
	v_exp_f32_e32 v8, v8
	v_cmp_ngt_f32_e32 vcc, s30, v7
	v_ldexp_f32 v8, v8, v9
	s_nop 0
	v_cndmask_b32_e32 v8, 0, v8, vcc
	v_cmp_nlt_f32_e32 vcc, s47, v7
	s_nop 1
	v_cndmask_b32_e32 v7, v253, v8, vcc
	v_add_f32_e32 v7, 1.0, v7
	v_rcp_f32_e32 v7, v7
	s_nop 0
	v_fma_f32 v7, v7, -2.0, 1.0
.LBB25_160:                             ;   in Loop: Header=BB25_14 Depth=1
	s_andn2_saveexec_b64 s[6:7], s[6:7]
; %bb.161:                              ;   in Loop: Header=BB25_14 Depth=1
	v_mul_f32_e32 v7, v19, v19
	v_fmamk_f32 v8, v7, 0xbbbac73d, v252
	v_fmaak_f32 v8, v7, v8, 0xbd5c1c4e
	v_fmaak_f32 v8, v7, v8, 0x3e088382
	;; [unrolled: 1-line block ×3, first 2 shown]
	v_mul_f32_e64 v8, |v19|, v8
	v_fma_f32 v7, v7, v8, |v19|
; %bb.162:                              ;   in Loop: Header=BB25_14 Depth=1
	s_or_b64 exec, exec, s[6:7]
	v_cmp_nlt_f32_e64 s[6:7], |v20|, s39
                                        ; implicit-def: $vgpr8
	s_and_saveexec_b64 s[52:53], s[6:7]
	s_xor_b64 s[6:7], exec, s[52:53]
	s_cbranch_execz .LBB25_164
; %bb.163:                              ;   in Loop: Header=BB25_14 Depth=1
	v_add_f32_e64 v8, |v20|, |v20|
	v_mul_f32_e32 v9, 0x3fb8aa3b, v8
	v_rndne_f32_e32 v10, v9
	v_sub_f32_e32 v11, v9, v10
	v_fma_f32 v9, v8, s61, -v9
	v_fmac_f32_e32 v9, 0x32a5705f, v8
	v_add_f32_e32 v9, v11, v9
	v_cvt_i32_f32_e32 v10, v10
	v_exp_f32_e32 v9, v9
	v_cmp_ngt_f32_e32 vcc, s30, v8
	v_ldexp_f32 v9, v9, v10
	s_nop 0
	v_cndmask_b32_e32 v9, 0, v9, vcc
	v_cmp_nlt_f32_e32 vcc, s47, v8
	s_nop 1
	v_cndmask_b32_e32 v8, v253, v9, vcc
	v_add_f32_e32 v8, 1.0, v8
	v_rcp_f32_e32 v8, v8
	s_nop 0
	v_fma_f32 v8, v8, -2.0, 1.0
.LBB25_164:                             ;   in Loop: Header=BB25_14 Depth=1
	s_andn2_saveexec_b64 s[6:7], s[6:7]
; %bb.165:                              ;   in Loop: Header=BB25_14 Depth=1
	v_mul_f32_e32 v8, v20, v20
	v_fmamk_f32 v9, v8, 0xbbbac73d, v252
	v_fmaak_f32 v9, v8, v9, 0xbd5c1c4e
	v_fmaak_f32 v9, v8, v9, 0x3e088382
	v_fmaak_f32 v9, v8, v9, 0xbeaaaa99
	v_mul_f32_e64 v9, |v20|, v9
	v_fma_f32 v8, v8, v9, |v20|
; %bb.166:                              ;   in Loop: Header=BB25_14 Depth=1
	s_or_b64 exec, exec, s[6:7]
	v_cmp_nlt_f32_e64 s[6:7], |v21|, s39
                                        ; implicit-def: $vgpr9
	s_and_saveexec_b64 s[52:53], s[6:7]
	s_xor_b64 s[6:7], exec, s[52:53]
	s_cbranch_execz .LBB25_168
; %bb.167:                              ;   in Loop: Header=BB25_14 Depth=1
	v_add_f32_e64 v9, |v21|, |v21|
	v_mul_f32_e32 v10, 0x3fb8aa3b, v9
	v_rndne_f32_e32 v11, v10
	v_sub_f32_e32 v12, v10, v11
	v_fma_f32 v10, v9, s61, -v10
	v_fmac_f32_e32 v10, 0x32a5705f, v9
	v_add_f32_e32 v10, v12, v10
	v_cvt_i32_f32_e32 v11, v11
	v_exp_f32_e32 v10, v10
	v_cmp_ngt_f32_e32 vcc, s30, v9
	v_ldexp_f32 v10, v10, v11
	s_nop 0
	v_cndmask_b32_e32 v10, 0, v10, vcc
	v_cmp_nlt_f32_e32 vcc, s47, v9
	s_nop 1
	v_cndmask_b32_e32 v9, v253, v10, vcc
	v_add_f32_e32 v9, 1.0, v9
	v_rcp_f32_e32 v9, v9
	s_nop 0
	v_fma_f32 v9, v9, -2.0, 1.0
.LBB25_168:                             ;   in Loop: Header=BB25_14 Depth=1
	s_andn2_saveexec_b64 s[6:7], s[6:7]
; %bb.169:                              ;   in Loop: Header=BB25_14 Depth=1
	v_mul_f32_e32 v9, v21, v21
	v_fmamk_f32 v10, v9, 0xbbbac73d, v252
	v_fmaak_f32 v10, v9, v10, 0xbd5c1c4e
	v_fmaak_f32 v10, v9, v10, 0x3e088382
	;; [unrolled: 1-line block ×3, first 2 shown]
	v_mul_f32_e64 v10, |v21|, v10
	v_fma_f32 v9, v9, v10, |v21|
; %bb.170:                              ;   in Loop: Header=BB25_14 Depth=1
	s_or_b64 exec, exec, s[6:7]
	v_cmp_nlt_f32_e64 s[6:7], |v22|, s39
                                        ; implicit-def: $vgpr10
	s_and_saveexec_b64 s[52:53], s[6:7]
	s_xor_b64 s[6:7], exec, s[52:53]
	s_cbranch_execz .LBB25_172
; %bb.171:                              ;   in Loop: Header=BB25_14 Depth=1
	v_add_f32_e64 v10, |v22|, |v22|
	v_mul_f32_e32 v11, 0x3fb8aa3b, v10
	v_rndne_f32_e32 v12, v11
	v_sub_f32_e32 v13, v11, v12
	v_fma_f32 v11, v10, s61, -v11
	v_fmac_f32_e32 v11, 0x32a5705f, v10
	v_add_f32_e32 v11, v13, v11
	v_cvt_i32_f32_e32 v12, v12
	v_exp_f32_e32 v11, v11
	v_cmp_ngt_f32_e32 vcc, s30, v10
	v_ldexp_f32 v11, v11, v12
	s_nop 0
	v_cndmask_b32_e32 v11, 0, v11, vcc
	v_cmp_nlt_f32_e32 vcc, s47, v10
	s_nop 1
	v_cndmask_b32_e32 v10, v253, v11, vcc
	v_add_f32_e32 v10, 1.0, v10
	v_rcp_f32_e32 v10, v10
	s_nop 0
	v_fma_f32 v10, v10, -2.0, 1.0
.LBB25_172:                             ;   in Loop: Header=BB25_14 Depth=1
	s_andn2_saveexec_b64 s[6:7], s[6:7]
; %bb.173:                              ;   in Loop: Header=BB25_14 Depth=1
	v_mul_f32_e32 v10, v22, v22
	v_fmamk_f32 v11, v10, 0xbbbac73d, v252
	v_fmaak_f32 v11, v10, v11, 0xbd5c1c4e
	v_fmaak_f32 v11, v10, v11, 0x3e088382
	v_fmaak_f32 v11, v10, v11, 0xbeaaaa99
	v_mul_f32_e64 v11, |v22|, v11
	v_fma_f32 v10, v10, v11, |v22|
; %bb.174:                              ;   in Loop: Header=BB25_14 Depth=1
	s_or_b64 exec, exec, s[6:7]
	v_cmp_nlt_f32_e64 s[6:7], |v23|, s39
                                        ; implicit-def: $vgpr11
	s_and_saveexec_b64 s[52:53], s[6:7]
	s_xor_b64 s[6:7], exec, s[52:53]
	s_cbranch_execz .LBB25_176
; %bb.175:                              ;   in Loop: Header=BB25_14 Depth=1
	v_add_f32_e64 v11, |v23|, |v23|
	v_mul_f32_e32 v12, 0x3fb8aa3b, v11
	v_rndne_f32_e32 v13, v12
	v_sub_f32_e32 v14, v12, v13
	v_fma_f32 v12, v11, s61, -v12
	v_fmac_f32_e32 v12, 0x32a5705f, v11
	v_add_f32_e32 v12, v14, v12
	v_cvt_i32_f32_e32 v13, v13
	v_exp_f32_e32 v12, v12
	v_cmp_ngt_f32_e32 vcc, s30, v11
	v_ldexp_f32 v12, v12, v13
	s_nop 0
	v_cndmask_b32_e32 v12, 0, v12, vcc
	v_cmp_nlt_f32_e32 vcc, s47, v11
	s_nop 1
	v_cndmask_b32_e32 v11, v253, v12, vcc
	v_add_f32_e32 v11, 1.0, v11
	v_rcp_f32_e32 v11, v11
	s_nop 0
	v_fma_f32 v11, v11, -2.0, 1.0
.LBB25_176:                             ;   in Loop: Header=BB25_14 Depth=1
	s_andn2_saveexec_b64 s[6:7], s[6:7]
; %bb.177:                              ;   in Loop: Header=BB25_14 Depth=1
	v_mul_f32_e32 v11, v23, v23
	v_fmamk_f32 v12, v11, 0xbbbac73d, v252
	v_fmaak_f32 v12, v11, v12, 0xbd5c1c4e
	v_fmaak_f32 v12, v11, v12, 0x3e088382
	v_fmaak_f32 v12, v11, v12, 0xbeaaaa99
	v_mul_f32_e64 v12, |v23|, v12
	v_fma_f32 v11, v11, v12, |v23|
; %bb.178:                              ;   in Loop: Header=BB25_14 Depth=1
	s_or_b64 exec, exec, s[6:7]
	v_cmp_nlt_f32_e64 s[6:7], |v24|, s39
                                        ; implicit-def: $vgpr12
	s_and_saveexec_b64 s[52:53], s[6:7]
	s_xor_b64 s[6:7], exec, s[52:53]
	s_cbranch_execz .LBB25_180
; %bb.179:                              ;   in Loop: Header=BB25_14 Depth=1
	v_add_f32_e64 v12, |v24|, |v24|
	v_mul_f32_e32 v13, 0x3fb8aa3b, v12
	v_rndne_f32_e32 v14, v13
	v_sub_f32_e32 v15, v13, v14
	v_fma_f32 v13, v12, s61, -v13
	v_fmac_f32_e32 v13, 0x32a5705f, v12
	v_add_f32_e32 v13, v15, v13
	v_cvt_i32_f32_e32 v14, v14
	v_exp_f32_e32 v13, v13
	v_cmp_ngt_f32_e32 vcc, s30, v12
	v_ldexp_f32 v13, v13, v14
	s_nop 0
	v_cndmask_b32_e32 v13, 0, v13, vcc
	v_cmp_nlt_f32_e32 vcc, s47, v12
	s_nop 1
	v_cndmask_b32_e32 v12, v253, v13, vcc
	v_add_f32_e32 v12, 1.0, v12
	v_rcp_f32_e32 v12, v12
	s_nop 0
	v_fma_f32 v12, v12, -2.0, 1.0
.LBB25_180:                             ;   in Loop: Header=BB25_14 Depth=1
	s_andn2_saveexec_b64 s[6:7], s[6:7]
; %bb.181:                              ;   in Loop: Header=BB25_14 Depth=1
	v_mul_f32_e32 v12, v24, v24
	v_fmamk_f32 v13, v12, 0xbbbac73d, v252
	v_fmaak_f32 v13, v12, v13, 0xbd5c1c4e
	v_fmaak_f32 v13, v12, v13, 0x3e088382
	;; [unrolled: 1-line block ×3, first 2 shown]
	v_mul_f32_e64 v13, |v24|, v13
	v_fma_f32 v12, v12, v13, |v24|
; %bb.182:                              ;   in Loop: Header=BB25_14 Depth=1
	s_or_b64 exec, exec, s[6:7]
	v_cmp_nlt_f32_e64 s[6:7], |v25|, s39
                                        ; implicit-def: $vgpr13
	s_and_saveexec_b64 s[52:53], s[6:7]
	s_xor_b64 s[6:7], exec, s[52:53]
	s_cbranch_execz .LBB25_184
; %bb.183:                              ;   in Loop: Header=BB25_14 Depth=1
	v_add_f32_e64 v13, |v25|, |v25|
	v_mul_f32_e32 v14, 0x3fb8aa3b, v13
	v_rndne_f32_e32 v15, v14
	v_sub_f32_e32 v16, v14, v15
	v_fma_f32 v14, v13, s61, -v14
	v_fmac_f32_e32 v14, 0x32a5705f, v13
	v_add_f32_e32 v14, v16, v14
	v_cvt_i32_f32_e32 v15, v15
	v_exp_f32_e32 v14, v14
	v_cmp_ngt_f32_e32 vcc, s30, v13
	v_ldexp_f32 v14, v14, v15
	s_nop 0
	v_cndmask_b32_e32 v14, 0, v14, vcc
	v_cmp_nlt_f32_e32 vcc, s47, v13
	s_nop 1
	v_cndmask_b32_e32 v13, v253, v14, vcc
	v_add_f32_e32 v13, 1.0, v13
	v_rcp_f32_e32 v13, v13
	s_nop 0
	v_fma_f32 v13, v13, -2.0, 1.0
.LBB25_184:                             ;   in Loop: Header=BB25_14 Depth=1
	s_andn2_saveexec_b64 s[6:7], s[6:7]
; %bb.185:                              ;   in Loop: Header=BB25_14 Depth=1
	v_mul_f32_e32 v13, v25, v25
	v_fmamk_f32 v14, v13, 0xbbbac73d, v252
	v_fmaak_f32 v14, v13, v14, 0xbd5c1c4e
	v_fmaak_f32 v14, v13, v14, 0x3e088382
	;; [unrolled: 1-line block ×3, first 2 shown]
	v_mul_f32_e64 v14, |v25|, v14
	v_fma_f32 v13, v13, v14, |v25|
; %bb.186:                              ;   in Loop: Header=BB25_14 Depth=1
	s_or_b64 exec, exec, s[6:7]
	v_cmp_nlt_f32_e64 s[6:7], |v26|, s39
                                        ; implicit-def: $vgpr14
	s_and_saveexec_b64 s[52:53], s[6:7]
	s_xor_b64 s[6:7], exec, s[52:53]
	s_cbranch_execz .LBB25_188
; %bb.187:                              ;   in Loop: Header=BB25_14 Depth=1
	v_add_f32_e64 v14, |v26|, |v26|
	v_mul_f32_e32 v15, 0x3fb8aa3b, v14
	v_rndne_f32_e32 v16, v15
	v_sub_f32_e32 v17, v15, v16
	v_fma_f32 v15, v14, s61, -v15
	v_fmac_f32_e32 v15, 0x32a5705f, v14
	v_add_f32_e32 v15, v17, v15
	v_cvt_i32_f32_e32 v16, v16
	v_exp_f32_e32 v15, v15
	v_cmp_ngt_f32_e32 vcc, s30, v14
	v_ldexp_f32 v15, v15, v16
	s_nop 0
	v_cndmask_b32_e32 v15, 0, v15, vcc
	v_cmp_nlt_f32_e32 vcc, s47, v14
	s_nop 1
	v_cndmask_b32_e32 v14, v253, v15, vcc
	v_add_f32_e32 v14, 1.0, v14
	v_rcp_f32_e32 v14, v14
	s_nop 0
	v_fma_f32 v14, v14, -2.0, 1.0
.LBB25_188:                             ;   in Loop: Header=BB25_14 Depth=1
	s_andn2_saveexec_b64 s[6:7], s[6:7]
; %bb.189:                              ;   in Loop: Header=BB25_14 Depth=1
	v_mul_f32_e32 v14, v26, v26
	v_fmamk_f32 v15, v14, 0xbbbac73d, v252
	v_fmaak_f32 v15, v14, v15, 0xbd5c1c4e
	v_fmaak_f32 v15, v14, v15, 0x3e088382
	;; [unrolled: 1-line block ×3, first 2 shown]
	v_mul_f32_e64 v15, |v26|, v15
	v_fma_f32 v14, v14, v15, |v26|
; %bb.190:                              ;   in Loop: Header=BB25_14 Depth=1
	s_or_b64 exec, exec, s[6:7]
	v_cmp_nlt_f32_e64 s[6:7], |v27|, s39
                                        ; implicit-def: $vgpr15
	s_and_saveexec_b64 s[52:53], s[6:7]
	s_xor_b64 s[6:7], exec, s[52:53]
	s_cbranch_execz .LBB25_192
; %bb.191:                              ;   in Loop: Header=BB25_14 Depth=1
	v_add_f32_e64 v15, |v27|, |v27|
	v_mul_f32_e32 v16, 0x3fb8aa3b, v15
	v_rndne_f32_e32 v17, v16
	v_sub_f32_e32 v30, v16, v17
	v_fma_f32 v16, v15, s61, -v16
	v_fmac_f32_e32 v16, 0x32a5705f, v15
	v_add_f32_e32 v16, v30, v16
	v_cvt_i32_f32_e32 v17, v17
	v_exp_f32_e32 v16, v16
	v_cmp_ngt_f32_e32 vcc, s30, v15
	v_ldexp_f32 v16, v16, v17
	s_nop 0
	v_cndmask_b32_e32 v16, 0, v16, vcc
	v_cmp_nlt_f32_e32 vcc, s47, v15
	s_nop 1
	v_cndmask_b32_e32 v15, v253, v16, vcc
	v_add_f32_e32 v15, 1.0, v15
	v_rcp_f32_e32 v15, v15
	s_nop 0
	v_fma_f32 v15, v15, -2.0, 1.0
.LBB25_192:                             ;   in Loop: Header=BB25_14 Depth=1
	s_andn2_saveexec_b64 s[6:7], s[6:7]
; %bb.193:                              ;   in Loop: Header=BB25_14 Depth=1
	v_mul_f32_e32 v15, v27, v27
	v_fmamk_f32 v16, v15, 0xbbbac73d, v252
	v_fmaak_f32 v16, v15, v16, 0xbd5c1c4e
	v_fmaak_f32 v16, v15, v16, 0x3e088382
	v_fmaak_f32 v16, v15, v16, 0xbeaaaa99
	v_mul_f32_e64 v16, |v27|, v16
	v_fma_f32 v15, v15, v16, |v27|
; %bb.194:                              ;   in Loop: Header=BB25_14 Depth=1
	s_or_b64 exec, exec, s[6:7]
	v_cmp_nlt_f32_e64 s[6:7], |v28|, s39
                                        ; implicit-def: $vgpr16
	s_and_saveexec_b64 s[52:53], s[6:7]
	s_xor_b64 s[6:7], exec, s[52:53]
	s_cbranch_execz .LBB25_196
; %bb.195:                              ;   in Loop: Header=BB25_14 Depth=1
	v_add_f32_e64 v16, |v28|, |v28|
	v_mul_f32_e32 v17, 0x3fb8aa3b, v16
	v_rndne_f32_e32 v30, v17
	v_sub_f32_e32 v31, v17, v30
	v_fma_f32 v17, v16, s61, -v17
	v_fmac_f32_e32 v17, 0x32a5705f, v16
	v_add_f32_e32 v17, v31, v17
	v_cvt_i32_f32_e32 v30, v30
	v_exp_f32_e32 v17, v17
	v_cmp_ngt_f32_e32 vcc, s30, v16
	v_ldexp_f32 v17, v17, v30
	s_nop 0
	v_cndmask_b32_e32 v17, 0, v17, vcc
	v_cmp_nlt_f32_e32 vcc, s47, v16
	s_nop 1
	v_cndmask_b32_e32 v16, v253, v17, vcc
	v_add_f32_e32 v16, 1.0, v16
	v_rcp_f32_e32 v16, v16
	s_nop 0
	v_fma_f32 v16, v16, -2.0, 1.0
.LBB25_196:                             ;   in Loop: Header=BB25_14 Depth=1
	s_andn2_saveexec_b64 s[6:7], s[6:7]
; %bb.197:                              ;   in Loop: Header=BB25_14 Depth=1
	v_mul_f32_e32 v16, v28, v28
	v_fmamk_f32 v17, v16, 0xbbbac73d, v252
	v_fmaak_f32 v17, v16, v17, 0xbd5c1c4e
	v_fmaak_f32 v17, v16, v17, 0x3e088382
	;; [unrolled: 1-line block ×3, first 2 shown]
	v_mul_f32_e64 v17, |v28|, v17
	v_fma_f32 v16, v16, v17, |v28|
; %bb.198:                              ;   in Loop: Header=BB25_14 Depth=1
	s_or_b64 exec, exec, s[6:7]
	v_cmp_nlt_f32_e64 s[6:7], |v29|, s39
                                        ; implicit-def: $vgpr17
	s_and_saveexec_b64 s[52:53], s[6:7]
	s_xor_b64 s[6:7], exec, s[52:53]
	s_cbranch_execz .LBB25_200
; %bb.199:                              ;   in Loop: Header=BB25_14 Depth=1
	v_add_f32_e64 v17, |v29|, |v29|
	v_mul_f32_e32 v30, 0x3fb8aa3b, v17
	v_rndne_f32_e32 v31, v30
	v_sub_f32_e32 v32, v30, v31
	v_fma_f32 v30, v17, s61, -v30
	v_fmac_f32_e32 v30, 0x32a5705f, v17
	v_add_f32_e32 v30, v32, v30
	v_cvt_i32_f32_e32 v31, v31
	v_exp_f32_e32 v30, v30
	v_cmp_ngt_f32_e32 vcc, s30, v17
	v_ldexp_f32 v30, v30, v31
	s_nop 0
	v_cndmask_b32_e32 v30, 0, v30, vcc
	v_cmp_nlt_f32_e32 vcc, s47, v17
	s_nop 1
	v_cndmask_b32_e32 v17, v253, v30, vcc
	v_add_f32_e32 v17, 1.0, v17
	v_rcp_f32_e32 v17, v17
	s_nop 0
	v_fma_f32 v17, v17, -2.0, 1.0
.LBB25_200:                             ;   in Loop: Header=BB25_14 Depth=1
	s_andn2_saveexec_b64 s[6:7], s[6:7]
; %bb.201:                              ;   in Loop: Header=BB25_14 Depth=1
	v_mul_f32_e32 v17, v29, v29
	v_fmamk_f32 v30, v17, 0xbbbac73d, v252
	v_fmaak_f32 v30, v17, v30, 0xbd5c1c4e
	v_fmaak_f32 v30, v17, v30, 0x3e088382
	;; [unrolled: 1-line block ×3, first 2 shown]
	v_mul_f32_e64 v30, |v29|, v30
	v_fma_f32 v17, v17, v30, |v29|
; %bb.202:                              ;   in Loop: Header=BB25_14 Depth=1
	s_or_b64 exec, exec, s[6:7]
	v_cmp_nlt_f32_e64 s[6:7], |v2|, s39
                                        ; implicit-def: $vgpr30
	s_and_saveexec_b64 s[52:53], s[6:7]
	s_xor_b64 s[6:7], exec, s[52:53]
	s_cbranch_execz .LBB25_204
; %bb.203:                              ;   in Loop: Header=BB25_14 Depth=1
	v_add_f32_e64 v30, |v2|, |v2|
	v_mul_f32_e32 v31, 0x3fb8aa3b, v30
	v_rndne_f32_e32 v32, v31
	v_sub_f32_e32 v33, v31, v32
	v_fma_f32 v31, v30, s61, -v31
	v_fmac_f32_e32 v31, 0x32a5705f, v30
	v_add_f32_e32 v31, v33, v31
	v_cvt_i32_f32_e32 v32, v32
	v_exp_f32_e32 v31, v31
	v_cmp_ngt_f32_e32 vcc, s30, v30
	v_ldexp_f32 v31, v31, v32
	s_nop 0
	v_cndmask_b32_e32 v31, 0, v31, vcc
	v_cmp_nlt_f32_e32 vcc, s47, v30
	s_nop 1
	v_cndmask_b32_e32 v30, v253, v31, vcc
	v_add_f32_e32 v30, 1.0, v30
	v_rcp_f32_e32 v30, v30
	s_nop 0
	v_fma_f32 v30, v30, -2.0, 1.0
.LBB25_204:                             ;   in Loop: Header=BB25_14 Depth=1
	s_andn2_saveexec_b64 s[6:7], s[6:7]
; %bb.205:                              ;   in Loop: Header=BB25_14 Depth=1
	v_mul_f32_e32 v30, v2, v2
	v_fmamk_f32 v31, v30, 0xbbbac73d, v252
	v_fmaak_f32 v31, v30, v31, 0xbd5c1c4e
	v_fmaak_f32 v31, v30, v31, 0x3e088382
	;; [unrolled: 1-line block ×3, first 2 shown]
	v_mul_f32_e64 v31, |v2|, v31
	v_fma_f32 v30, v30, v31, |v2|
; %bb.206:                              ;   in Loop: Header=BB25_14 Depth=1
	s_or_b64 exec, exec, s[6:7]
	v_cmp_nlt_f32_e64 s[6:7], |v3|, s39
                                        ; implicit-def: $vgpr31
	s_and_saveexec_b64 s[52:53], s[6:7]
	s_xor_b64 s[6:7], exec, s[52:53]
	s_cbranch_execz .LBB25_208
; %bb.207:                              ;   in Loop: Header=BB25_14 Depth=1
	v_add_f32_e64 v31, |v3|, |v3|
	v_mul_f32_e32 v32, 0x3fb8aa3b, v31
	v_rndne_f32_e32 v33, v32
	v_sub_f32_e32 v152, v32, v33
	v_fma_f32 v32, v31, s61, -v32
	v_fmac_f32_e32 v32, 0x32a5705f, v31
	v_add_f32_e32 v32, v152, v32
	v_cvt_i32_f32_e32 v33, v33
	v_exp_f32_e32 v32, v32
	v_cmp_ngt_f32_e32 vcc, s30, v31
	v_ldexp_f32 v32, v32, v33
	s_nop 0
	v_cndmask_b32_e32 v32, 0, v32, vcc
	v_cmp_nlt_f32_e32 vcc, s47, v31
	s_nop 1
	v_cndmask_b32_e32 v31, v253, v32, vcc
	v_add_f32_e32 v31, 1.0, v31
	v_rcp_f32_e32 v31, v31
	s_nop 0
	v_fma_f32 v31, v31, -2.0, 1.0
.LBB25_208:                             ;   in Loop: Header=BB25_14 Depth=1
	s_andn2_saveexec_b64 s[6:7], s[6:7]
; %bb.209:                              ;   in Loop: Header=BB25_14 Depth=1
	v_mul_f32_e32 v31, v3, v3
	v_fmamk_f32 v32, v31, 0xbbbac73d, v252
	v_fmaak_f32 v32, v31, v32, 0xbd5c1c4e
	v_fmaak_f32 v32, v31, v32, 0x3e088382
	;; [unrolled: 1-line block ×3, first 2 shown]
	v_mul_f32_e64 v32, |v3|, v32
	v_fma_f32 v31, v31, v32, |v3|
; %bb.210:                              ;   in Loop: Header=BB25_14 Depth=1
	s_or_b64 exec, exec, s[6:7]
	v_cmp_nlt_f32_e64 s[6:7], |v4|, s39
                                        ; implicit-def: $vgpr32
	s_and_saveexec_b64 s[52:53], s[6:7]
	s_xor_b64 s[6:7], exec, s[52:53]
	s_cbranch_execz .LBB25_212
; %bb.211:                              ;   in Loop: Header=BB25_14 Depth=1
	v_add_f32_e64 v32, |v4|, |v4|
	v_mul_f32_e32 v33, 0x3fb8aa3b, v32
	v_rndne_f32_e32 v152, v33
	v_sub_f32_e32 v153, v33, v152
	v_fma_f32 v33, v32, s61, -v33
	v_fmac_f32_e32 v33, 0x32a5705f, v32
	v_add_f32_e32 v33, v153, v33
	v_cvt_i32_f32_e32 v152, v152
	v_exp_f32_e32 v33, v33
	v_cmp_ngt_f32_e32 vcc, s30, v32
	v_ldexp_f32 v33, v33, v152
	s_nop 0
	v_cndmask_b32_e32 v33, 0, v33, vcc
	v_cmp_nlt_f32_e32 vcc, s47, v32
	s_nop 1
	v_cndmask_b32_e32 v32, v253, v33, vcc
	v_add_f32_e32 v32, 1.0, v32
	v_rcp_f32_e32 v32, v32
	s_nop 0
	v_fma_f32 v32, v32, -2.0, 1.0
.LBB25_212:                             ;   in Loop: Header=BB25_14 Depth=1
	s_andn2_saveexec_b64 s[6:7], s[6:7]
; %bb.213:                              ;   in Loop: Header=BB25_14 Depth=1
	v_mul_f32_e32 v32, v4, v4
	v_fmamk_f32 v33, v32, 0xbbbac73d, v252
	v_fmaak_f32 v33, v32, v33, 0xbd5c1c4e
	v_fmaak_f32 v33, v32, v33, 0x3e088382
	;; [unrolled: 1-line block ×3, first 2 shown]
	v_mul_f32_e64 v33, |v4|, v33
	v_fma_f32 v32, v32, v33, |v4|
; %bb.214:                              ;   in Loop: Header=BB25_14 Depth=1
	s_or_b64 exec, exec, s[6:7]
	v_cmp_nlt_f32_e64 s[6:7], |v5|, s39
                                        ; implicit-def: $vgpr33
	s_and_saveexec_b64 s[52:53], s[6:7]
	s_xor_b64 s[6:7], exec, s[52:53]
	s_cbranch_execz .LBB25_216
; %bb.215:                              ;   in Loop: Header=BB25_14 Depth=1
	v_add_f32_e64 v33, |v5|, |v5|
	v_mul_f32_e32 v152, 0x3fb8aa3b, v33
	v_rndne_f32_e32 v153, v152
	v_sub_f32_e32 v154, v152, v153
	v_fma_f32 v152, v33, s61, -v152
	v_fmac_f32_e32 v152, 0x32a5705f, v33
	v_add_f32_e32 v152, v154, v152
	v_cvt_i32_f32_e32 v153, v153
	v_exp_f32_e32 v152, v152
	v_cmp_ngt_f32_e32 vcc, s30, v33
	v_ldexp_f32 v152, v152, v153
	s_nop 0
	v_cndmask_b32_e32 v152, 0, v152, vcc
	v_cmp_nlt_f32_e32 vcc, s47, v33
	s_nop 1
	v_cndmask_b32_e32 v33, v253, v152, vcc
	v_add_f32_e32 v33, 1.0, v33
	v_rcp_f32_e32 v33, v33
	s_nop 0
	v_fma_f32 v33, v33, -2.0, 1.0
.LBB25_216:                             ;   in Loop: Header=BB25_14 Depth=1
	s_andn2_saveexec_b64 s[6:7], s[6:7]
; %bb.217:                              ;   in Loop: Header=BB25_14 Depth=1
	v_mul_f32_e32 v33, v5, v5
	v_fmamk_f32 v152, v33, 0xbbbac73d, v252
	v_fmaak_f32 v152, v33, v152, 0xbd5c1c4e
	v_fmaak_f32 v152, v33, v152, 0x3e088382
	;; [unrolled: 1-line block ×3, first 2 shown]
	v_mul_f32_e64 v152, |v5|, v152
	v_fma_f32 v33, v33, v152, |v5|
; %bb.218:                              ;   in Loop: Header=BB25_14 Depth=1
	s_or_b64 exec, exec, s[6:7]
	v_bfi_b32 v31, s0, v31, v3
	v_bfi_b32 v3, s0, v6, v18
	;; [unrolled: 1-line block ×3, first 2 shown]
	ds_read_b32 v5, v176 offset:17408
	v_bfi_b32 v6, s0, v7, v19
	v_bfi_b32 v30, s0, v30, v2
	;; [unrolled: 1-line block ×4, first 2 shown]
	s_waitcnt lgkmcnt(0)
	v_fma_mix_f32 v19, s33, v3, v5 op_sel_hi:[0,0,1]
	ds_read_b32 v3, v177 offset:17408
	v_bfi_b32 v7, s0, v8, v20
	v_bfi_b32 v11, s0, v11, v23
	;; [unrolled: 1-line block ×4, first 2 shown]
	s_waitcnt lgkmcnt(0)
	v_fma_mix_f32 v24, s33, v2, v3 op_sel:[0,0,1] op_sel_hi:[0,0,1]
	v_add_u32_e32 v2, 0x4400, v233
	v_fma_mix_f32 v23, s33, v7, v3 op_sel_hi:[0,0,1]
	ds_read2_b32 v[2:3], v2 offset1:1
	v_bfi_b32 v14, s0, v14, v26
	v_bfi_b32 v15, s0, v15, v27
	v_fma_mix_f32 v22, s33, v6, v5 op_sel:[0,0,1] op_sel_hi:[0,0,1]
	v_bfi_b32 v4, s0, v32, v4
	s_waitcnt lgkmcnt(0)
	v_fma_mix_f32 v25, s33, v10, v2 op_sel_hi:[0,0,1]
	v_fma_mix_f32 v11, s33, v11, v2 op_sel:[0,0,1] op_sel_hi:[0,0,1]
	v_add_u32_e32 v2, 0x4400, v234
	v_fma_mix_f32 v12, s33, v12, v3 op_sel_hi:[0,0,1]
	v_fma_mix_f32 v13, s33, v13, v3 op_sel:[0,0,1] op_sel_hi:[0,0,1]
	ds_read2_b32 v[2:3], v2 offset1:1
	v_bfi_b32 v17, s0, v17, v29
	v_bfi_b32 v16, s0, v16, v28
	s_mul_hi_i32 s5, s4, s26
	s_mul_i32 s4, s4, s26
	s_waitcnt lgkmcnt(0)
	v_fma_mix_f32 v14, s33, v14, v2 op_sel_hi:[0,0,1]
	v_fma_mix_f32 v10, s33, v15, v2 op_sel:[0,0,1] op_sel_hi:[0,0,1]
	v_add_u32_e32 v2, 0x4400, v235
	ds_read2_b32 v[6:7], v2 offset1:1
	v_add_f32_e32 v15, 0x40051340, v24
	v_fma_mix_f32 v9, s33, v16, v3 op_sel_hi:[0,0,1]
	v_fma_mix_f32 v3, s33, v17, v3 op_sel:[0,0,1] op_sel_hi:[0,0,1]
	s_lshl_b64 s[4:5], s[4:5], 2
	s_waitcnt lgkmcnt(0)
	v_fma_mix_f32 v8, s33, v30, v6 op_sel_hi:[0,0,1]
	v_fma_mix_f32 v5, s33, v31, v6 op_sel:[0,0,1] op_sel_hi:[0,0,1]
	v_fma_mix_f32 v4, s33, v4, v7 op_sel_hi:[0,0,1]
	v_fma_mix_f32 v2, s33, v18, v7 op_sel:[0,0,1] op_sel_hi:[0,0,1]
	v_add_f32_e32 v6, 0x40051340, v19
	v_add_f32_e32 v7, 0x40051340, v22
	v_max3_f32 v6, v209, v6, v7
	v_add_f32_e32 v7, 0x40051340, v23
	v_max3_f32 v6, v6, v7, v15
	v_add_f32_e32 v7, 0x40051340, v25
	v_add_f32_e32 v15, 0x40051340, v11
	v_max3_f32 v6, v6, v7, v15
	v_add_f32_e32 v7, 0x40051340, v12
	;; [unrolled: 3-line block ×6, first 2 shown]
	v_add_f32_e32 v15, 0x40051340, v2
	v_max3_f32 v6, v6, v7, v15
	v_and_b32_e32 v7, 64, v228
	v_add_u32_e32 v7, 64, v7
	v_xor_b32_e32 v15, 32, v228
	v_cmp_lt_i32_e32 vcc, v15, v7
	s_nop 1
	v_cndmask_b32_e32 v15, v228, v15, vcc
	v_lshlrev_b32_e32 v28, 2, v15
	ds_bpermute_b32 v15, v28, v6
	s_waitcnt lgkmcnt(0)
	v_max_f32_e32 v15, v15, v15
	v_max_f32_e32 v6, v6, v15
	v_xor_b32_e32 v15, 16, v228
	v_cmp_lt_i32_e32 vcc, v15, v7
	s_nop 1
	v_cndmask_b32_e32 v7, v228, v15, vcc
	v_lshlrev_b32_e32 v21, 2, v7
	ds_bpermute_b32 v7, v21, v6
	s_waitcnt lgkmcnt(0)
	v_max_f32_e32 v7, v7, v7
	v_max_f32_e32 v20, v6, v7
	v_sub_f32_e32 v6, v19, v20
	v_mul_f32_e32 v7, 0x3fb8aa3b, v6
	v_fma_f32 v15, v6, s61, -v7
	v_rndne_f32_e32 v16, v7
	v_fmac_f32_e32 v15, 0x32a5705f, v6
	v_sub_f32_e32 v7, v7, v16
	v_add_f32_e32 v7, v7, v15
	v_exp_f32_e32 v7, v7
	v_cvt_i32_f32_e32 v15, v16
	v_cmp_ngt_f32_e32 vcc, s30, v6
	v_sub_f32_e32 v11, v11, v20
	v_sub_f32_e32 v12, v12, v20
	v_ldexp_f32 v7, v7, v15
	v_cndmask_b32_e32 v7, 0, v7, vcc
	v_cmp_nlt_f32_e32 vcc, s47, v6
	v_sub_f32_e32 v10, v10, v20
	v_sub_f32_e32 v9, v9, v20
	v_cndmask_b32_e32 v6, v253, v7, vcc
	v_sub_f32_e32 v7, v22, v20
	v_mul_f32_e32 v15, 0x3fb8aa3b, v7
	v_fma_f32 v16, v7, s61, -v15
	v_rndne_f32_e32 v17, v15
	v_fmac_f32_e32 v16, 0x32a5705f, v7
	v_sub_f32_e32 v15, v15, v17
	v_add_f32_e32 v15, v15, v16
	v_exp_f32_e32 v15, v15
	v_cvt_i32_f32_e32 v16, v17
	v_cmp_ngt_f32_e32 vcc, s30, v7
	v_sub_f32_e32 v3, v3, v20
	v_sub_f32_e32 v8, v8, v20
	v_ldexp_f32 v15, v15, v16
	v_sub_f32_e32 v16, v23, v20
	v_mul_f32_e32 v17, 0x3fb8aa3b, v16
	v_fma_f32 v18, v16, s61, -v17
	v_rndne_f32_e32 v19, v17
	v_fmac_f32_e32 v18, 0x32a5705f, v16
	v_sub_f32_e32 v17, v17, v19
	v_add_f32_e32 v17, v17, v18
	v_exp_f32_e32 v17, v17
	v_cvt_i32_f32_e32 v18, v19
	v_cndmask_b32_e32 v15, 0, v15, vcc
	v_cmp_nlt_f32_e32 vcc, s47, v7
	v_sub_f32_e32 v5, v5, v20
	v_ldexp_f32 v17, v17, v18
	v_cndmask_b32_e32 v7, v253, v15, vcc
	v_cmp_ngt_f32_e32 vcc, s30, v16
	v_add_f32_e32 v15, v6, v7
	v_sub_f32_e32 v4, v4, v20
	v_cndmask_b32_e32 v17, 0, v17, vcc
	v_cmp_nlt_f32_e32 vcc, s47, v16
	v_sub_f32_e32 v16, v24, v20
	v_sub_f32_e32 v2, v2, v20
	v_cndmask_b32_e32 v18, v253, v17, vcc
	v_mul_f32_e32 v17, 0x3fb8aa3b, v16
	v_fma_f32 v19, v16, s61, -v17
	v_rndne_f32_e32 v22, v17
	v_fmac_f32_e32 v19, 0x32a5705f, v16
	v_sub_f32_e32 v17, v17, v22
	v_add_f32_e32 v17, v17, v19
	v_exp_f32_e32 v17, v17
	v_cvt_i32_f32_e32 v19, v22
	v_cmp_ngt_f32_e32 vcc, s30, v16
	v_add_f32_e32 v15, v18, v15
	v_ldexp_f32 v17, v17, v19
	v_cndmask_b32_e32 v17, 0, v17, vcc
	v_cmp_nlt_f32_e32 vcc, s47, v16
	v_sub_f32_e32 v16, v25, v20
	s_nop 0
	v_cndmask_b32_e32 v19, v253, v17, vcc
	v_mul_f32_e32 v17, 0x3fb8aa3b, v16
	v_fma_f32 v22, v16, s61, -v17
	v_rndne_f32_e32 v23, v17
	v_fmac_f32_e32 v22, 0x32a5705f, v16
	v_sub_f32_e32 v17, v17, v23
	v_add_f32_e32 v17, v17, v22
	v_exp_f32_e32 v17, v17
	v_cvt_i32_f32_e32 v22, v23
	v_cmp_ngt_f32_e32 vcc, s30, v16
	v_add_f32_e32 v15, v19, v15
	v_ldexp_f32 v17, v17, v22
	v_cndmask_b32_e32 v17, 0, v17, vcc
	v_cmp_nlt_f32_e32 vcc, s47, v16
	v_mul_f32_e32 v16, 0x3fb8aa3b, v11
	v_rndne_f32_e32 v23, v16
	v_cndmask_b32_e32 v22, v253, v17, vcc
	v_fma_f32 v17, v11, s61, -v16
	v_fmac_f32_e32 v17, 0x32a5705f, v11
	v_sub_f32_e32 v16, v16, v23
	v_add_f32_e32 v16, v16, v17
	v_exp_f32_e32 v16, v16
	v_cvt_i32_f32_e32 v17, v23
	v_cmp_ngt_f32_e32 vcc, s30, v11
	v_add_f32_e32 v15, v22, v15
	v_ldexp_f32 v16, v16, v17
	v_cndmask_b32_e32 v16, 0, v16, vcc
	v_cmp_nlt_f32_e32 vcc, s47, v11
	s_nop 1
	v_cndmask_b32_e32 v23, v253, v16, vcc
	v_add_f32_e32 v11, v23, v15
	v_mul_f32_e32 v15, 0x3fb8aa3b, v12
	v_fma_f32 v16, v12, s61, -v15
	v_rndne_f32_e32 v17, v15
	v_fmac_f32_e32 v16, 0x32a5705f, v12
	v_sub_f32_e32 v15, v15, v17
	v_add_f32_e32 v15, v15, v16
	v_exp_f32_e32 v15, v15
	v_cvt_i32_f32_e32 v16, v17
	v_cmp_ngt_f32_e32 vcc, s30, v12
	v_ldexp_f32 v15, v15, v16
	s_nop 0
	v_cndmask_b32_e32 v15, 0, v15, vcc
	v_cmp_nlt_f32_e32 vcc, s47, v12
	v_sub_f32_e32 v12, v13, v20
	v_mul_f32_e32 v13, 0x3fb8aa3b, v12
	v_cndmask_b32_e32 v24, v253, v15, vcc
	v_fma_f32 v15, v12, s61, -v13
	v_rndne_f32_e32 v16, v13
	v_fmac_f32_e32 v15, 0x32a5705f, v12
	v_sub_f32_e32 v13, v13, v16
	v_add_f32_e32 v13, v13, v15
	v_exp_f32_e32 v13, v13
	v_cvt_i32_f32_e32 v15, v16
	v_cmp_ngt_f32_e32 vcc, s30, v12
	v_add_f32_e32 v11, v24, v11
	v_ldexp_f32 v13, v13, v15
	v_cndmask_b32_e32 v13, 0, v13, vcc
	v_cmp_nlt_f32_e32 vcc, s47, v12
	v_sub_f32_e32 v12, v14, v20
	s_nop 0
	v_cndmask_b32_e32 v25, v253, v13, vcc
	v_mul_f32_e32 v13, 0x3fb8aa3b, v12
	v_fma_f32 v14, v12, s61, -v13
	v_rndne_f32_e32 v15, v13
	v_fmac_f32_e32 v14, 0x32a5705f, v12
	v_sub_f32_e32 v13, v13, v15
	v_add_f32_e32 v13, v13, v14
	v_exp_f32_e32 v13, v13
	v_cvt_i32_f32_e32 v14, v15
	v_cmp_ngt_f32_e32 vcc, s30, v12
	v_add_f32_e32 v11, v25, v11
	v_cvt_pk_f16_f32 v25, v24, v25
	v_ldexp_f32 v13, v13, v14
	v_cndmask_b32_e32 v13, 0, v13, vcc
	v_cmp_nlt_f32_e32 vcc, s47, v12
	v_mul_f32_e32 v12, 0x3fb8aa3b, v10
	v_rndne_f32_e32 v14, v12
	v_cndmask_b32_e32 v30, v253, v13, vcc
	v_fma_f32 v13, v10, s61, -v12
	v_fmac_f32_e32 v13, 0x32a5705f, v10
	v_sub_f32_e32 v12, v12, v14
	v_add_f32_e32 v12, v12, v13
	v_exp_f32_e32 v12, v12
	v_cvt_i32_f32_e32 v13, v14
	v_cmp_ngt_f32_e32 vcc, s30, v10
	v_add_f32_e32 v11, v30, v11
	v_cvt_pk_f16_f32 v24, v22, v23
	v_ldexp_f32 v12, v12, v13
	v_cndmask_b32_e32 v12, 0, v12, vcc
	v_cmp_nlt_f32_e32 vcc, s47, v10
	s_nop 1
	v_cndmask_b32_e32 v33, v253, v12, vcc
	v_add_f32_e32 v10, v33, v11
	v_mul_f32_e32 v11, 0x3fb8aa3b, v9
	v_fma_f32 v12, v9, s61, -v11
	v_rndne_f32_e32 v13, v11
	v_fmac_f32_e32 v12, 0x32a5705f, v9
	v_sub_f32_e32 v11, v11, v13
	v_add_f32_e32 v11, v11, v12
	v_exp_f32_e32 v11, v11
	v_cvt_i32_f32_e32 v12, v13
	v_cmp_ngt_f32_e32 vcc, s30, v9
	v_cvt_pk_f16_f32 v22, v30, v33
	v_ldexp_f32 v11, v11, v12
	v_cndmask_b32_e32 v11, 0, v11, vcc
	v_cmp_nlt_f32_e32 vcc, s47, v9
	s_nop 1
	v_cndmask_b32_e32 v152, v253, v11, vcc
	v_add_f32_e32 v9, v152, v10
	v_mul_f32_e32 v10, 0x3fb8aa3b, v3
	v_fma_f32 v11, v3, s61, -v10
	v_rndne_f32_e32 v12, v10
	v_fmac_f32_e32 v11, 0x32a5705f, v3
	v_sub_f32_e32 v10, v10, v12
	v_add_f32_e32 v10, v10, v11
	v_exp_f32_e32 v10, v10
	v_cvt_i32_f32_e32 v11, v12
	v_cmp_ngt_f32_e32 vcc, s30, v3
	v_ldexp_f32 v10, v10, v11
	s_nop 0
	v_cndmask_b32_e32 v10, 0, v10, vcc
	v_cmp_nlt_f32_e32 vcc, s47, v3
	s_nop 1
	v_cndmask_b32_e32 v154, v253, v10, vcc
	v_add_f32_e32 v3, v154, v9
	v_mul_f32_e32 v9, 0x3fb8aa3b, v8
	v_fma_f32 v10, v8, s61, -v9
	v_rndne_f32_e32 v11, v9
	v_fmac_f32_e32 v10, 0x32a5705f, v8
	v_sub_f32_e32 v9, v9, v11
	v_add_f32_e32 v9, v9, v10
	v_exp_f32_e32 v9, v9
	v_cvt_i32_f32_e32 v10, v11
	v_cmp_ngt_f32_e32 vcc, s30, v8
	v_cvt_pk_f16_f32 v23, v152, v154
	v_ldexp_f32 v9, v9, v10
	v_cndmask_b32_e32 v9, 0, v9, vcc
	v_cmp_nlt_f32_e32 vcc, s47, v8
	v_mul_f32_e32 v8, 0x3fb8aa3b, v5
	v_rndne_f32_e32 v10, v8
	v_cndmask_b32_e32 v153, v253, v9, vcc
	v_fma_f32 v9, v5, s61, -v8
	v_fmac_f32_e32 v9, 0x32a5705f, v5
	v_sub_f32_e32 v8, v8, v10
	v_add_f32_e32 v8, v8, v9
	v_exp_f32_e32 v8, v8
	v_cvt_i32_f32_e32 v9, v10
	v_cmp_ngt_f32_e32 vcc, s30, v5
	v_add_f32_e32 v3, v153, v3
	v_ldexp_f32 v8, v8, v9
	v_cndmask_b32_e32 v8, 0, v8, vcc
	v_cmp_nlt_f32_e32 vcc, s47, v5
	v_mul_f32_e32 v5, 0x3fb8aa3b, v4
	v_rndne_f32_e32 v9, v5
	v_cndmask_b32_e32 v155, v253, v8, vcc
	v_fma_f32 v8, v4, s61, -v5
	v_fmac_f32_e32 v8, 0x32a5705f, v4
	v_sub_f32_e32 v5, v5, v9
	v_add_f32_e32 v5, v5, v8
	v_exp_f32_e32 v5, v5
	v_cvt_i32_f32_e32 v8, v9
	v_cmp_ngt_f32_e32 vcc, s30, v4
	v_add_f32_e32 v3, v155, v3
	;; [unrolled: 14-line block ×3, first 2 shown]
	v_ldexp_f32 v4, v4, v5
	v_cndmask_b32_e32 v4, 0, v4, vcc
	v_cmp_nlt_f32_e32 vcc, s47, v2
	v_sub_f32_e32 v2, v209, v20
	s_nop 0
	v_cndmask_b32_e32 v161, v253, v4, vcc
	v_add_f32_e32 v29, v161, v3
	v_mul_f32_e32 v3, 0x3fb8aa3b, v2
	v_fma_f32 v4, v2, s61, -v3
	v_rndne_f32_e32 v5, v3
	v_fmac_f32_e32 v4, 0x32a5705f, v2
	v_sub_f32_e32 v3, v3, v5
	v_add_f32_e32 v3, v3, v4
	v_exp_f32_e32 v3, v3
	v_cvt_i32_f32_e32 v4, v5
	v_cmp_ngt_f32_e32 vcc, s30, v2
	v_ldexp_f32 v3, v3, v4
	s_nop 0
	v_cndmask_b32_e32 v3, 0, v3, vcc
	v_cmp_nlt_f32_e32 vcc, s47, v2
	s_nop 1
	v_cndmask_b32_e32 v3, v253, v3, vcc
	v_cmp_le_f32_e32 vcc, s1, v2
	s_nop 1
	v_cndmask_b32_e32 v2, 0, v3, vcc
	v_fmac_f32_e32 v29, v225, v2
	v_cvt_f16_f32_e32 v2, v2
	v_cmp_eq_u64_e32 vcc, 0, v[132:133]
	s_and_b64 vcc, exec, vcc
	v_mul_u32_u24_e32 v2, 0x10001, v2
	v_pk_mul_f16 v27, v159, v2
	v_pk_mul_f16 v26, v158, v2
	v_pk_mul_f16 v32, v45, v2
	v_pk_mul_f16 v31, v44, v2
	v_pk_mul_f16 v9, v41, v2
	v_pk_mul_f16 v8, v40, v2
	v_pk_mul_f16 v11, v37, v2
	v_pk_mul_f16 v10, v36, v2
	v_pk_mul_f16 v13, v35, v2
	v_pk_mul_f16 v12, v34, v2
	v_pk_mul_f16 v15, v39, v2
	v_pk_mul_f16 v14, v38, v2
	v_pk_mul_f16 v17, v43, v2
	v_pk_mul_f16 v16, v42, v2
	v_pk_mul_f16 v35, v156, v2
	v_pk_mul_f16 v34, v157, v2
	v_lshl_add_u64 v[2:3], v[134:135], 0, s[4:5]
	v_lshl_add_u64 v[4:5], v[64:65], 2, v[2:3]
	;; [unrolled: 1-line block ×7, first 2 shown]
	global_load_dwordx4 v[2:5], v[4:5], off
	v_lshl_add_u64 v[36:37], v[36:37], 0, v[52:53]
	v_lshl_add_u64 v[38:39], v[38:39], 0, v[52:53]
	s_waitcnt vmcnt(0)
	ds_write_b128 v77, v[2:5]
	global_load_dwordx4 v[2:5], v[36:37], off
	s_waitcnt vmcnt(0)
	ds_write_b128 v230, v[2:5]
	global_load_dwordx4 v[2:5], v[38:39], off
	;; [unrolled: 3-line block ×3, first 2 shown]
	s_waitcnt vmcnt(0)
	ds_write_b128 v232, v[2:5]
	s_waitcnt lgkmcnt(0)
	s_barrier
	ds_read_u16 v36, v178 offset:272
	ds_read_u16 v37, v178 offset:544
	v_cvt_f32_f16_e32 v4, v26
	v_cvt_f32_f16_sdwa v5, v26 dst_sel:DWORD dst_unused:UNUSED_PAD src0_sel:WORD_1
	ds_read_u16 v26, v179
	ds_read_u16 v38, v179 offset:32
	v_cvt_f32_f16_e32 v2, v27
	v_cvt_f32_f16_sdwa v3, v27 dst_sel:DWORD dst_unused:UNUSED_PAD src0_sel:WORD_1
	v_cvt_pk_f16_f32 v27, v18, v19
	s_waitcnt lgkmcnt(1)
	v_perm_b32 v37, v26, v37, s63
	ds_read_u16 v26, v178
	ds_read_u16 v39, v178 offset:32
	s_waitcnt lgkmcnt(1)
	v_perm_b32 v36, v36, v26, s63
	v_cvt_pk_f16_f32 v26, v6, v7
	ds_read_u16 v6, v178 offset:4352
	ds_read_u16 v18, v178 offset:4624
	;; [unrolled: 1-line block ×4, first 2 shown]
	v_mfma_f32_16x16x16_f16 v[2:5], v[36:37], v[26:27], v[2:5]
	s_waitcnt lgkmcnt(2)
	v_perm_b32 v6, v18, v6, s63
	s_waitcnt lgkmcnt(0)
	v_perm_b32 v7, v19, v7, s63
	v_cvt_f32_f16_sdwa v37, v9 dst_sel:DWORD dst_unused:UNUSED_PAD src0_sel:WORD_1
	s_nop 2
	v_cvt_f16_f32_e32 v2, v2
	v_cvt_f16_f32_e32 v3, v3
	;; [unrolled: 1-line block ×4, first 2 shown]
	v_cvt_f32_f16_e32 v2, v2
	v_cvt_f32_f16_e32 v3, v3
	;; [unrolled: 1-line block ×4, first 2 shown]
	s_nop 1
	v_mfma_f32_16x16x16_f16 v[2:5], v[6:7], v[24:25], v[2:5]
	ds_read_u16 v6, v178 offset:8704
	ds_read_u16 v18, v178 offset:8976
	;; [unrolled: 1-line block ×4, first 2 shown]
	s_nop 3
	v_cvt_f16_f32_e32 v2, v2
	v_cvt_f16_f32_e32 v3, v3
	;; [unrolled: 1-line block ×4, first 2 shown]
	s_waitcnt lgkmcnt(0)
	v_perm_b32 v7, v19, v7, s63
	v_perm_b32 v6, v18, v6, s63
	v_cvt_f32_f16_e32 v2, v2
	v_cvt_f32_f16_e32 v3, v3
	;; [unrolled: 1-line block ×4, first 2 shown]
	s_nop 1
	v_mfma_f32_16x16x16_f16 v[2:5], v[6:7], v[22:23], v[2:5]
	ds_read_u16 v6, v178 offset:13056
	ds_read_u16 v18, v178 offset:13328
	;; [unrolled: 1-line block ×6, first 2 shown]
	s_nop 1
	v_cvt_f16_f32_e32 v2, v2
	v_cvt_f16_f32_e32 v3, v3
	;; [unrolled: 1-line block ×4, first 2 shown]
	s_waitcnt lgkmcnt(2)
	v_perm_b32 v7, v19, v7, s63
	v_perm_b32 v6, v18, v6, s63
	v_cvt_f32_f16_e32 v2, v2
	v_cvt_f32_f16_e32 v3, v3
	;; [unrolled: 1-line block ×4, first 2 shown]
	v_cvt_pk_f16_f32 v19, v160, v161
	v_cvt_pk_f16_f32 v18, v153, v155
	s_waitcnt lgkmcnt(0)
	v_perm_b32 v33, v38, v33, s63
	v_cvt_f32_f16_e32 v38, v8
	v_mfma_f32_16x16x16_f16 v[2:5], v[6:7], v[18:19], v[2:5]
	v_cvt_f32_f16_e32 v6, v31
	v_cvt_f32_f16_sdwa v7, v31 dst_sel:DWORD dst_unused:UNUSED_PAD src0_sel:WORD_1
	s_nop 5
	v_cvt_f16_f32_e32 v4, v4
	v_cvt_f16_f32_e32 v5, v5
	v_perm_b32 v30, v5, v4, s63
	v_cvt_f32_f16_e32 v4, v32
	v_cvt_f32_f16_sdwa v5, v32 dst_sel:DWORD dst_unused:UNUSED_PAD src0_sel:WORD_1
	v_perm_b32 v32, v36, v39, s63
	v_cvt_f32_f16_sdwa v39, v8 dst_sel:DWORD dst_unused:UNUSED_PAD src0_sel:WORD_1
	s_nop 0
	v_mfma_f32_16x16x16_f16 v[4:7], v[32:33], v[26:27], v[4:7]
	ds_read_u16 v31, v178 offset:4384
	ds_read_u16 v32, v178 offset:4656
	ds_read_u16 v33, v178 offset:4928
	ds_read_u16 v36, v179 offset:4384
	s_nop 3
	v_cvt_f16_f32_e32 v4, v4
	v_cvt_f16_f32_e32 v5, v5
	v_cvt_f16_f32_e32 v6, v6
	v_cvt_f16_f32_e32 v7, v7
	s_waitcnt lgkmcnt(0)
	v_perm_b32 v33, v36, v33, s63
	v_perm_b32 v32, v32, v31, s63
	v_cvt_f32_f16_e32 v4, v4
	v_cvt_f32_f16_e32 v5, v5
	v_cvt_f32_f16_e32 v6, v6
	v_cvt_f32_f16_e32 v7, v7
	s_nop 1
	v_mfma_f32_16x16x16_f16 v[4:7], v[32:33], v[24:25], v[4:7]
	ds_read_u16 v31, v178 offset:8736
	ds_read_u16 v32, v178 offset:9008
	ds_read_u16 v33, v178 offset:9280
	ds_read_u16 v36, v179 offset:8736
	s_nop 3
	v_cvt_f16_f32_e32 v4, v4
	v_cvt_f16_f32_e32 v5, v5
	v_cvt_f16_f32_e32 v6, v6
	v_cvt_f16_f32_e32 v7, v7
	s_waitcnt lgkmcnt(0)
	v_perm_b32 v33, v36, v33, s63
	v_perm_b32 v32, v32, v31, s63
	v_cvt_f32_f16_e32 v4, v4
	v_cvt_f32_f16_e32 v5, v5
	v_cvt_f32_f16_e32 v6, v6
	v_cvt_f32_f16_e32 v7, v7
	;; [unrolled: 18-line block ×3, first 2 shown]
	v_cvt_f32_f16_e32 v36, v9
	s_nop 0
	v_mfma_f32_16x16x16_f16 v[4:7], v[32:33], v[18:19], v[4:7]
	s_nop 7
	v_cvt_f16_f32_e32 v6, v6
	v_cvt_f16_f32_e32 v7, v7
	v_perm_b32 v31, v7, v6, s63
	ds_read_u16 v6, v178 offset:64
	ds_read_u16 v32, v178 offset:336
	;; [unrolled: 1-line block ×4, first 2 shown]
	s_waitcnt lgkmcnt(2)
	v_perm_b32 v6, v32, v6, s63
	s_waitcnt lgkmcnt(0)
	v_perm_b32 v7, v33, v7, s63
	s_nop 1
	v_mfma_f32_16x16x16_f16 v[6:9], v[6:7], v[26:27], v[36:39]
	ds_read_u16 v32, v178 offset:4416
	s_nop 1
	ds_read_u16 v36, v178 offset:4688
	ds_read_u16 v33, v178 offset:4960
	;; [unrolled: 1-line block ×3, first 2 shown]
	v_cvt_f32_f16_e32 v38, v10
	v_cvt_f32_f16_sdwa v39, v10 dst_sel:DWORD dst_unused:UNUSED_PAD src0_sel:WORD_1
	v_cvt_f16_f32_e32 v6, v6
	v_cvt_f16_f32_e32 v7, v7
	v_cvt_f16_f32_e32 v8, v8
	v_cvt_f16_f32_e32 v9, v9
	s_waitcnt lgkmcnt(0)
	v_perm_b32 v33, v37, v33, s63
	v_perm_b32 v32, v36, v32, s63
	v_cvt_f32_f16_e32 v6, v6
	v_cvt_f32_f16_e32 v7, v7
	;; [unrolled: 1-line block ×4, first 2 shown]
	s_nop 1
	v_mfma_f32_16x16x16_f16 v[6:9], v[32:33], v[24:25], v[6:9]
	ds_read_u16 v32, v178 offset:8768
	ds_read_u16 v36, v178 offset:9040
	;; [unrolled: 1-line block ×4, first 2 shown]
	s_nop 3
	v_cvt_f16_f32_e32 v6, v6
	v_cvt_f16_f32_e32 v7, v7
	v_cvt_f16_f32_e32 v8, v8
	v_cvt_f16_f32_e32 v9, v9
	s_waitcnt lgkmcnt(0)
	v_perm_b32 v33, v37, v33, s63
	v_perm_b32 v32, v36, v32, s63
	v_cvt_f32_f16_e32 v6, v6
	v_cvt_f32_f16_e32 v7, v7
	;; [unrolled: 1-line block ×4, first 2 shown]
	s_nop 1
	v_mfma_f32_16x16x16_f16 v[6:9], v[32:33], v[22:23], v[6:9]
	ds_read_u16 v32, v178 offset:13120
	ds_read_u16 v36, v178 offset:13392
	;; [unrolled: 1-line block ×4, first 2 shown]
	s_nop 3
	v_cvt_f16_f32_e32 v6, v6
	v_cvt_f16_f32_e32 v7, v7
	v_cvt_f16_f32_e32 v8, v8
	v_cvt_f16_f32_e32 v9, v9
	s_waitcnt lgkmcnt(0)
	v_perm_b32 v33, v37, v33, s63
	v_perm_b32 v32, v36, v32, s63
	v_cvt_f32_f16_e32 v6, v6
	v_cvt_f32_f16_e32 v7, v7
	;; [unrolled: 1-line block ×5, first 2 shown]
	v_cvt_f32_f16_sdwa v37, v11 dst_sel:DWORD dst_unused:UNUSED_PAD src0_sel:WORD_1
	v_mfma_f32_16x16x16_f16 v[6:9], v[32:33], v[18:19], v[6:9]
	s_nop 7
	v_cvt_f16_f32_e32 v8, v8
	v_cvt_f16_f32_e32 v9, v9
	v_perm_b32 v32, v9, v8, s63
	ds_read_u16 v8, v178 offset:96
	ds_read_u16 v33, v178 offset:368
	ds_read_u16 v9, v178 offset:640
	ds_read_u16 v40, v179 offset:96
	s_waitcnt lgkmcnt(2)
	v_perm_b32 v8, v33, v8, s63
	s_waitcnt lgkmcnt(0)
	v_perm_b32 v9, v40, v9, s63
	s_nop 1
	v_mfma_f32_16x16x16_f16 v[8:11], v[8:9], v[26:27], v[36:39]
	ds_read_u16 v33, v178 offset:4448
	s_nop 1
	ds_read_u16 v36, v178 offset:4720
	ds_read_u16 v37, v178 offset:4992
	;; [unrolled: 1-line block ×3, first 2 shown]
	v_cvt_f32_f16_sdwa v39, v12 dst_sel:DWORD dst_unused:UNUSED_PAD src0_sel:WORD_1
	s_nop 0
	v_cvt_f16_f32_e32 v8, v8
	v_cvt_f16_f32_e32 v9, v9
	;; [unrolled: 1-line block ×4, first 2 shown]
	s_waitcnt lgkmcnt(0)
	v_perm_b32 v37, v38, v37, s63
	v_perm_b32 v36, v36, v33, s63
	v_cvt_f32_f16_e32 v8, v8
	v_cvt_f32_f16_e32 v9, v9
	;; [unrolled: 1-line block ×4, first 2 shown]
	s_nop 1
	v_mfma_f32_16x16x16_f16 v[8:11], v[36:37], v[24:25], v[8:11]
	ds_read_u16 v33, v178 offset:8800
	ds_read_u16 v36, v178 offset:9072
	;; [unrolled: 1-line block ×4, first 2 shown]
	s_nop 3
	v_cvt_f16_f32_e32 v8, v8
	v_cvt_f16_f32_e32 v9, v9
	;; [unrolled: 1-line block ×4, first 2 shown]
	s_waitcnt lgkmcnt(0)
	v_perm_b32 v37, v38, v37, s63
	v_perm_b32 v36, v36, v33, s63
	v_cvt_f32_f16_e32 v8, v8
	v_cvt_f32_f16_e32 v9, v9
	;; [unrolled: 1-line block ×4, first 2 shown]
	s_nop 1
	v_mfma_f32_16x16x16_f16 v[8:11], v[36:37], v[22:23], v[8:11]
	ds_read_u16 v33, v178 offset:13152
	ds_read_u16 v36, v178 offset:13424
	;; [unrolled: 1-line block ×4, first 2 shown]
	s_nop 3
	v_cvt_f16_f32_e32 v8, v8
	v_cvt_f16_f32_e32 v9, v9
	;; [unrolled: 1-line block ×4, first 2 shown]
	s_waitcnt lgkmcnt(0)
	v_perm_b32 v37, v38, v37, s63
	v_perm_b32 v36, v36, v33, s63
	v_cvt_f32_f16_e32 v8, v8
	v_cvt_f32_f16_e32 v9, v9
	;; [unrolled: 1-line block ×5, first 2 shown]
	s_nop 0
	v_mfma_f32_16x16x16_f16 v[8:11], v[36:37], v[18:19], v[8:11]
	v_cvt_f32_f16_e32 v36, v13
	v_cvt_f32_f16_sdwa v37, v13 dst_sel:DWORD dst_unused:UNUSED_PAD src0_sel:WORD_1
	s_nop 5
	v_cvt_f16_f32_e32 v10, v10
	v_cvt_f16_f32_e32 v11, v11
	v_perm_b32 v33, v11, v10, s63
	ds_read_u16 v10, v178 offset:128
	ds_read_u16 v40, v178 offset:400
	;; [unrolled: 1-line block ×4, first 2 shown]
	s_waitcnt lgkmcnt(2)
	v_perm_b32 v10, v40, v10, s63
	v_cvt_f32_f16_e32 v40, v14
	s_waitcnt lgkmcnt(0)
	v_perm_b32 v11, v41, v11, s63
	v_cvt_f32_f16_sdwa v41, v14 dst_sel:DWORD dst_unused:UNUSED_PAD src0_sel:WORD_1
	s_nop 0
	v_mfma_f32_16x16x16_f16 v[10:13], v[10:11], v[26:27], v[36:39]
	s_nop 2
	ds_read_u16 v36, v178 offset:4480
	ds_read_u16 v38, v178 offset:4752
	;; [unrolled: 1-line block ×4, first 2 shown]
	s_nop 0
	v_cvt_f16_f32_e32 v10, v10
	v_cvt_f16_f32_e32 v11, v11
	;; [unrolled: 1-line block ×4, first 2 shown]
	s_waitcnt lgkmcnt(0)
	v_perm_b32 v37, v39, v37, s63
	v_perm_b32 v36, v38, v36, s63
	v_cvt_f32_f16_e32 v10, v10
	v_cvt_f32_f16_e32 v11, v11
	;; [unrolled: 1-line block ×4, first 2 shown]
	s_nop 1
	v_mfma_f32_16x16x16_f16 v[10:13], v[36:37], v[24:25], v[10:13]
	ds_read_u16 v36, v178 offset:8832
	ds_read_u16 v38, v178 offset:9104
	ds_read_u16 v37, v178 offset:9376
	ds_read_u16 v39, v179 offset:8832
	s_nop 3
	v_cvt_f16_f32_e32 v10, v10
	v_cvt_f16_f32_e32 v11, v11
	;; [unrolled: 1-line block ×4, first 2 shown]
	s_waitcnt lgkmcnt(0)
	v_perm_b32 v37, v39, v37, s63
	v_perm_b32 v36, v38, v36, s63
	v_cvt_f32_f16_e32 v10, v10
	v_cvt_f32_f16_e32 v11, v11
	;; [unrolled: 1-line block ×4, first 2 shown]
	s_nop 1
	v_mfma_f32_16x16x16_f16 v[10:13], v[36:37], v[22:23], v[10:13]
	ds_read_u16 v36, v178 offset:13184
	ds_read_u16 v38, v178 offset:13456
	;; [unrolled: 1-line block ×4, first 2 shown]
	s_nop 3
	v_cvt_f16_f32_e32 v10, v10
	v_cvt_f16_f32_e32 v11, v11
	;; [unrolled: 1-line block ×4, first 2 shown]
	s_waitcnt lgkmcnt(0)
	v_perm_b32 v37, v39, v37, s63
	v_perm_b32 v36, v38, v36, s63
	v_cvt_f32_f16_e32 v10, v10
	v_cvt_f32_f16_e32 v11, v11
	;; [unrolled: 1-line block ×5, first 2 shown]
	v_cvt_f32_f16_sdwa v39, v15 dst_sel:DWORD dst_unused:UNUSED_PAD src0_sel:WORD_1
	v_mfma_f32_16x16x16_f16 v[10:13], v[36:37], v[18:19], v[10:13]
	s_nop 7
	v_cvt_f16_f32_e32 v12, v12
	v_cvt_f16_f32_e32 v13, v13
	v_perm_b32 v36, v13, v12, s63
	ds_read_u16 v12, v178 offset:160
	ds_read_u16 v37, v178 offset:432
	;; [unrolled: 1-line block ×4, first 2 shown]
	s_waitcnt lgkmcnt(2)
	v_perm_b32 v12, v37, v12, s63
	s_waitcnt lgkmcnt(0)
	v_perm_b32 v13, v42, v13, s63
	s_nop 1
	v_mfma_f32_16x16x16_f16 v[12:15], v[12:13], v[26:27], v[38:41]
	ds_read_u16 v37, v178 offset:4512
	s_nop 1
	ds_read_u16 v38, v178 offset:4784
	ds_read_u16 v39, v178 offset:5056
	;; [unrolled: 1-line block ×3, first 2 shown]
	v_cvt_f32_f16_sdwa v41, v16 dst_sel:DWORD dst_unused:UNUSED_PAD src0_sel:WORD_1
	s_nop 0
	v_cvt_f16_f32_e32 v12, v12
	v_cvt_f16_f32_e32 v13, v13
	;; [unrolled: 1-line block ×4, first 2 shown]
	s_waitcnt lgkmcnt(0)
	v_perm_b32 v39, v40, v39, s63
	v_perm_b32 v38, v38, v37, s63
	v_cvt_f32_f16_e32 v12, v12
	v_cvt_f32_f16_e32 v13, v13
	;; [unrolled: 1-line block ×4, first 2 shown]
	s_nop 1
	v_mfma_f32_16x16x16_f16 v[12:15], v[38:39], v[24:25], v[12:15]
	ds_read_u16 v37, v178 offset:8864
	ds_read_u16 v38, v178 offset:9136
	;; [unrolled: 1-line block ×4, first 2 shown]
	s_nop 3
	v_cvt_f16_f32_e32 v12, v12
	v_cvt_f16_f32_e32 v13, v13
	;; [unrolled: 1-line block ×4, first 2 shown]
	s_waitcnt lgkmcnt(0)
	v_perm_b32 v39, v40, v39, s63
	v_perm_b32 v38, v38, v37, s63
	v_cvt_f32_f16_e32 v12, v12
	v_cvt_f32_f16_e32 v13, v13
	;; [unrolled: 1-line block ×4, first 2 shown]
	s_nop 1
	v_mfma_f32_16x16x16_f16 v[12:15], v[38:39], v[22:23], v[12:15]
	ds_read_u16 v37, v178 offset:13216
	ds_read_u16 v38, v178 offset:13488
	;; [unrolled: 1-line block ×4, first 2 shown]
	s_nop 3
	v_cvt_f16_f32_e32 v12, v12
	v_cvt_f16_f32_e32 v13, v13
	;; [unrolled: 1-line block ×4, first 2 shown]
	s_waitcnt lgkmcnt(0)
	v_perm_b32 v39, v40, v39, s63
	v_perm_b32 v38, v38, v37, s63
	v_cvt_f32_f16_e32 v12, v12
	v_cvt_f32_f16_e32 v13, v13
	;; [unrolled: 1-line block ×5, first 2 shown]
	s_nop 0
	v_mfma_f32_16x16x16_f16 v[12:15], v[38:39], v[18:19], v[12:15]
	v_cvt_f32_f16_e32 v38, v17
	v_cvt_f32_f16_sdwa v39, v17 dst_sel:DWORD dst_unused:UNUSED_PAD src0_sel:WORD_1
	s_nop 5
	v_cvt_f16_f32_e32 v14, v14
	v_cvt_f16_f32_e32 v15, v15
	v_perm_b32 v37, v15, v14, s63
	ds_read_u16 v14, v178 offset:192
	ds_read_u16 v42, v178 offset:464
	ds_read_u16 v15, v178 offset:736
	ds_read_u16 v43, v179 offset:192
	s_waitcnt lgkmcnt(2)
	v_perm_b32 v14, v42, v14, s63
	v_cvt_f32_f16_e32 v42, v34
	s_waitcnt lgkmcnt(0)
	v_perm_b32 v15, v43, v15, s63
	v_cvt_f32_f16_sdwa v43, v34 dst_sel:DWORD dst_unused:UNUSED_PAD src0_sel:WORD_1
	s_nop 0
	v_mfma_f32_16x16x16_f16 v[14:17], v[14:15], v[26:27], v[38:41]
	s_nop 2
	ds_read_u16 v38, v178 offset:4544
	ds_read_u16 v40, v178 offset:4816
	;; [unrolled: 1-line block ×4, first 2 shown]
	s_nop 0
	v_cvt_f16_f32_e32 v14, v14
	v_cvt_f16_f32_e32 v15, v15
	;; [unrolled: 1-line block ×4, first 2 shown]
	s_waitcnt lgkmcnt(0)
	v_perm_b32 v39, v41, v39, s63
	v_perm_b32 v38, v40, v38, s63
	v_cvt_f32_f16_e32 v14, v14
	v_cvt_f32_f16_e32 v15, v15
	;; [unrolled: 1-line block ×4, first 2 shown]
	s_nop 1
	v_mfma_f32_16x16x16_f16 v[14:17], v[38:39], v[24:25], v[14:17]
	ds_read_u16 v38, v178 offset:8896
	ds_read_u16 v40, v178 offset:9168
	;; [unrolled: 1-line block ×4, first 2 shown]
	s_nop 3
	v_cvt_f16_f32_e32 v14, v14
	v_cvt_f16_f32_e32 v15, v15
	;; [unrolled: 1-line block ×4, first 2 shown]
	s_waitcnt lgkmcnt(0)
	v_perm_b32 v39, v41, v39, s63
	v_perm_b32 v38, v40, v38, s63
	v_cvt_f32_f16_e32 v14, v14
	v_cvt_f32_f16_e32 v15, v15
	;; [unrolled: 1-line block ×4, first 2 shown]
	s_nop 1
	v_mfma_f32_16x16x16_f16 v[14:17], v[38:39], v[22:23], v[14:17]
	ds_read_u16 v38, v178 offset:13248
	ds_read_u16 v40, v178 offset:13520
	;; [unrolled: 1-line block ×4, first 2 shown]
	s_nop 3
	v_cvt_f16_f32_e32 v14, v14
	v_cvt_f16_f32_e32 v15, v15
	;; [unrolled: 1-line block ×4, first 2 shown]
	s_waitcnt lgkmcnt(0)
	v_perm_b32 v39, v41, v39, s63
	v_perm_b32 v38, v40, v38, s63
	v_cvt_f32_f16_e32 v14, v14
	v_cvt_f32_f16_e32 v15, v15
	;; [unrolled: 1-line block ×5, first 2 shown]
	v_cvt_f32_f16_sdwa v41, v35 dst_sel:DWORD dst_unused:UNUSED_PAD src0_sel:WORD_1
	v_mfma_f32_16x16x16_f16 v[14:17], v[38:39], v[18:19], v[14:17]
	s_nop 7
	v_cvt_f16_f32_e32 v16, v16
	v_cvt_f16_f32_e32 v17, v17
	v_perm_b32 v38, v17, v16, s63
	ds_read_u16 v16, v178 offset:224
	ds_read_u16 v39, v178 offset:496
	;; [unrolled: 1-line block ×4, first 2 shown]
	s_waitcnt lgkmcnt(2)
	v_perm_b32 v16, v39, v16, s63
	s_waitcnt lgkmcnt(0)
	v_perm_b32 v17, v44, v17, s63
	ds_read_u16 v34, v178 offset:4576
	ds_read_u16 v35, v178 offset:4848
	;; [unrolled: 1-line block ×4, first 2 shown]
	v_mfma_f32_16x16x16_f16 v[40:43], v[16:17], v[26:27], v[40:43]
	s_nop 7
	v_cvt_f16_f32_e32 v16, v40
	v_cvt_f16_f32_e32 v17, v41
	;; [unrolled: 1-line block ×4, first 2 shown]
	v_cvt_f32_f16_e32 v40, v16
	v_cvt_f32_f16_e32 v41, v17
	s_waitcnt lgkmcnt(0)
	v_perm_b32 v17, v44, v39, s63
	v_perm_b32 v16, v35, v34, s63
	v_cvt_f32_f16_e32 v42, v26
	v_cvt_f32_f16_e32 v43, v27
	s_nop 1
	v_mfma_f32_16x16x16_f16 v[24:27], v[16:17], v[24:25], v[40:43]
	ds_read_u16 v34, v178 offset:8928
	ds_read_u16 v35, v178 offset:9200
	;; [unrolled: 1-line block ×4, first 2 shown]
	s_nop 3
	v_cvt_f16_f32_e32 v16, v24
	v_cvt_f16_f32_e32 v17, v25
	;; [unrolled: 1-line block ×4, first 2 shown]
	v_cvt_f32_f16_e32 v24, v16
	v_cvt_f32_f16_e32 v25, v17
	s_waitcnt lgkmcnt(0)
	v_perm_b32 v17, v40, v39, s63
	v_perm_b32 v16, v35, v34, s63
	v_cvt_f32_f16_e32 v26, v26
	v_cvt_f32_f16_e32 v27, v27
	s_nop 1
	v_mfma_f32_16x16x16_f16 v[22:25], v[16:17], v[22:23], v[24:27]
	ds_read_u16 v16, v178 offset:13280
	ds_read_u16 v17, v178 offset:13552
	s_nop 0
	ds_read_u16 v26, v178 offset:13824
	ds_read_u16 v27, v179 offset:13280
	s_waitcnt lgkmcnt(0)
	s_barrier
	s_nop 0
	v_cvt_f16_f32_e32 v22, v22
	v_cvt_f16_f32_e32 v23, v23
	;; [unrolled: 1-line block ×4, first 2 shown]
	v_perm_b32 v27, v27, v26, s63
	v_perm_b32 v26, v17, v16, s63
	v_cvt_f32_f16_e32 v22, v22
	v_cvt_f32_f16_e32 v23, v23
	;; [unrolled: 1-line block ×4, first 2 shown]
	s_nop 1
	v_mfma_f32_16x16x16_f16 v[16:19], v[26:27], v[18:19], v[22:25]
	s_nop 7
	v_cvt_f16_f32_e32 v18, v18
	v_cvt_f16_f32_e32 v19, v19
	v_perm_b32 v18, v19, v18, s63
	ds_bpermute_b32 v19, v28, v29
	s_waitcnt lgkmcnt(0)
	v_add_f32_e32 v19, v29, v19
	ds_bpermute_b32 v21, v21, v19
	s_waitcnt lgkmcnt(0)
	v_add_f32_e32 v21, v19, v21
	s_cbranch_vccnz .LBB25_220
; %bb.219:                              ;   in Loop: Header=BB25_14 Depth=1
	v_lshlrev_b32_e32 v19, 2, v76
	v_readfirstlane_b32 s4, v132
	v_readfirstlane_b32 s5, v133
	v_cvt_pk_f16_f32 v2, v2, v3
	v_cvt_pk_f16_f32 v3, v4, v5
	;; [unrolled: 1-line block ×3, first 2 shown]
	v_max_f32_e32 v6, v20, v20
	v_cvt_pk_f16_f32 v22, v10, v11
	global_load_dword v19, v19, s[4:5]
	v_cvt_pk_f16_f32 v5, v8, v9
	v_cvt_pk_f16_f32 v12, v12, v13
	;; [unrolled: 1-line block ×4, first 2 shown]
	s_waitcnt vmcnt(0)
	v_max_f32_e32 v7, v19, v19
	v_max_f32_e32 v10, v6, v7
	v_sub_f32_e32 v6, v20, v10
	v_sub_f32_e32 v7, v19, v10
	v_mul_f32_e32 v8, 0x3fb8aa3b, v6
	v_mul_f32_e32 v9, 0x3fb8aa3b, v7
	v_fma_f32 v11, v6, s61, -v8
	v_rndne_f32_e32 v13, v8
	v_fma_f32 v19, v7, s61, -v9
	v_rndne_f32_e32 v20, v9
	v_fmac_f32_e32 v11, 0x32a5705f, v6
	v_sub_f32_e32 v8, v8, v13
	v_fmac_f32_e32 v19, 0x32a5705f, v7
	v_sub_f32_e32 v9, v9, v20
	v_add_f32_e32 v8, v8, v11
	v_cvt_i32_f32_e32 v13, v13
	v_add_f32_e32 v9, v9, v19
	v_exp_f32_e32 v8, v8
	v_cvt_i32_f32_e32 v20, v20
	v_exp_f32_e32 v9, v9
	v_cmp_ngt_f32_e32 vcc, s30, v6
	v_ldexp_f32 v8, v8, v13
	v_ldexp_f32 v9, v9, v20
	v_cndmask_b32_e32 v8, 0, v8, vcc
	v_cmp_ngt_f32_e32 vcc, s30, v7
	s_nop 1
	v_cndmask_b32_e32 v9, 0, v9, vcc
	v_cmp_nlt_f32_e32 vcc, s47, v6
	s_nop 1
	v_cndmask_b32_e32 v8, v253, v8, vcc
	v_cmp_le_f32_e32 vcc, s1, v6
	s_nop 1
	v_cndmask_b32_e32 v6, 0, v8, vcc
	v_cvt_f16_f32_e32 v8, v6
	v_cmp_nlt_f32_e32 vcc, s47, v7
	v_mul_u32_u24_e32 v13, 0x10001, v8
	s_nop 0
	v_cndmask_b32_e32 v11, v253, v9, vcc
	v_fmac_f32_e32 v11, v21, v6
	v_pk_mul_f16 v9, v2, v13
	v_pk_mul_f16 v30, v30, v13
	;; [unrolled: 1-line block ×16, first 2 shown]
	v_mov_b64_e32 v[20:21], v[10:11]
	s_branch .LBB25_221
.LBB25_220:                             ;   in Loop: Header=BB25_14 Depth=1
	v_cvt_f16_f32_e32 v19, v2
	v_cvt_f16_f32_e32 v22, v3
	;; [unrolled: 1-line block ×16, first 2 shown]
	v_perm_b32 v2, v9, v2, s63
	v_perm_b32 v3, v10, v3, s63
	;; [unrolled: 1-line block ×8, first 2 shown]
.LBB25_221:                             ;   in Loop: Header=BB25_14 Depth=1
	s_barrier
	s_mov_b64 s[4:5], exec
	v_readlane_b32 s6, v255, 17
	v_readlane_b32 s7, v255, 18
	s_and_b64 s[6:7], s[4:5], s[6:7]
	s_mov_b64 exec, s[6:7]
	s_cbranch_execz .LBB25_223
; %bb.222:                              ;   in Loop: Header=BB25_14 Depth=1
	global_store_dwordx2 v[68:69], v[20:21], off
.LBB25_223:                             ;   in Loop: Header=BB25_14 Depth=1
	s_or_b64 exec, exec, s[4:5]
	v_add_u32_e32 v10, v175, v183
	v_cmp_gt_i32_e64 s[4:5], s24, v79
	v_cmp_gt_i32_e64 s[6:7], s34, v83
	ds_write2_b32 v10, v9, v30 offset1:1
	ds_write2_b32 v10, v8, v31 offset0:8 offset1:9
	ds_write2_b32 v10, v7, v32 offset0:16 offset1:17
	;; [unrolled: 1-line block ×7, first 2 shown]
	v_cmp_le_i32_e32 vcc, s34, v83
	s_and_b64 s[6:7], s[4:5], s[6:7]
	v_mov_b32_e32 v2, 50
	s_waitcnt lgkmcnt(0)
	s_barrier
	s_and_saveexec_b64 s[4:5], s[6:7]
	s_cbranch_execz .LBB25_225
; %bb.224:                              ;   in Loop: Header=BB25_14 Depth=1
	v_add_u32_e32 v2, v193, v236
	ds_read_b32 v5, v2
	v_mad_u64_u32 v[2:3], s[6:7], v79, s25, v[46:47]
	v_lshl_add_u32 v2, v2, 6, v48
	v_ashrrev_i32_e32 v3, 31, v2
	s_waitcnt lgkmcnt(0)
	v_cvt_f32_f16_e32 v4, v5
	v_cvt_f32_f16_sdwa v5, v5 dst_sel:DWORD dst_unused:UNUSED_PAD src0_sel:WORD_1
	v_lshl_add_u64 v[2:3], v[2:3], 3, v[130:131]
	v_pk_add_f32 v[4:5], v[4:5], 0 op_sel_hi:[1,0]
	global_store_dwordx2 v[2:3], v[4:5], off
	v_mov_b32_e32 v2, 0
.LBB25_225:                             ;   in Loop: Header=BB25_14 Depth=1
	s_or_b64 exec, exec, s[4:5]
	v_cmp_gt_i32_e64 s[4:5], 50, v2
	s_mov_b64 s[6:7], -1
	s_and_saveexec_b64 s[52:53], s[4:5]
; %bb.226:                              ;   in Loop: Header=BB25_14 Depth=1
	v_cmp_eq_u32_e64 s[4:5], 0, v2
	s_orn2_b64 s[6:7], s[4:5], exec
; %bb.227:                              ;   in Loop: Header=BB25_14 Depth=1
	s_or_b64 exec, exec, s[52:53]
	s_mov_b64 s[70:71], 0
	s_mov_b64 s[68:69], 0
                                        ; implicit-def: $vgpr4_vgpr5
                                        ; implicit-def: $vgpr2
	s_and_saveexec_b64 s[72:73], s[6:7]
	s_cbranch_execz .LBB25_315
; %bb.228:                              ;   in Loop: Header=BB25_14 Depth=1
	v_cmp_gt_i32_e64 s[4:5], s24, v211
	v_cmp_gt_i32_e64 s[6:7], s34, v207
	s_and_b64 s[6:7], s[4:5], s[6:7]
	v_mov_b32_e32 v2, 50
	s_and_saveexec_b64 s[4:5], s[6:7]
	s_cbranch_execz .LBB25_230
; %bb.229:                              ;   in Loop: Header=BB25_14 Depth=1
	v_add_u32_e32 v2, v193, v184
	ds_read_b32 v5, v2
	v_mad_u64_u32 v[2:3], s[6:7], v211, s25, v[80:81]
	v_lshl_add_u32 v2, v2, 6, v48
	v_ashrrev_i32_e32 v3, 31, v2
	s_waitcnt lgkmcnt(0)
	v_cvt_f32_f16_e32 v4, v5
	v_cvt_f32_f16_sdwa v5, v5 dst_sel:DWORD dst_unused:UNUSED_PAD src0_sel:WORD_1
	v_lshl_add_u64 v[2:3], v[2:3], 3, v[130:131]
	v_pk_add_f32 v[4:5], v[4:5], 0 op_sel_hi:[1,0]
	global_store_dwordx2 v[2:3], v[4:5], off
	v_mov_b32_e32 v2, 0
.LBB25_230:                             ;   in Loop: Header=BB25_14 Depth=1
	s_or_b64 exec, exec, s[4:5]
	v_cmp_gt_i32_e64 s[4:5], 50, v2
	s_mov_b64 s[52:53], -1
	s_and_saveexec_b64 s[6:7], s[4:5]
; %bb.231:                              ;   in Loop: Header=BB25_14 Depth=1
	v_cmp_eq_u32_e64 s[4:5], 0, v2
	s_orn2_b64 s[52:53], s[4:5], exec
; %bb.232:                              ;   in Loop: Header=BB25_14 Depth=1
	s_or_b64 exec, exec, s[6:7]
	s_mov_b64 s[4:5], 0
                                        ; implicit-def: $vgpr4_vgpr5
                                        ; implicit-def: $vgpr2
	s_and_saveexec_b64 s[6:7], s[52:53]
	s_cbranch_execz .LBB25_314
; %bb.233:                              ;   in Loop: Header=BB25_14 Depth=1
	v_cmp_gt_i32_e64 s[4:5], s24, v213
	s_xor_b64 s[78:79], vcc, -1
	s_and_b64 s[52:53], s[4:5], s[78:79]
	v_mov_b32_e32 v2, 50
	s_and_saveexec_b64 s[4:5], s[52:53]
	s_cbranch_execz .LBB25_235
; %bb.234:                              ;   in Loop: Header=BB25_14 Depth=1
	v_add_u32_e32 v2, v193, v185
	ds_read_b32 v5, v2
	v_mad_u64_u32 v[2:3], s[52:53], v213, s25, v[46:47]
	v_lshl_add_u32 v2, v2, 6, v48
	v_ashrrev_i32_e32 v3, 31, v2
	s_waitcnt lgkmcnt(0)
	v_cvt_f32_f16_e32 v4, v5
	v_cvt_f32_f16_sdwa v5, v5 dst_sel:DWORD dst_unused:UNUSED_PAD src0_sel:WORD_1
	v_lshl_add_u64 v[2:3], v[2:3], 3, v[130:131]
	v_pk_add_f32 v[4:5], v[4:5], 0 op_sel_hi:[1,0]
	global_store_dwordx2 v[2:3], v[4:5], off
	v_mov_b32_e32 v2, 0
.LBB25_235:                             ;   in Loop: Header=BB25_14 Depth=1
	s_or_b64 exec, exec, s[4:5]
	v_cmp_gt_i32_e32 vcc, 50, v2
	s_mov_b64 s[52:53], -1
	s_and_saveexec_b64 s[4:5], vcc
; %bb.236:                              ;   in Loop: Header=BB25_14 Depth=1
	v_cmp_eq_u32_e32 vcc, 0, v2
	s_orn2_b64 s[52:53], vcc, exec
; %bb.237:                              ;   in Loop: Header=BB25_14 Depth=1
	s_or_b64 exec, exec, s[4:5]
	s_mov_b64 s[4:5], 0
                                        ; implicit-def: $vgpr4_vgpr5
                                        ; implicit-def: $vgpr2
	s_and_saveexec_b64 s[68:69], s[52:53]
	s_cbranch_execz .LBB25_313
; %bb.238:                              ;   in Loop: Header=BB25_14 Depth=1
	v_cmp_gt_i32_e32 vcc, s24, v226
	v_cmp_gt_i32_e64 s[4:5], s34, v210
	s_and_b64 s[52:53], vcc, s[4:5]
	v_mov_b32_e32 v2, 50
	s_and_saveexec_b64 s[4:5], s[52:53]
	s_cbranch_execz .LBB25_240
; %bb.239:                              ;   in Loop: Header=BB25_14 Depth=1
	v_add_u32_e32 v2, v193, v186
	ds_read_b32 v5, v2
	v_mad_u64_u32 v[2:3], s[52:53], v226, s25, v[84:85]
	v_lshl_add_u32 v2, v2, 6, v48
	v_ashrrev_i32_e32 v3, 31, v2
	s_waitcnt lgkmcnt(0)
	v_cvt_f32_f16_e32 v4, v5
	v_cvt_f32_f16_sdwa v5, v5 dst_sel:DWORD dst_unused:UNUSED_PAD src0_sel:WORD_1
	v_lshl_add_u64 v[2:3], v[2:3], 3, v[130:131]
	v_pk_add_f32 v[4:5], v[4:5], 0 op_sel_hi:[1,0]
	global_store_dwordx2 v[2:3], v[4:5], off
	v_mov_b32_e32 v2, 0
.LBB25_240:                             ;   in Loop: Header=BB25_14 Depth=1
	s_or_b64 exec, exec, s[4:5]
	v_cmp_gt_i32_e32 vcc, 50, v2
	s_mov_b64 s[52:53], -1
	s_and_saveexec_b64 s[4:5], vcc
; %bb.241:                              ;   in Loop: Header=BB25_14 Depth=1
	v_cmp_eq_u32_e32 vcc, 0, v2
	s_orn2_b64 s[52:53], vcc, exec
; %bb.242:                              ;   in Loop: Header=BB25_14 Depth=1
	s_or_b64 exec, exec, s[4:5]
	s_mov_b64 s[4:5], 0
                                        ; implicit-def: $vgpr4_vgpr5
                                        ; implicit-def: $vgpr2
	s_and_saveexec_b64 s[74:75], s[52:53]
	s_cbranch_execz .LBB25_312
; %bb.243:                              ;   in Loop: Header=BB25_14 Depth=1
	v_cmp_gt_i32_e32 vcc, s24, v215
	s_and_b64 s[52:53], vcc, s[78:79]
	v_mov_b32_e32 v2, 50
	s_and_saveexec_b64 s[4:5], s[52:53]
	s_cbranch_execz .LBB25_245
; %bb.244:                              ;   in Loop: Header=BB25_14 Depth=1
	scratch_load_dword v2, off, off offset:12 ; 4-byte Folded Reload
	s_waitcnt vmcnt(0)
	ds_read_b32 v5, v2
	v_mad_u64_u32 v[2:3], s[52:53], v215, s25, v[46:47]
	v_lshl_add_u32 v2, v2, 6, v48
	v_ashrrev_i32_e32 v3, 31, v2
	s_waitcnt lgkmcnt(0)
	v_cvt_f32_f16_e32 v4, v5
	v_cvt_f32_f16_sdwa v5, v5 dst_sel:DWORD dst_unused:UNUSED_PAD src0_sel:WORD_1
	v_lshl_add_u64 v[2:3], v[2:3], 3, v[130:131]
	v_pk_add_f32 v[4:5], v[4:5], 0 op_sel_hi:[1,0]
	global_store_dwordx2 v[2:3], v[4:5], off
	v_mov_b32_e32 v2, 0
.LBB25_245:                             ;   in Loop: Header=BB25_14 Depth=1
	s_or_b64 exec, exec, s[4:5]
	v_cmp_gt_i32_e32 vcc, 50, v2
	s_mov_b64 s[52:53], -1
	s_and_saveexec_b64 s[4:5], vcc
; %bb.246:                              ;   in Loop: Header=BB25_14 Depth=1
	v_cmp_eq_u32_e32 vcc, 0, v2
	s_orn2_b64 s[52:53], vcc, exec
; %bb.247:                              ;   in Loop: Header=BB25_14 Depth=1
	s_or_b64 exec, exec, s[4:5]
	s_mov_b64 s[4:5], 0
                                        ; implicit-def: $vgpr4_vgpr5
                                        ; implicit-def: $vgpr2
	s_and_saveexec_b64 s[76:77], s[52:53]
	s_cbranch_execz .LBB25_311
; %bb.248:                              ;   in Loop: Header=BB25_14 Depth=1
	v_cmp_gt_i32_e32 vcc, s24, v254
	v_cmp_gt_i32_e64 s[4:5], s34, v212
	s_and_b64 s[52:53], vcc, s[4:5]
	v_mov_b32_e32 v2, 50
	s_and_saveexec_b64 s[4:5], s[52:53]
	s_cbranch_execz .LBB25_250
; %bb.249:                              ;   in Loop: Header=BB25_14 Depth=1
	v_add_u32_e32 v2, v193, v186
	ds_read_b32 v5, v2 offset:2176
	v_mad_u64_u32 v[2:3], s[52:53], v254, s25, v[88:89]
	v_lshl_add_u32 v2, v2, 6, v48
	v_ashrrev_i32_e32 v3, 31, v2
	s_waitcnt lgkmcnt(0)
	v_cvt_f32_f16_e32 v4, v5
	v_cvt_f32_f16_sdwa v5, v5 dst_sel:DWORD dst_unused:UNUSED_PAD src0_sel:WORD_1
	v_lshl_add_u64 v[2:3], v[2:3], 3, v[130:131]
	v_pk_add_f32 v[4:5], v[4:5], 0 op_sel_hi:[1,0]
	global_store_dwordx2 v[2:3], v[4:5], off
	v_mov_b32_e32 v2, 0
.LBB25_250:                             ;   in Loop: Header=BB25_14 Depth=1
	s_or_b64 exec, exec, s[4:5]
	v_cmp_gt_i32_e32 vcc, 50, v2
	s_mov_b64 s[52:53], -1
	s_and_saveexec_b64 s[4:5], vcc
; %bb.251:                              ;   in Loop: Header=BB25_14 Depth=1
	v_cmp_eq_u32_e32 vcc, 0, v2
	s_orn2_b64 s[52:53], vcc, exec
; %bb.252:                              ;   in Loop: Header=BB25_14 Depth=1
	s_or_b64 exec, exec, s[4:5]
	s_mov_b64 s[4:5], 0
                                        ; implicit-def: $vgpr4_vgpr5
                                        ; implicit-def: $vgpr2
	s_and_saveexec_b64 s[80:81], s[52:53]
	s_cbranch_execz .LBB25_310
; %bb.253:                              ;   in Loop: Header=BB25_14 Depth=1
	v_cmp_gt_i32_e32 vcc, s24, v222
	s_and_b64 s[52:53], vcc, s[78:79]
	v_mov_b32_e32 v2, 50
	s_and_saveexec_b64 s[4:5], s[52:53]
	s_cbranch_execz .LBB25_255
; %bb.254:                              ;   in Loop: Header=BB25_14 Depth=1
	v_add_u32_e32 v2, v193, v186
	ds_read_b32 v5, v2 offset:3264
	v_mad_u64_u32 v[2:3], s[52:53], v222, s25, v[46:47]
	v_lshl_add_u32 v2, v2, 6, v48
	v_ashrrev_i32_e32 v3, 31, v2
	s_waitcnt lgkmcnt(0)
	v_cvt_f32_f16_e32 v4, v5
	v_cvt_f32_f16_sdwa v5, v5 dst_sel:DWORD dst_unused:UNUSED_PAD src0_sel:WORD_1
	v_lshl_add_u64 v[2:3], v[2:3], 3, v[130:131]
	v_pk_add_f32 v[4:5], v[4:5], 0 op_sel_hi:[1,0]
	global_store_dwordx2 v[2:3], v[4:5], off
	v_mov_b32_e32 v2, 0
.LBB25_255:                             ;   in Loop: Header=BB25_14 Depth=1
	s_or_b64 exec, exec, s[4:5]
	v_cmp_gt_i32_e32 vcc, 50, v2
	s_mov_b64 s[52:53], -1
	s_and_saveexec_b64 s[4:5], vcc
; %bb.256:                              ;   in Loop: Header=BB25_14 Depth=1
	v_cmp_eq_u32_e32 vcc, 0, v2
	s_orn2_b64 s[52:53], vcc, exec
; %bb.257:                              ;   in Loop: Header=BB25_14 Depth=1
	s_or_b64 exec, exec, s[4:5]
	s_mov_b64 s[4:5], 0
                                        ; implicit-def: $vgpr4_vgpr5
                                        ; implicit-def: $vgpr2
	s_and_saveexec_b64 s[82:83], s[52:53]
	s_cbranch_execz .LBB25_309
; %bb.258:                              ;   in Loop: Header=BB25_14 Depth=1
	v_cmp_gt_i32_e32 vcc, s24, v221
	v_cmp_gt_i32_e64 s[4:5], s34, v216
	s_and_b64 s[52:53], vcc, s[4:5]
	v_mov_b32_e32 v2, 50
	s_and_saveexec_b64 s[4:5], s[52:53]
	s_cbranch_execz .LBB25_260
; %bb.259:                              ;   in Loop: Header=BB25_14 Depth=1
	v_add_u32_e32 v2, v193, v186
	ds_read_b32 v5, v2 offset:4352
	v_mad_u64_u32 v[2:3], s[52:53], v221, s25, v[92:93]
	v_lshl_add_u32 v2, v2, 6, v48
	v_ashrrev_i32_e32 v3, 31, v2
	s_waitcnt lgkmcnt(0)
	v_cvt_f32_f16_e32 v4, v5
	v_cvt_f32_f16_sdwa v5, v5 dst_sel:DWORD dst_unused:UNUSED_PAD src0_sel:WORD_1
	v_lshl_add_u64 v[2:3], v[2:3], 3, v[130:131]
	v_pk_add_f32 v[4:5], v[4:5], 0 op_sel_hi:[1,0]
	global_store_dwordx2 v[2:3], v[4:5], off
	v_mov_b32_e32 v2, 0
.LBB25_260:                             ;   in Loop: Header=BB25_14 Depth=1
	s_or_b64 exec, exec, s[4:5]
	v_cmp_gt_i32_e32 vcc, 50, v2
	s_mov_b64 s[52:53], -1
	s_and_saveexec_b64 s[4:5], vcc
; %bb.261:                              ;   in Loop: Header=BB25_14 Depth=1
	v_cmp_eq_u32_e32 vcc, 0, v2
	s_orn2_b64 s[52:53], vcc, exec
; %bb.262:                              ;   in Loop: Header=BB25_14 Depth=1
	s_or_b64 exec, exec, s[4:5]
	s_mov_b64 s[4:5], 0
                                        ; implicit-def: $vgpr4_vgpr5
                                        ; implicit-def: $vgpr2
	s_and_saveexec_b64 s[84:85], s[52:53]
	s_cbranch_execz .LBB25_308
; %bb.263:                              ;   in Loop: Header=BB25_14 Depth=1
	v_cmp_gt_i32_e32 vcc, s24, v220
	s_and_b64 s[52:53], vcc, s[78:79]
	v_mov_b32_e32 v2, 50
	s_and_saveexec_b64 s[4:5], s[52:53]
	s_cbranch_execz .LBB25_265
; %bb.264:                              ;   in Loop: Header=BB25_14 Depth=1
	scratch_load_dword v2, off, off offset:36 ; 4-byte Folded Reload
	s_waitcnt vmcnt(0)
	ds_read_b32 v5, v2
	v_mad_u64_u32 v[2:3], s[52:53], v220, s25, v[46:47]
	v_lshl_add_u32 v2, v2, 6, v48
	v_ashrrev_i32_e32 v3, 31, v2
	s_waitcnt lgkmcnt(0)
	v_cvt_f32_f16_e32 v4, v5
	v_cvt_f32_f16_sdwa v5, v5 dst_sel:DWORD dst_unused:UNUSED_PAD src0_sel:WORD_1
	v_lshl_add_u64 v[2:3], v[2:3], 3, v[130:131]
	v_pk_add_f32 v[4:5], v[4:5], 0 op_sel_hi:[1,0]
	global_store_dwordx2 v[2:3], v[4:5], off
	v_mov_b32_e32 v2, 0
.LBB25_265:                             ;   in Loop: Header=BB25_14 Depth=1
	s_or_b64 exec, exec, s[4:5]
	v_cmp_gt_i32_e32 vcc, 50, v2
	s_mov_b64 s[52:53], -1
	s_and_saveexec_b64 s[4:5], vcc
; %bb.266:                              ;   in Loop: Header=BB25_14 Depth=1
	v_cmp_eq_u32_e32 vcc, 0, v2
	s_orn2_b64 s[52:53], vcc, exec
; %bb.267:                              ;   in Loop: Header=BB25_14 Depth=1
	s_or_b64 exec, exec, s[4:5]
	s_mov_b64 s[4:5], 0
                                        ; implicit-def: $vgpr4_vgpr5
                                        ; implicit-def: $vgpr2
	s_and_saveexec_b64 s[86:87], s[52:53]
	s_cbranch_execz .LBB25_307
; %bb.268:                              ;   in Loop: Header=BB25_14 Depth=1
	v_cmp_gt_i32_e32 vcc, s24, v218
	v_cmp_gt_i32_e64 s[4:5], s34, v219
	s_and_b64 s[52:53], vcc, s[4:5]
	v_mov_b32_e32 v2, 50
	s_and_saveexec_b64 s[4:5], s[52:53]
	s_cbranch_execz .LBB25_270
; %bb.269:                              ;   in Loop: Header=BB25_14 Depth=1
	v_add_u32_e32 v2, v193, v186
	ds_read_b32 v5, v2 offset:6528
	v_mad_u64_u32 v[2:3], s[52:53], v218, s25, v[96:97]
	v_lshl_add_u32 v2, v2, 6, v48
	v_ashrrev_i32_e32 v3, 31, v2
	s_waitcnt lgkmcnt(0)
	v_cvt_f32_f16_e32 v4, v5
	v_cvt_f32_f16_sdwa v5, v5 dst_sel:DWORD dst_unused:UNUSED_PAD src0_sel:WORD_1
	v_lshl_add_u64 v[2:3], v[2:3], 3, v[130:131]
	v_pk_add_f32 v[4:5], v[4:5], 0 op_sel_hi:[1,0]
	global_store_dwordx2 v[2:3], v[4:5], off
	v_mov_b32_e32 v2, 0
.LBB25_270:                             ;   in Loop: Header=BB25_14 Depth=1
	s_or_b64 exec, exec, s[4:5]
	v_cmp_gt_i32_e32 vcc, 50, v2
	s_mov_b64 s[52:53], -1
	s_and_saveexec_b64 s[4:5], vcc
; %bb.271:                              ;   in Loop: Header=BB25_14 Depth=1
	v_cmp_eq_u32_e32 vcc, 0, v2
	s_orn2_b64 s[52:53], vcc, exec
; %bb.272:                              ;   in Loop: Header=BB25_14 Depth=1
	s_or_b64 exec, exec, s[4:5]
	s_mov_b64 s[4:5], 0
                                        ; implicit-def: $vgpr4_vgpr5
                                        ; implicit-def: $vgpr2
	s_and_saveexec_b64 s[88:89], s[52:53]
	s_cbranch_execz .LBB25_306
; %bb.273:                              ;   in Loop: Header=BB25_14 Depth=1
	v_cmp_gt_i32_e32 vcc, s24, v217
	s_and_b64 s[52:53], vcc, s[78:79]
	v_mov_b32_e32 v2, 50
	s_and_saveexec_b64 s[4:5], s[52:53]
	s_cbranch_execz .LBB25_275
; %bb.274:                              ;   in Loop: Header=BB25_14 Depth=1
	v_add_u32_e32 v2, v193, v186
	ds_read_b32 v5, v2 offset:7616
	v_mad_u64_u32 v[2:3], s[52:53], v217, s25, v[46:47]
	v_lshl_add_u32 v2, v2, 6, v48
	v_ashrrev_i32_e32 v3, 31, v2
	s_waitcnt lgkmcnt(0)
	v_cvt_f32_f16_e32 v4, v5
	v_cvt_f32_f16_sdwa v5, v5 dst_sel:DWORD dst_unused:UNUSED_PAD src0_sel:WORD_1
	v_lshl_add_u64 v[2:3], v[2:3], 3, v[130:131]
	v_pk_add_f32 v[4:5], v[4:5], 0 op_sel_hi:[1,0]
	global_store_dwordx2 v[2:3], v[4:5], off
	v_mov_b32_e32 v2, 0
.LBB25_275:                             ;   in Loop: Header=BB25_14 Depth=1
	s_or_b64 exec, exec, s[4:5]
	v_cmp_gt_i32_e32 vcc, 50, v2
	s_mov_b64 s[52:53], -1
	s_and_saveexec_b64 s[4:5], vcc
; %bb.276:                              ;   in Loop: Header=BB25_14 Depth=1
	v_cmp_eq_u32_e32 vcc, 0, v2
	s_orn2_b64 s[52:53], vcc, exec
; %bb.277:                              ;   in Loop: Header=BB25_14 Depth=1
	s_or_b64 exec, exec, s[4:5]
	s_mov_b64 s[4:5], 0
                                        ; implicit-def: $vgpr4_vgpr5
                                        ; implicit-def: $vgpr2
	s_and_saveexec_b64 s[90:91], s[52:53]
	s_cbranch_execz .LBB25_305
; %bb.278:                              ;   in Loop: Header=BB25_14 Depth=1
	v_cmp_gt_i32_e32 vcc, s24, v165
	v_cmp_gt_i32_e64 s[4:5], s34, v214
	s_and_b64 s[52:53], vcc, s[4:5]
	v_mov_b32_e32 v2, 50
	s_and_saveexec_b64 s[4:5], s[52:53]
	s_cbranch_execz .LBB25_280
; %bb.279:                              ;   in Loop: Header=BB25_14 Depth=1
	v_add_u32_e32 v2, v193, v186
	ds_read_b32 v5, v2 offset:8704
	v_mad_u64_u32 v[2:3], s[52:53], v165, s25, v[100:101]
	v_lshl_add_u32 v2, v2, 6, v48
	v_ashrrev_i32_e32 v3, 31, v2
	s_waitcnt lgkmcnt(0)
	v_cvt_f32_f16_e32 v4, v5
	v_cvt_f32_f16_sdwa v5, v5 dst_sel:DWORD dst_unused:UNUSED_PAD src0_sel:WORD_1
	v_lshl_add_u64 v[2:3], v[2:3], 3, v[130:131]
	v_pk_add_f32 v[4:5], v[4:5], 0 op_sel_hi:[1,0]
	global_store_dwordx2 v[2:3], v[4:5], off
	v_mov_b32_e32 v2, 0
.LBB25_280:                             ;   in Loop: Header=BB25_14 Depth=1
	s_or_b64 exec, exec, s[4:5]
	v_cmp_gt_i32_e32 vcc, 50, v2
	s_mov_b64 s[52:53], -1
	s_and_saveexec_b64 s[4:5], vcc
; %bb.281:                              ;   in Loop: Header=BB25_14 Depth=1
	v_cmp_eq_u32_e32 vcc, 0, v2
	s_orn2_b64 s[52:53], vcc, exec
; %bb.282:                              ;   in Loop: Header=BB25_14 Depth=1
	s_or_b64 exec, exec, s[4:5]
	s_mov_b64 s[4:5], 0
                                        ; implicit-def: $vgpr4_vgpr5
                                        ; implicit-def: $vgpr2
	s_and_saveexec_b64 s[92:93], s[52:53]
	s_cbranch_execz .LBB25_304
; %bb.283:                              ;   in Loop: Header=BB25_14 Depth=1
	v_cmp_gt_i32_e32 vcc, s24, v164
	s_and_b64 s[52:53], vcc, s[78:79]
	v_mov_b32_e32 v2, 50
	s_and_saveexec_b64 s[4:5], s[52:53]
	s_cbranch_execz .LBB25_285
; %bb.284:                              ;   in Loop: Header=BB25_14 Depth=1
	scratch_load_dword v2, off, off offset:60 ; 4-byte Folded Reload
	s_waitcnt vmcnt(0)
	ds_read_b32 v5, v2
	v_mad_u64_u32 v[2:3], s[52:53], v164, s25, v[46:47]
	v_lshl_add_u32 v2, v2, 6, v48
	v_ashrrev_i32_e32 v3, 31, v2
	s_waitcnt lgkmcnt(0)
	v_cvt_f32_f16_e32 v4, v5
	v_cvt_f32_f16_sdwa v5, v5 dst_sel:DWORD dst_unused:UNUSED_PAD src0_sel:WORD_1
	v_lshl_add_u64 v[2:3], v[2:3], 3, v[130:131]
	v_pk_add_f32 v[4:5], v[4:5], 0 op_sel_hi:[1,0]
	global_store_dwordx2 v[2:3], v[4:5], off
	v_mov_b32_e32 v2, 0
.LBB25_285:                             ;   in Loop: Header=BB25_14 Depth=1
	s_or_b64 exec, exec, s[4:5]
	v_cmp_gt_i32_e32 vcc, 50, v2
	s_mov_b64 s[52:53], -1
	s_and_saveexec_b64 s[4:5], vcc
; %bb.286:                              ;   in Loop: Header=BB25_14 Depth=1
	v_cmp_eq_u32_e32 vcc, 0, v2
	s_orn2_b64 s[52:53], vcc, exec
; %bb.287:                              ;   in Loop: Header=BB25_14 Depth=1
	s_or_b64 exec, exec, s[4:5]
	s_mov_b64 s[4:5], 0
                                        ; implicit-def: $vgpr4_vgpr5
                                        ; implicit-def: $vgpr2
	s_and_saveexec_b64 s[94:95], s[52:53]
	s_cbranch_execz .LBB25_303
; %bb.288:                              ;   in Loop: Header=BB25_14 Depth=1
	v_cmp_gt_i32_e32 vcc, s24, v107
	v_cmp_gt_i32_e64 s[4:5], s34, v111
	s_and_b64 s[52:53], vcc, s[4:5]
	v_mov_b32_e32 v2, 50
	s_and_saveexec_b64 s[4:5], s[52:53]
	s_cbranch_execz .LBB25_290
; %bb.289:                              ;   in Loop: Header=BB25_14 Depth=1
	v_add_u32_e32 v2, v193, v186
	ds_read_b32 v5, v2 offset:10880
	v_mad_u64_u32 v[2:3], s[52:53], v107, s25, v[104:105]
	v_lshl_add_u32 v2, v2, 6, v48
	v_ashrrev_i32_e32 v3, 31, v2
	s_waitcnt lgkmcnt(0)
	v_cvt_f32_f16_e32 v4, v5
	v_cvt_f32_f16_sdwa v5, v5 dst_sel:DWORD dst_unused:UNUSED_PAD src0_sel:WORD_1
	v_lshl_add_u64 v[2:3], v[2:3], 3, v[130:131]
	v_pk_add_f32 v[4:5], v[4:5], 0 op_sel_hi:[1,0]
	global_store_dwordx2 v[2:3], v[4:5], off
	v_mov_b32_e32 v2, 0
.LBB25_290:                             ;   in Loop: Header=BB25_14 Depth=1
	s_or_b64 exec, exec, s[4:5]
	v_cmp_gt_i32_e32 vcc, 50, v2
	s_mov_b64 s[52:53], -1
	s_and_saveexec_b64 s[4:5], vcc
; %bb.291:                              ;   in Loop: Header=BB25_14 Depth=1
	v_cmp_eq_u32_e32 vcc, 0, v2
	s_orn2_b64 s[52:53], vcc, exec
; %bb.292:                              ;   in Loop: Header=BB25_14 Depth=1
	s_or_b64 exec, exec, s[4:5]
	s_mov_b64 s[4:5], 0
                                        ; implicit-def: $vgpr4_vgpr5
                                        ; implicit-def: $vgpr2
	s_and_saveexec_b64 s[96:97], s[52:53]
	s_cbranch_execz .LBB25_302
; %bb.293:                              ;   in Loop: Header=BB25_14 Depth=1
	v_cmp_gt_i32_e32 vcc, s24, v103
	s_and_b64 s[52:53], vcc, s[78:79]
	v_mov_b32_e32 v2, 50
	s_and_saveexec_b64 s[4:5], s[52:53]
	s_cbranch_execz .LBB25_295
; %bb.294:                              ;   in Loop: Header=BB25_14 Depth=1
	v_add_u32_e32 v2, v193, v186
	ds_read_b32 v5, v2 offset:11968
	v_mad_u64_u32 v[2:3], s[52:53], v103, s25, v[46:47]
	v_lshl_add_u32 v2, v2, 6, v48
	v_ashrrev_i32_e32 v3, 31, v2
	s_waitcnt lgkmcnt(0)
	v_cvt_f32_f16_e32 v4, v5
	v_cvt_f32_f16_sdwa v5, v5 dst_sel:DWORD dst_unused:UNUSED_PAD src0_sel:WORD_1
	v_lshl_add_u64 v[2:3], v[2:3], 3, v[130:131]
	v_pk_add_f32 v[4:5], v[4:5], 0 op_sel_hi:[1,0]
	global_store_dwordx2 v[2:3], v[4:5], off
	v_mov_b32_e32 v2, 0
.LBB25_295:                             ;   in Loop: Header=BB25_14 Depth=1
	s_or_b64 exec, exec, s[4:5]
	v_cmp_gt_i32_e32 vcc, 50, v2
	s_mov_b64 s[52:53], -1
	s_and_saveexec_b64 s[4:5], vcc
; %bb.296:                              ;   in Loop: Header=BB25_14 Depth=1
	v_cmp_eq_u32_e32 vcc, 0, v2
	s_orn2_b64 s[52:53], vcc, exec
; %bb.297:                              ;   in Loop: Header=BB25_14 Depth=1
	s_or_b64 exec, exec, s[4:5]
	s_mov_b64 s[4:5], 0
                                        ; implicit-def: $vgpr4_vgpr5
                                        ; implicit-def: $vgpr2
	s_and_saveexec_b64 s[78:79], s[52:53]
	s_cbranch_execz .LBB25_301
; %bb.298:                              ;   in Loop: Header=BB25_14 Depth=1
	v_cmp_gt_i32_e32 vcc, s24, v87
	v_cmp_gt_i32_e64 s[4:5], s34, v99
	s_and_b64 s[52:53], vcc, s[4:5]
	s_mov_b64 s[4:5], 0
                                        ; implicit-def: $vgpr4_vgpr5
                                        ; implicit-def: $vgpr2
	s_and_saveexec_b64 s[98:99], s[52:53]
	s_xor_b64 s[98:99], exec, s[98:99]
	s_cbranch_execz .LBB25_300
; %bb.299:                              ;   in Loop: Header=BB25_14 Depth=1
	v_mad_u64_u32 v[2:3], s[4:5], v87, s25, v[108:109]
	v_add_u32_e32 v3, v193, v186
	ds_read_b32 v3, v3 offset:13056
	s_mov_b64 s[4:5], exec
	s_waitcnt lgkmcnt(0)
	v_cvt_f32_f16_e32 v4, v3
	v_cvt_f32_f16_sdwa v5, v3 dst_sel:DWORD dst_unused:UNUSED_PAD src0_sel:WORD_1
	v_pk_add_f32 v[4:5], v[4:5], 0 op_sel_hi:[1,0]
.LBB25_300:                             ;   in Loop: Header=BB25_14 Depth=1
	s_or_b64 exec, exec, s[98:99]
	s_and_b64 s[4:5], s[4:5], exec
.LBB25_301:                             ;   in Loop: Header=BB25_14 Depth=1
	s_or_b64 exec, exec, s[78:79]
	s_and_b64 s[4:5], s[4:5], exec
.LBB25_302:                             ;   in Loop: Header=BB25_14 Depth=1
	s_or_b64 exec, exec, s[96:97]
	s_and_b64 s[4:5], s[4:5], exec
.LBB25_303:                             ;   in Loop: Header=BB25_14 Depth=1
	s_or_b64 exec, exec, s[94:95]
	s_and_b64 s[4:5], s[4:5], exec
.LBB25_304:                             ;   in Loop: Header=BB25_14 Depth=1
	s_or_b64 exec, exec, s[92:93]
	s_and_b64 s[4:5], s[4:5], exec
.LBB25_305:                             ;   in Loop: Header=BB25_14 Depth=1
	s_or_b64 exec, exec, s[90:91]
	s_and_b64 s[4:5], s[4:5], exec
.LBB25_306:                             ;   in Loop: Header=BB25_14 Depth=1
	s_or_b64 exec, exec, s[88:89]
	s_and_b64 s[4:5], s[4:5], exec
.LBB25_307:                             ;   in Loop: Header=BB25_14 Depth=1
	s_or_b64 exec, exec, s[86:87]
	s_and_b64 s[4:5], s[4:5], exec
.LBB25_308:                             ;   in Loop: Header=BB25_14 Depth=1
	s_or_b64 exec, exec, s[84:85]
	s_and_b64 s[4:5], s[4:5], exec
.LBB25_309:                             ;   in Loop: Header=BB25_14 Depth=1
	s_or_b64 exec, exec, s[82:83]
	s_and_b64 s[4:5], s[4:5], exec
.LBB25_310:                             ;   in Loop: Header=BB25_14 Depth=1
	s_or_b64 exec, exec, s[80:81]
	s_and_b64 s[4:5], s[4:5], exec
.LBB25_311:                             ;   in Loop: Header=BB25_14 Depth=1
	s_or_b64 exec, exec, s[76:77]
	s_and_b64 s[4:5], s[4:5], exec
.LBB25_312:                             ;   in Loop: Header=BB25_14 Depth=1
	s_or_b64 exec, exec, s[74:75]
	s_and_b64 s[4:5], s[4:5], exec
.LBB25_313:                             ;   in Loop: Header=BB25_14 Depth=1
	s_or_b64 exec, exec, s[68:69]
	s_and_b64 s[4:5], s[4:5], exec
.LBB25_314:                             ;   in Loop: Header=BB25_14 Depth=1
	s_or_b64 exec, exec, s[6:7]
	s_and_b64 s[68:69], s[4:5], exec
.LBB25_315:                             ;   in Loop: Header=BB25_14 Depth=1
	s_or_b64 exec, exec, s[72:73]
	s_and_b64 vcc, exec, s[70:71]
	s_cbranch_vccz .LBB25_614
.LBB25_316:                             ;   in Loop: Header=BB25_14 Depth=1
	v_cmp_gt_i32_e64 s[4:5], s24, v79
	v_cmp_gt_i32_e32 vcc, s34, v83
	s_and_b64 s[96:97], s[4:5], vcc
	s_xor_b64 s[4:5], s[96:97], -1
	s_and_saveexec_b64 s[6:7], s[4:5]
	s_xor_b64 s[4:5], exec, s[6:7]
; %bb.317:                              ;   in Loop: Header=BB25_14 Depth=1
	v_add_u32_e32 v2, v193, v236
	ds_write_b32 v2, v53
; %bb.318:                              ;   in Loop: Header=BB25_14 Depth=1
	s_andn2_saveexec_b64 s[4:5], s[4:5]
	s_cbranch_execz .LBB25_320
; %bb.319:                              ;   in Loop: Header=BB25_14 Depth=1
	v_mad_u64_u32 v[2:3], s[6:7], v79, s35, v[78:79]
	v_ashrrev_i32_e32 v3, 31, v2
	v_lshl_add_u64 v[2:3], v[2:3], 3, v[150:151]
	global_load_dwordx2 v[2:3], v[2:3], off
	s_waitcnt vmcnt(0)
	v_cvt_pk_f16_f32 v2, v2, v3
	v_pk_mul_f16 v2, v2, v229
	v_add_u32_e32 v3, v193, v236
	ds_write_b32 v3, v2
.LBB25_320:                             ;   in Loop: Header=BB25_14 Depth=1
	s_or_b64 exec, exec, s[4:5]
	v_add_u32_e32 v216, v237, v95
	v_or_b32_e32 v2, v80, v91
	v_cmp_gt_i32_e64 s[4:5], s24, v216
	v_cmp_gt_i32_e64 s[6:7], s34, v2
	s_and_b64 s[94:95], s[4:5], s[6:7]
	s_xor_b64 s[4:5], s[94:95], -1
	s_and_saveexec_b64 s[6:7], s[4:5]
	s_xor_b64 s[4:5], exec, s[6:7]
; %bb.321:                              ;   in Loop: Header=BB25_14 Depth=1
	v_add_u32_e32 v2, v193, v184
	ds_write_b32 v2, v53
; %bb.322:                              ;   in Loop: Header=BB25_14 Depth=1
	s_andn2_saveexec_b64 s[4:5], s[4:5]
	s_cbranch_execz .LBB25_324
; %bb.323:                              ;   in Loop: Header=BB25_14 Depth=1
	v_mad_u64_u32 v[2:3], s[6:7], v216, s35, v[82:83]
	v_ashrrev_i32_e32 v3, 31, v2
	v_lshl_add_u64 v[2:3], v[2:3], 3, v[150:151]
	global_load_dwordx2 v[2:3], v[2:3], off
	s_waitcnt vmcnt(0)
	v_cvt_pk_f16_f32 v2, v2, v3
	v_pk_mul_f16 v2, v2, v229
	v_add_u32_e32 v3, v193, v184
	ds_write_b32 v3, v2
.LBB25_324:                             ;   in Loop: Header=BB25_14 Depth=1
	s_or_b64 exec, exec, s[4:5]
	v_add_u32_e32 v214, v238, v95
	v_cmp_gt_i32_e64 s[4:5], s24, v214
	s_and_b64 s[92:93], s[4:5], vcc
	s_xor_b64 s[4:5], s[92:93], -1
	s_and_saveexec_b64 s[6:7], s[4:5]
	s_xor_b64 s[4:5], exec, s[6:7]
; %bb.325:                              ;   in Loop: Header=BB25_14 Depth=1
	v_add_u32_e32 v2, v193, v185
	ds_write_b32 v2, v53
; %bb.326:                              ;   in Loop: Header=BB25_14 Depth=1
	s_andn2_saveexec_b64 s[4:5], s[4:5]
	s_cbranch_execz .LBB25_328
; %bb.327:                              ;   in Loop: Header=BB25_14 Depth=1
	v_mad_u64_u32 v[2:3], s[6:7], v214, s35, v[78:79]
	v_ashrrev_i32_e32 v3, 31, v2
	v_lshl_add_u64 v[2:3], v[2:3], 3, v[150:151]
	global_load_dwordx2 v[2:3], v[2:3], off
	s_waitcnt vmcnt(0)
	v_cvt_pk_f16_f32 v2, v2, v3
	v_pk_mul_f16 v2, v2, v229
	v_add_u32_e32 v3, v193, v185
	ds_write_b32 v3, v2
.LBB25_328:                             ;   in Loop: Header=BB25_14 Depth=1
	s_or_b64 exec, exec, s[4:5]
	v_add_u32_e32 v218, v239, v95
	v_or_b32_e32 v2, v84, v91
	v_cmp_gt_i32_e64 s[4:5], s24, v218
	v_cmp_gt_i32_e64 s[6:7], s34, v2
	s_and_b64 s[90:91], s[4:5], s[6:7]
	s_xor_b64 s[4:5], s[90:91], -1
	s_and_saveexec_b64 s[6:7], s[4:5]
	s_xor_b64 s[4:5], exec, s[6:7]
; %bb.329:                              ;   in Loop: Header=BB25_14 Depth=1
	v_add_u32_e32 v2, v193, v186
	ds_write_b32 v2, v53
; %bb.330:                              ;   in Loop: Header=BB25_14 Depth=1
	s_andn2_saveexec_b64 s[4:5], s[4:5]
	s_cbranch_execz .LBB25_332
; %bb.331:                              ;   in Loop: Header=BB25_14 Depth=1
	v_mad_u64_u32 v[2:3], s[6:7], v218, s35, v[86:87]
	v_ashrrev_i32_e32 v3, 31, v2
	v_lshl_add_u64 v[2:3], v[2:3], 3, v[150:151]
	global_load_dwordx2 v[2:3], v[2:3], off
	s_waitcnt vmcnt(0)
	v_cvt_pk_f16_f32 v2, v2, v3
	v_pk_mul_f16 v2, v2, v229
	v_add_u32_e32 v3, v193, v186
	ds_write_b32 v3, v2
.LBB25_332:                             ;   in Loop: Header=BB25_14 Depth=1
	s_or_b64 exec, exec, s[4:5]
	v_add_u32_e32 v220, v240, v95
	v_cmp_gt_i32_e64 s[4:5], s24, v220
	;; [unrolled: 50-line block ×3, first 2 shown]
	s_and_b64 s[84:85], s[4:5], vcc
	s_xor_b64 s[4:5], s[84:85], -1
	s_and_saveexec_b64 s[6:7], s[4:5]
	s_xor_b64 s[4:5], exec, s[6:7]
; %bb.341:                              ;   in Loop: Header=BB25_14 Depth=1
	v_add_u32_e32 v2, v193, v189
	ds_write_b32 v2, v53
; %bb.342:                              ;   in Loop: Header=BB25_14 Depth=1
	s_andn2_saveexec_b64 s[4:5], s[4:5]
	s_cbranch_execz .LBB25_344
; %bb.343:                              ;   in Loop: Header=BB25_14 Depth=1
	v_mad_u64_u32 v[2:3], s[6:7], v222, s35, v[78:79]
	v_ashrrev_i32_e32 v3, 31, v2
	v_lshl_add_u64 v[2:3], v[2:3], 3, v[150:151]
	global_load_dwordx2 v[2:3], v[2:3], off
	s_waitcnt vmcnt(0)
	v_cvt_pk_f16_f32 v2, v2, v3
	v_pk_mul_f16 v2, v2, v229
	v_add_u32_e32 v3, v193, v189
	ds_write_b32 v3, v2
.LBB25_344:                             ;   in Loop: Header=BB25_14 Depth=1
	s_or_b64 exec, exec, s[4:5]
	v_add_u32_e32 v219, v243, v95
	v_or_b32_e32 v2, v92, v91
	v_cmp_gt_i32_e64 s[4:5], s24, v219
	v_cmp_gt_i32_e64 s[6:7], s34, v2
	s_and_b64 s[82:83], s[4:5], s[6:7]
	s_xor_b64 s[4:5], s[82:83], -1
	s_and_saveexec_b64 s[6:7], s[4:5]
	s_xor_b64 s[4:5], exec, s[6:7]
; %bb.345:                              ;   in Loop: Header=BB25_14 Depth=1
	v_add_u32_e32 v2, v193, v189
	ds_write_b32 v2, v53 offset:1088
; %bb.346:                              ;   in Loop: Header=BB25_14 Depth=1
	s_andn2_saveexec_b64 s[4:5], s[4:5]
	s_cbranch_execz .LBB25_348
; %bb.347:                              ;   in Loop: Header=BB25_14 Depth=1
	v_mad_u64_u32 v[2:3], s[6:7], v219, s35, v[94:95]
	v_ashrrev_i32_e32 v3, 31, v2
	v_lshl_add_u64 v[2:3], v[2:3], 3, v[150:151]
	global_load_dwordx2 v[2:3], v[2:3], off
	s_waitcnt vmcnt(0)
	v_cvt_pk_f16_f32 v2, v2, v3
	v_pk_mul_f16 v2, v2, v229
	v_add_u32_e32 v3, v193, v189
	ds_write_b32 v3, v2 offset:1088
.LBB25_348:                             ;   in Loop: Header=BB25_14 Depth=1
	s_or_b64 exec, exec, s[4:5]
	v_add_u32_e32 v221, v244, v95
	v_cmp_gt_i32_e64 s[4:5], s24, v221
	s_and_b64 s[80:81], s[4:5], vcc
	s_xor_b64 s[4:5], s[80:81], -1
	s_and_saveexec_b64 s[6:7], s[4:5]
	s_xor_b64 s[4:5], exec, s[6:7]
; %bb.349:                              ;   in Loop: Header=BB25_14 Depth=1
	v_add_u32_e32 v2, v193, v189
	ds_write_b32 v2, v53 offset:2176
; %bb.350:                              ;   in Loop: Header=BB25_14 Depth=1
	s_andn2_saveexec_b64 s[4:5], s[4:5]
	s_cbranch_execz .LBB25_352
; %bb.351:                              ;   in Loop: Header=BB25_14 Depth=1
	v_mad_u64_u32 v[2:3], s[6:7], v221, s35, v[78:79]
	v_ashrrev_i32_e32 v3, 31, v2
	v_lshl_add_u64 v[2:3], v[2:3], 3, v[150:151]
	global_load_dwordx2 v[2:3], v[2:3], off
	s_waitcnt vmcnt(0)
	v_cvt_pk_f16_f32 v2, v2, v3
	v_pk_mul_f16 v2, v2, v229
	v_add_u32_e32 v3, v193, v189
	ds_write_b32 v3, v2 offset:2176
.LBB25_352:                             ;   in Loop: Header=BB25_14 Depth=1
	s_or_b64 exec, exec, s[4:5]
	v_add_u32_e32 v254, v245, v95
	v_or_b32_e32 v2, v96, v91
	v_cmp_gt_i32_e64 s[4:5], s24, v254
	v_cmp_gt_i32_e64 s[6:7], s34, v2
	s_and_b64 s[78:79], s[4:5], s[6:7]
	s_xor_b64 s[4:5], s[78:79], -1
	s_and_saveexec_b64 s[6:7], s[4:5]
	s_xor_b64 s[4:5], exec, s[6:7]
; %bb.353:                              ;   in Loop: Header=BB25_14 Depth=1
	v_add_u32_e32 v2, v193, v189
	ds_write_b32 v2, v53 offset:3264
; %bb.354:                              ;   in Loop: Header=BB25_14 Depth=1
	s_andn2_saveexec_b64 s[4:5], s[4:5]
	s_cbranch_execz .LBB25_356
; %bb.355:                              ;   in Loop: Header=BB25_14 Depth=1
	v_mad_u64_u32 v[2:3], s[6:7], v254, s35, v[98:99]
	v_ashrrev_i32_e32 v3, 31, v2
	v_lshl_add_u64 v[2:3], v[2:3], 3, v[150:151]
	global_load_dwordx2 v[2:3], v[2:3], off
	s_waitcnt vmcnt(0)
	v_cvt_pk_f16_f32 v2, v2, v3
	v_pk_mul_f16 v2, v2, v229
	v_add_u32_e32 v3, v193, v189
	ds_write_b32 v3, v2 offset:3264
.LBB25_356:                             ;   in Loop: Header=BB25_14 Depth=1
	s_or_b64 exec, exec, s[4:5]
	v_add_u32_e32 v111, v246, v95
	v_cmp_gt_i32_e64 s[4:5], s24, v111
	s_and_b64 s[76:77], s[4:5], vcc
	s_xor_b64 s[4:5], s[76:77], -1
	s_and_saveexec_b64 s[6:7], s[4:5]
	s_xor_b64 s[4:5], exec, s[6:7]
; %bb.357:                              ;   in Loop: Header=BB25_14 Depth=1
	v_add_u32_e32 v2, v193, v189
	ds_write_b32 v2, v53 offset:4352
; %bb.358:                              ;   in Loop: Header=BB25_14 Depth=1
	s_andn2_saveexec_b64 s[4:5], s[4:5]
	s_cbranch_execz .LBB25_360
; %bb.359:                              ;   in Loop: Header=BB25_14 Depth=1
	v_mad_u64_u32 v[2:3], s[6:7], v111, s35, v[78:79]
	v_ashrrev_i32_e32 v3, 31, v2
	v_lshl_add_u64 v[2:3], v[2:3], 3, v[150:151]
	global_load_dwordx2 v[2:3], v[2:3], off
	s_waitcnt vmcnt(0)
	v_cvt_pk_f16_f32 v2, v2, v3
	v_pk_mul_f16 v2, v2, v229
	v_add_u32_e32 v3, v193, v189
	ds_write_b32 v3, v2 offset:4352
.LBB25_360:                             ;   in Loop: Header=BB25_14 Depth=1
	;; [unrolled: 50-line block ×4, first 2 shown]
	s_or_b64 exec, exec, s[4:5]
	v_add_u32_e32 v83, v251, v95
	v_or_b32_e32 v2, v108, v91
	v_cmp_gt_i32_e32 vcc, s24, v83
	v_cmp_gt_i32_e64 s[4:5], s34, v2
	s_and_b64 s[4:5], vcc, s[4:5]
	s_xor_b64 s[52:53], s[4:5], -1
	s_and_saveexec_b64 s[98:99], s[52:53]
	s_xor_b64 s[52:53], exec, s[98:99]
; %bb.377:                              ;   in Loop: Header=BB25_14 Depth=1
	v_add_u32_e32 v2, v193, v189
	ds_write_b32 v2, v53 offset:9792
                                        ; implicit-def: $vgpr150_vgpr151
; %bb.378:                              ;   in Loop: Header=BB25_14 Depth=1
	s_andn2_saveexec_b64 s[52:53], s[52:53]
	s_cbranch_execz .LBB25_380
; %bb.379:                              ;   in Loop: Header=BB25_14 Depth=1
	v_mad_u64_u32 v[2:3], s[98:99], v83, s35, v[110:111]
	v_ashrrev_i32_e32 v3, 31, v2
	v_lshl_add_u64 v[2:3], v[2:3], 3, v[150:151]
	global_load_dwordx2 v[2:3], v[2:3], off
	s_waitcnt vmcnt(0)
	v_cvt_pk_f16_f32 v2, v2, v3
	v_pk_mul_f16 v2, v2, v229
	v_add_u32_e32 v3, v193, v189
	ds_write_b32 v3, v2 offset:9792
.LBB25_380:                             ;   in Loop: Header=BB25_14 Depth=1
	s_or_b64 exec, exec, s[52:53]
	s_waitcnt lgkmcnt(0)
	s_barrier
	ds_read2_b64 v[14:17], v49 offset1:4
	ds_read2_b64 v[10:13], v49 offset0:8 offset1:12
	ds_read2_b64 v[6:9], v49 offset0:16 offset1:20
	;; [unrolled: 1-line block ×3, first 2 shown]
	s_cmp_gt_i32 s3, 1
	s_mov_b64 s[98:99], -1
	s_waitcnt lgkmcnt(0)
	s_barrier
	s_cbranch_scc1 .LBB25_382
; %bb.381:                              ;   in Loop: Header=BB25_14 Depth=1
	s_mov_b64 s[98:99], 0
.LBB25_382:                             ;   in Loop: Header=BB25_14 Depth=1
	v_add_u32_e32 v18, v95, v51
	v_mul_hi_u32 v19, s40, v18
	v_add_u32_e32 v19, v18, v19
	v_lshrrev_b32_e32 v19, s41, v19
	v_mul_lo_u32 v19, v19, s24
	s_andn2_b64 vcc, exec, s[98:99]
	v_sub_u32_e32 v52, v18, v19
	s_cbranch_vccnz .LBB25_450
; %bb.383:                              ;   in Loop: Header=BB25_14 Depth=1
	v_and_b32_e32 v18, 64, v228
	v_add_u32_e32 v18, 64, v18
	v_xor_b32_e32 v19, 32, v228
	v_cmp_lt_i32_e32 vcc, v19, v18
	v_readlane_b32 s52, v255, 23
	v_readlane_b32 s53, v255, 24
	v_cndmask_b32_e32 v19, v228, v19, vcc
	v_lshlrev_b32_e32 v205, 2, v19
	v_xor_b32_e32 v19, 16, v228
	v_cmp_lt_i32_e32 vcc, v19, v18
	s_add_i32 s2, s3, -1
	v_mov_b32_e32 v158, 0
	v_cndmask_b32_e32 v18, v228, v19, vcc
	v_lshlrev_b32_e32 v207, 2, v18
	v_mad_i64_i32 v[18:19], s[52:53], s52, v52, v[144:145]
	v_lshl_add_u64 v[144:145], v[112:113], 0, v[18:19]
	v_lshl_add_u64 v[18:19], v[146:147], 0, v[148:149]
	;; [unrolled: 1-line block ×11, first 2 shown]
	v_mov_b32_e32 v163, 0xfeffffff
	v_mov_b32_e32 v162, 0
	s_mov_b32 s3, s2
	v_mov_b32_e32 v159, 0
	v_mov_b32_e32 v43, 0
	;; [unrolled: 1-line block ×15, first 2 shown]
.LBB25_384:                             ;   Parent Loop BB25_14 Depth=1
                                        ; =>  This Inner Loop Header: Depth=2
	global_load_dword v18, v[144:145], off
	v_lshl_add_u64 v[22:23], v[142:143], 0, v[74:75]
	v_lshl_add_u64 v[24:25], v[154:155], 0, v[74:75]
	;; [unrolled: 1-line block ×3, first 2 shown]
	v_add_u32_e32 v30, 0x1000, v223
	v_add_u32_e32 v91, 0x2000, v223
	s_waitcnt vmcnt(0)
	ds_write_b32 v55, v18 offset:17408
	v_lshl_add_u64 v[18:19], v[140:141], 0, v[74:75]
	global_load_dwordx4 v[18:21], v[18:19], off
	s_waitcnt vmcnt(0)
	ds_write_b128 v77, v[18:21]
	global_load_dwordx4 v[18:21], v[22:23], off
	s_waitcnt vmcnt(0)
	ds_write_b128 v230, v[18:21]
	;; [unrolled: 3-line block ×4, first 2 shown]
	s_waitcnt lgkmcnt(0)
	s_barrier
	ds_read2_b64 v[18:21], v223 offset1:4
	s_waitcnt lgkmcnt(0)
	v_mfma_f32_16x16x16_f16 v[22:25], v[18:19], v[14:15], 0
	v_mfma_f32_16x16x16_f16 v[18:21], v[20:21], v[16:17], v[22:25]
	s_nop 6
	ds_read2_b64 v[22:25], v223 offset0:8 offset1:12
	s_waitcnt lgkmcnt(0)
	v_mfma_f32_16x16x16_f16 v[18:21], v[22:23], v[10:11], v[18:21]
	v_mfma_f32_16x16x16_f16 v[18:21], v[24:25], v[12:13], v[18:21]
	ds_read2_b64 v[22:25], v223 offset0:16 offset1:20
	s_waitcnt lgkmcnt(0)
	v_mfma_f32_16x16x16_f16 v[18:21], v[22:23], v[6:7], v[18:21]
	v_mfma_f32_16x16x16_f16 v[18:21], v[24:25], v[8:9], v[18:21]
	;; [unrolled: 4-line block ×3, first 2 shown]
	ds_read2_b64 v[22:25], v30 offset0:32 offset1:36
	s_waitcnt lgkmcnt(0)
	v_mfma_f32_16x16x16_f16 v[26:29], v[22:23], v[14:15], 0
	s_nop 4
	v_cmp_nlt_f32_e64 s[52:53], |v18|, s39
	v_mfma_f32_16x16x16_f16 v[22:25], v[24:25], v[16:17], v[26:29]
	s_nop 2
	ds_read2_b64 v[26:29], v30 offset0:40 offset1:44
	s_waitcnt lgkmcnt(0)
	v_mfma_f32_16x16x16_f16 v[22:25], v[26:27], v[10:11], v[22:25]
	v_mfma_f32_16x16x16_f16 v[22:25], v[28:29], v[12:13], v[22:25]
	ds_read2_b64 v[26:29], v30 offset0:48 offset1:52
	s_waitcnt lgkmcnt(0)
	v_mfma_f32_16x16x16_f16 v[22:25], v[26:27], v[6:7], v[22:25]
	v_mfma_f32_16x16x16_f16 v[22:25], v[28:29], v[8:9], v[22:25]
	;; [unrolled: 4-line block ×4, first 2 shown]
	s_nop 6
	ds_read2_b64 v[30:33], v91 offset0:72 offset1:76
	s_waitcnt lgkmcnt(0)
	v_mfma_f32_16x16x16_f16 v[26:29], v[30:31], v[10:11], v[26:29]
	v_mfma_f32_16x16x16_f16 v[26:29], v[32:33], v[12:13], v[26:29]
	ds_read2_b64 v[30:33], v91 offset0:80 offset1:84
	s_waitcnt lgkmcnt(0)
	v_mfma_f32_16x16x16_f16 v[26:29], v[30:31], v[6:7], v[26:29]
	v_mfma_f32_16x16x16_f16 v[26:29], v[32:33], v[8:9], v[26:29]
	ds_read2_b64 v[30:33], v91 offset0:88 offset1:92
	v_add_u32_e32 v91, 0x3000, v223
	s_waitcnt lgkmcnt(0)
	v_mfma_f32_16x16x16_f16 v[26:29], v[30:31], v[2:3], v[26:29]
	v_mfma_f32_16x16x16_f16 v[26:29], v[32:33], v[4:5], v[26:29]
	ds_read2_b64 v[30:33], v91 offset0:96 offset1:100
	s_waitcnt lgkmcnt(0)
	v_mfma_f32_16x16x16_f16 v[200:203], v[30:31], v[14:15], 0
	v_mfma_f32_16x16x16_f16 v[30:33], v[32:33], v[16:17], v[200:203]
	s_nop 6
	ds_read2_b64 v[200:203], v91 offset0:104 offset1:108
	s_waitcnt lgkmcnt(0)
	v_mfma_f32_16x16x16_f16 v[30:33], v[200:201], v[10:11], v[30:33]
	v_mfma_f32_16x16x16_f16 v[30:33], v[202:203], v[12:13], v[30:33]
	ds_read2_b64 v[200:203], v91 offset0:112 offset1:116
	s_waitcnt lgkmcnt(0)
	v_mfma_f32_16x16x16_f16 v[30:33], v[200:201], v[6:7], v[30:33]
	v_mfma_f32_16x16x16_f16 v[30:33], v[202:203], v[8:9], v[30:33]
	ds_read2_b64 v[200:203], v91 offset0:120 offset1:124
	s_waitcnt lgkmcnt(0)
	s_barrier
	v_mfma_f32_16x16x16_f16 v[30:33], v[200:201], v[2:3], v[30:33]
                                        ; implicit-def: $vgpr91
	v_mfma_f32_16x16x16_f16 v[30:33], v[202:203], v[4:5], v[30:33]
	s_and_saveexec_b64 s[98:99], s[52:53]
	s_xor_b64 s[98:99], exec, s[98:99]
	s_cbranch_execz .LBB25_386
; %bb.385:                              ;   in Loop: Header=BB25_384 Depth=2
	v_add_f32_e64 v91, |v18|, |v18|
	v_mul_f32_e32 v95, 0x3fb8aa3b, v91
	v_rndne_f32_e32 v164, v95
	v_sub_f32_e32 v165, v95, v164
	v_fma_f32 v95, v91, s61, -v95
	v_fmac_f32_e32 v95, 0x32a5705f, v91
	v_add_f32_e32 v95, v165, v95
	v_cvt_i32_f32_e32 v164, v164
	v_exp_f32_e32 v95, v95
	v_cmp_ngt_f32_e32 vcc, s30, v91
	v_ldexp_f32 v95, v95, v164
	s_nop 0
	v_cndmask_b32_e32 v95, 0, v95, vcc
	v_cmp_nlt_f32_e32 vcc, s47, v91
	s_nop 1
	v_cndmask_b32_e32 v91, v253, v95, vcc
	v_add_f32_e32 v91, 1.0, v91
	v_rcp_f32_e32 v91, v91
	s_nop 0
	v_fma_f32 v91, v91, -2.0, 1.0
.LBB25_386:                             ;   in Loop: Header=BB25_384 Depth=2
	s_andn2_saveexec_b64 s[52:53], s[98:99]
; %bb.387:                              ;   in Loop: Header=BB25_384 Depth=2
	v_mul_f32_e32 v91, v18, v18
	v_fmamk_f32 v95, v91, 0xbbbac73d, v252
	v_fmaak_f32 v95, v91, v95, 0xbd5c1c4e
	v_fmaak_f32 v95, v91, v95, 0x3e088382
	;; [unrolled: 1-line block ×3, first 2 shown]
	v_mul_f32_e64 v95, |v18|, v95
	v_fma_f32 v91, v91, v95, |v18|
; %bb.388:                              ;   in Loop: Header=BB25_384 Depth=2
	s_or_b64 exec, exec, s[52:53]
	v_cmp_nlt_f32_e64 s[52:53], |v19|, s39
                                        ; implicit-def: $vgpr95
	s_and_saveexec_b64 s[98:99], s[52:53]
	s_xor_b64 s[52:53], exec, s[98:99]
	s_cbranch_execz .LBB25_390
; %bb.389:                              ;   in Loop: Header=BB25_384 Depth=2
	v_add_f32_e64 v95, |v19|, |v19|
	v_mul_f32_e32 v164, 0x3fb8aa3b, v95
	v_rndne_f32_e32 v165, v164
	v_sub_f32_e32 v172, v164, v165
	v_fma_f32 v164, v95, s61, -v164
	v_fmac_f32_e32 v164, 0x32a5705f, v95
	v_add_f32_e32 v164, v172, v164
	v_cvt_i32_f32_e32 v165, v165
	v_exp_f32_e32 v164, v164
	v_cmp_ngt_f32_e32 vcc, s30, v95
	v_ldexp_f32 v164, v164, v165
	s_nop 0
	v_cndmask_b32_e32 v164, 0, v164, vcc
	v_cmp_nlt_f32_e32 vcc, s47, v95
	s_nop 1
	v_cndmask_b32_e32 v95, v253, v164, vcc
	v_add_f32_e32 v95, 1.0, v95
	v_rcp_f32_e32 v95, v95
	s_nop 0
	v_fma_f32 v95, v95, -2.0, 1.0
.LBB25_390:                             ;   in Loop: Header=BB25_384 Depth=2
	s_andn2_saveexec_b64 s[52:53], s[52:53]
; %bb.391:                              ;   in Loop: Header=BB25_384 Depth=2
	v_mul_f32_e32 v95, v19, v19
	v_fmamk_f32 v164, v95, 0xbbbac73d, v252
	v_fmaak_f32 v164, v95, v164, 0xbd5c1c4e
	v_fmaak_f32 v164, v95, v164, 0x3e088382
	;; [unrolled: 1-line block ×3, first 2 shown]
	v_mul_f32_e64 v164, |v19|, v164
	v_fma_f32 v95, v95, v164, |v19|
; %bb.392:                              ;   in Loop: Header=BB25_384 Depth=2
	s_or_b64 exec, exec, s[52:53]
	v_cmp_nlt_f32_e64 s[52:53], |v20|, s39
                                        ; implicit-def: $vgpr164
	s_and_saveexec_b64 s[98:99], s[52:53]
	s_xor_b64 s[52:53], exec, s[98:99]
	s_cbranch_execz .LBB25_394
; %bb.393:                              ;   in Loop: Header=BB25_384 Depth=2
	v_add_f32_e64 v164, |v20|, |v20|
	v_mul_f32_e32 v165, 0x3fb8aa3b, v164
	v_rndne_f32_e32 v172, v165
	v_sub_f32_e32 v190, v165, v172
	v_fma_f32 v165, v164, s61, -v165
	v_fmac_f32_e32 v165, 0x32a5705f, v164
	v_add_f32_e32 v165, v190, v165
	v_cvt_i32_f32_e32 v172, v172
	v_exp_f32_e32 v165, v165
	v_cmp_ngt_f32_e32 vcc, s30, v164
	v_ldexp_f32 v165, v165, v172
	s_nop 0
	v_cndmask_b32_e32 v165, 0, v165, vcc
	v_cmp_nlt_f32_e32 vcc, s47, v164
	s_nop 1
	v_cndmask_b32_e32 v164, v253, v165, vcc
	v_add_f32_e32 v164, 1.0, v164
	v_rcp_f32_e32 v164, v164
	s_nop 0
	v_fma_f32 v164, v164, -2.0, 1.0
.LBB25_394:                             ;   in Loop: Header=BB25_384 Depth=2
	s_andn2_saveexec_b64 s[52:53], s[52:53]
; %bb.395:                              ;   in Loop: Header=BB25_384 Depth=2
	v_mul_f32_e32 v164, v20, v20
	v_fmamk_f32 v165, v164, 0xbbbac73d, v252
	v_fmaak_f32 v165, v164, v165, 0xbd5c1c4e
	v_fmaak_f32 v165, v164, v165, 0x3e088382
	;; [unrolled: 1-line block ×3, first 2 shown]
	v_mul_f32_e64 v165, |v20|, v165
	v_fma_f32 v164, v164, v165, |v20|
; %bb.396:                              ;   in Loop: Header=BB25_384 Depth=2
	s_or_b64 exec, exec, s[52:53]
	v_cmp_nlt_f32_e64 s[52:53], |v21|, s39
                                        ; implicit-def: $vgpr165
	s_and_saveexec_b64 s[98:99], s[52:53]
	s_xor_b64 s[52:53], exec, s[98:99]
	s_cbranch_execz .LBB25_398
; %bb.397:                              ;   in Loop: Header=BB25_384 Depth=2
	v_add_f32_e64 v165, |v21|, |v21|
	v_mul_f32_e32 v172, 0x3fb8aa3b, v165
	v_rndne_f32_e32 v190, v172
	v_sub_f32_e32 v191, v172, v190
	v_fma_f32 v172, v165, s61, -v172
	v_fmac_f32_e32 v172, 0x32a5705f, v165
	v_add_f32_e32 v172, v191, v172
	v_cvt_i32_f32_e32 v190, v190
	v_exp_f32_e32 v172, v172
	v_cmp_ngt_f32_e32 vcc, s30, v165
	v_ldexp_f32 v172, v172, v190
	s_nop 0
	v_cndmask_b32_e32 v172, 0, v172, vcc
	v_cmp_nlt_f32_e32 vcc, s47, v165
	s_nop 1
	v_cndmask_b32_e32 v165, v253, v172, vcc
	v_add_f32_e32 v165, 1.0, v165
	v_rcp_f32_e32 v165, v165
	s_nop 0
	v_fma_f32 v165, v165, -2.0, 1.0
.LBB25_398:                             ;   in Loop: Header=BB25_384 Depth=2
	s_andn2_saveexec_b64 s[52:53], s[52:53]
; %bb.399:                              ;   in Loop: Header=BB25_384 Depth=2
	v_mul_f32_e32 v165, v21, v21
	v_fmamk_f32 v172, v165, 0xbbbac73d, v252
	v_fmaak_f32 v172, v165, v172, 0xbd5c1c4e
	v_fmaak_f32 v172, v165, v172, 0x3e088382
	;; [unrolled: 1-line block ×3, first 2 shown]
	v_mul_f32_e64 v172, |v21|, v172
	v_fma_f32 v165, v165, v172, |v21|
; %bb.400:                              ;   in Loop: Header=BB25_384 Depth=2
	s_or_b64 exec, exec, s[52:53]
	v_cmp_nlt_f32_e64 s[52:53], |v22|, s39
                                        ; implicit-def: $vgpr172
	s_and_saveexec_b64 s[98:99], s[52:53]
	s_xor_b64 s[52:53], exec, s[98:99]
	s_cbranch_execz .LBB25_402
; %bb.401:                              ;   in Loop: Header=BB25_384 Depth=2
	v_add_f32_e64 v172, |v22|, |v22|
	v_mul_f32_e32 v190, 0x3fb8aa3b, v172
	v_rndne_f32_e32 v191, v190
	v_sub_f32_e32 v192, v190, v191
	v_fma_f32 v190, v172, s61, -v190
	v_fmac_f32_e32 v190, 0x32a5705f, v172
	v_add_f32_e32 v190, v192, v190
	v_cvt_i32_f32_e32 v191, v191
	v_exp_f32_e32 v190, v190
	v_cmp_ngt_f32_e32 vcc, s30, v172
	v_ldexp_f32 v190, v190, v191
	s_nop 0
	v_cndmask_b32_e32 v190, 0, v190, vcc
	v_cmp_nlt_f32_e32 vcc, s47, v172
	s_nop 1
	v_cndmask_b32_e32 v172, v253, v190, vcc
	v_add_f32_e32 v172, 1.0, v172
	v_rcp_f32_e32 v172, v172
	s_nop 0
	v_fma_f32 v172, v172, -2.0, 1.0
.LBB25_402:                             ;   in Loop: Header=BB25_384 Depth=2
	s_andn2_saveexec_b64 s[52:53], s[52:53]
; %bb.403:                              ;   in Loop: Header=BB25_384 Depth=2
	v_mul_f32_e32 v172, v22, v22
	v_fmamk_f32 v190, v172, 0xbbbac73d, v252
	v_fmaak_f32 v190, v172, v190, 0xbd5c1c4e
	v_fmaak_f32 v190, v172, v190, 0x3e088382
	v_fmaak_f32 v190, v172, v190, 0xbeaaaa99
	v_mul_f32_e64 v190, |v22|, v190
	v_fma_f32 v172, v172, v190, |v22|
; %bb.404:                              ;   in Loop: Header=BB25_384 Depth=2
	s_or_b64 exec, exec, s[52:53]
	v_cmp_nlt_f32_e64 s[52:53], |v23|, s39
                                        ; implicit-def: $vgpr191
	s_and_saveexec_b64 s[98:99], s[52:53]
	s_xor_b64 s[52:53], exec, s[98:99]
	s_cbranch_execz .LBB25_406
; %bb.405:                              ;   in Loop: Header=BB25_384 Depth=2
	v_add_f32_e64 v190, |v23|, |v23|
	v_mul_f32_e32 v191, 0x3fb8aa3b, v190
	v_rndne_f32_e32 v192, v191
	v_sub_f32_e32 v196, v191, v192
	v_fma_f32 v191, v190, s61, -v191
	v_fmac_f32_e32 v191, 0x32a5705f, v190
	v_add_f32_e32 v191, v196, v191
	v_cvt_i32_f32_e32 v192, v192
	v_exp_f32_e32 v191, v191
	v_cmp_ngt_f32_e32 vcc, s30, v190
	v_ldexp_f32 v191, v191, v192
	s_nop 0
	v_cndmask_b32_e32 v191, 0, v191, vcc
	v_cmp_nlt_f32_e32 vcc, s47, v190
	s_nop 1
	v_cndmask_b32_e32 v190, v253, v191, vcc
	v_add_f32_e32 v190, 1.0, v190
	v_rcp_f32_e32 v190, v190
	s_nop 0
	v_fma_f32 v191, v190, -2.0, 1.0
.LBB25_406:                             ;   in Loop: Header=BB25_384 Depth=2
	s_andn2_saveexec_b64 s[52:53], s[52:53]
; %bb.407:                              ;   in Loop: Header=BB25_384 Depth=2
	v_mul_f32_e32 v190, v23, v23
	v_fmamk_f32 v191, v190, 0xbbbac73d, v252
	v_fmaak_f32 v191, v190, v191, 0xbd5c1c4e
	v_fmaak_f32 v191, v190, v191, 0x3e088382
	;; [unrolled: 1-line block ×3, first 2 shown]
	v_mul_f32_e64 v191, |v23|, v191
	v_fma_f32 v191, v190, v191, |v23|
; %bb.408:                              ;   in Loop: Header=BB25_384 Depth=2
	s_or_b64 exec, exec, s[52:53]
	v_cmp_nlt_f32_e64 s[52:53], |v24|, s39
                                        ; implicit-def: $vgpr192
	s_and_saveexec_b64 s[98:99], s[52:53]
	s_xor_b64 s[52:53], exec, s[98:99]
	s_cbranch_execz .LBB25_410
; %bb.409:                              ;   in Loop: Header=BB25_384 Depth=2
	v_add_f32_e64 v190, |v24|, |v24|
	v_mul_f32_e32 v192, 0x3fb8aa3b, v190
	v_rndne_f32_e32 v196, v192
	v_sub_f32_e32 v197, v192, v196
	v_fma_f32 v192, v190, s61, -v192
	v_fmac_f32_e32 v192, 0x32a5705f, v190
	v_add_f32_e32 v192, v197, v192
	v_cvt_i32_f32_e32 v196, v196
	v_exp_f32_e32 v192, v192
	v_cmp_ngt_f32_e32 vcc, s30, v190
	v_ldexp_f32 v192, v192, v196
	s_nop 0
	v_cndmask_b32_e32 v192, 0, v192, vcc
	v_cmp_nlt_f32_e32 vcc, s47, v190
	s_nop 1
	v_cndmask_b32_e32 v190, v253, v192, vcc
	v_add_f32_e32 v190, 1.0, v190
	v_rcp_f32_e32 v190, v190
	s_nop 0
	v_fma_f32 v192, v190, -2.0, 1.0
.LBB25_410:                             ;   in Loop: Header=BB25_384 Depth=2
	s_andn2_saveexec_b64 s[52:53], s[52:53]
; %bb.411:                              ;   in Loop: Header=BB25_384 Depth=2
	v_mul_f32_e32 v190, v24, v24
	v_fmamk_f32 v192, v190, 0xbbbac73d, v252
	v_fmaak_f32 v192, v190, v192, 0xbd5c1c4e
	v_fmaak_f32 v192, v190, v192, 0x3e088382
	;; [unrolled: 1-line block ×3, first 2 shown]
	v_mul_f32_e64 v192, |v24|, v192
	v_fma_f32 v192, v190, v192, |v24|
; %bb.412:                              ;   in Loop: Header=BB25_384 Depth=2
	s_or_b64 exec, exec, s[52:53]
	v_cmp_nlt_f32_e64 s[52:53], |v25|, s39
                                        ; implicit-def: $vgpr198
	s_and_saveexec_b64 s[98:99], s[52:53]
	s_xor_b64 s[52:53], exec, s[98:99]
	s_cbranch_execz .LBB25_414
; %bb.413:                              ;   in Loop: Header=BB25_384 Depth=2
	v_add_f32_e64 v190, |v25|, |v25|
	v_mul_f32_e32 v196, 0x3fb8aa3b, v190
	v_rndne_f32_e32 v197, v196
	v_sub_f32_e32 v198, v196, v197
	v_fma_f32 v196, v190, s61, -v196
	v_fmac_f32_e32 v196, 0x32a5705f, v190
	v_add_f32_e32 v196, v198, v196
	v_cvt_i32_f32_e32 v197, v197
	v_exp_f32_e32 v196, v196
	v_cmp_ngt_f32_e32 vcc, s30, v190
	v_ldexp_f32 v196, v196, v197
	s_nop 0
	v_cndmask_b32_e32 v196, 0, v196, vcc
	v_cmp_nlt_f32_e32 vcc, s47, v190
	s_nop 1
	v_cndmask_b32_e32 v190, v253, v196, vcc
	v_add_f32_e32 v190, 1.0, v190
	v_rcp_f32_e32 v190, v190
	s_nop 0
	v_fma_f32 v198, v190, -2.0, 1.0
.LBB25_414:                             ;   in Loop: Header=BB25_384 Depth=2
	s_andn2_saveexec_b64 s[52:53], s[52:53]
; %bb.415:                              ;   in Loop: Header=BB25_384 Depth=2
	v_mul_f32_e32 v190, v25, v25
	v_fmamk_f32 v196, v190, 0xbbbac73d, v252
	v_fmaak_f32 v196, v190, v196, 0xbd5c1c4e
	v_fmaak_f32 v196, v190, v196, 0x3e088382
	;; [unrolled: 1-line block ×3, first 2 shown]
	v_mul_f32_e64 v196, |v25|, v196
	v_fma_f32 v198, v190, v196, |v25|
; %bb.416:                              ;   in Loop: Header=BB25_384 Depth=2
	s_or_b64 exec, exec, s[52:53]
	v_cmp_nlt_f32_e64 s[52:53], |v26|, s39
                                        ; implicit-def: $vgpr200
	s_and_saveexec_b64 s[98:99], s[52:53]
	s_xor_b64 s[52:53], exec, s[98:99]
	s_cbranch_execz .LBB25_418
; %bb.417:                              ;   in Loop: Header=BB25_384 Depth=2
	v_add_f32_e64 v190, |v26|, |v26|
	v_mul_f32_e32 v196, 0x3fb8aa3b, v190
	v_rndne_f32_e32 v197, v196
	v_sub_f32_e32 v199, v196, v197
	v_fma_f32 v196, v190, s61, -v196
	v_fmac_f32_e32 v196, 0x32a5705f, v190
	v_add_f32_e32 v196, v199, v196
	v_cvt_i32_f32_e32 v197, v197
	v_exp_f32_e32 v196, v196
	v_cmp_ngt_f32_e32 vcc, s30, v190
	v_ldexp_f32 v196, v196, v197
	s_nop 0
	v_cndmask_b32_e32 v196, 0, v196, vcc
	v_cmp_nlt_f32_e32 vcc, s47, v190
	s_nop 1
	v_cndmask_b32_e32 v190, v253, v196, vcc
	v_add_f32_e32 v190, 1.0, v190
	v_rcp_f32_e32 v190, v190
	s_nop 0
	v_fma_f32 v200, v190, -2.0, 1.0
.LBB25_418:                             ;   in Loop: Header=BB25_384 Depth=2
	s_andn2_saveexec_b64 s[52:53], s[52:53]
; %bb.419:                              ;   in Loop: Header=BB25_384 Depth=2
	v_mul_f32_e32 v190, v26, v26
	v_fmamk_f32 v196, v190, 0xbbbac73d, v252
	v_fmaak_f32 v196, v190, v196, 0xbd5c1c4e
	v_fmaak_f32 v196, v190, v196, 0x3e088382
	;; [unrolled: 1-line block ×3, first 2 shown]
	v_mul_f32_e64 v196, |v26|, v196
	v_fma_f32 v200, v190, v196, |v26|
; %bb.420:                              ;   in Loop: Header=BB25_384 Depth=2
	s_or_b64 exec, exec, s[52:53]
	v_cmp_nlt_f32_e64 s[52:53], |v27|, s39
                                        ; implicit-def: $vgpr201
	s_and_saveexec_b64 s[98:99], s[52:53]
	s_xor_b64 s[52:53], exec, s[98:99]
	s_cbranch_execz .LBB25_422
; %bb.421:                              ;   in Loop: Header=BB25_384 Depth=2
	v_add_f32_e64 v190, |v27|, |v27|
	v_mul_f32_e32 v196, 0x3fb8aa3b, v190
	v_rndne_f32_e32 v197, v196
	v_sub_f32_e32 v199, v196, v197
	v_fma_f32 v196, v190, s61, -v196
	v_fmac_f32_e32 v196, 0x32a5705f, v190
	v_add_f32_e32 v196, v199, v196
	v_cvt_i32_f32_e32 v197, v197
	v_exp_f32_e32 v196, v196
	v_cmp_ngt_f32_e32 vcc, s30, v190
	v_ldexp_f32 v196, v196, v197
	s_nop 0
	v_cndmask_b32_e32 v196, 0, v196, vcc
	v_cmp_nlt_f32_e32 vcc, s47, v190
	s_nop 1
	v_cndmask_b32_e32 v190, v253, v196, vcc
	v_add_f32_e32 v190, 1.0, v190
	v_rcp_f32_e32 v190, v190
	s_nop 0
	v_fma_f32 v201, v190, -2.0, 1.0
.LBB25_422:                             ;   in Loop: Header=BB25_384 Depth=2
	s_andn2_saveexec_b64 s[52:53], s[52:53]
; %bb.423:                              ;   in Loop: Header=BB25_384 Depth=2
	v_mul_f32_e32 v190, v27, v27
	v_fmamk_f32 v196, v190, 0xbbbac73d, v252
	v_fmaak_f32 v196, v190, v196, 0xbd5c1c4e
	v_fmaak_f32 v196, v190, v196, 0x3e088382
	v_fmaak_f32 v196, v190, v196, 0xbeaaaa99
	v_mul_f32_e64 v196, |v27|, v196
	v_fma_f32 v201, v190, v196, |v27|
; %bb.424:                              ;   in Loop: Header=BB25_384 Depth=2
	s_or_b64 exec, exec, s[52:53]
	v_cmp_nlt_f32_e64 s[52:53], |v28|, s39
                                        ; implicit-def: $vgpr202
	s_and_saveexec_b64 s[98:99], s[52:53]
	s_xor_b64 s[52:53], exec, s[98:99]
	s_cbranch_execz .LBB25_426
; %bb.425:                              ;   in Loop: Header=BB25_384 Depth=2
	v_add_f32_e64 v190, |v28|, |v28|
	v_mul_f32_e32 v196, 0x3fb8aa3b, v190
	v_rndne_f32_e32 v197, v196
	v_sub_f32_e32 v199, v196, v197
	v_fma_f32 v196, v190, s61, -v196
	v_fmac_f32_e32 v196, 0x32a5705f, v190
	v_add_f32_e32 v196, v199, v196
	v_cvt_i32_f32_e32 v197, v197
	v_exp_f32_e32 v196, v196
	v_cmp_ngt_f32_e32 vcc, s30, v190
	v_ldexp_f32 v196, v196, v197
	s_nop 0
	v_cndmask_b32_e32 v196, 0, v196, vcc
	v_cmp_nlt_f32_e32 vcc, s47, v190
	s_nop 1
	v_cndmask_b32_e32 v190, v253, v196, vcc
	v_add_f32_e32 v190, 1.0, v190
	v_rcp_f32_e32 v190, v190
	s_nop 0
	v_fma_f32 v202, v190, -2.0, 1.0
.LBB25_426:                             ;   in Loop: Header=BB25_384 Depth=2
	s_andn2_saveexec_b64 s[52:53], s[52:53]
; %bb.427:                              ;   in Loop: Header=BB25_384 Depth=2
	v_mul_f32_e32 v190, v28, v28
	v_fmamk_f32 v196, v190, 0xbbbac73d, v252
	v_fmaak_f32 v196, v190, v196, 0xbd5c1c4e
	v_fmaak_f32 v196, v190, v196, 0x3e088382
	;; [unrolled: 1-line block ×3, first 2 shown]
	v_mul_f32_e64 v196, |v28|, v196
	v_fma_f32 v202, v190, v196, |v28|
; %bb.428:                              ;   in Loop: Header=BB25_384 Depth=2
	s_or_b64 exec, exec, s[52:53]
	v_cmp_nlt_f32_e64 s[52:53], |v29|, s39
                                        ; implicit-def: $vgpr203
	s_and_saveexec_b64 s[98:99], s[52:53]
	s_xor_b64 s[52:53], exec, s[98:99]
	s_cbranch_execz .LBB25_430
; %bb.429:                              ;   in Loop: Header=BB25_384 Depth=2
	v_add_f32_e64 v190, |v29|, |v29|
	v_mul_f32_e32 v196, 0x3fb8aa3b, v190
	v_rndne_f32_e32 v197, v196
	v_sub_f32_e32 v199, v196, v197
	v_fma_f32 v196, v190, s61, -v196
	v_fmac_f32_e32 v196, 0x32a5705f, v190
	v_add_f32_e32 v196, v199, v196
	v_cvt_i32_f32_e32 v197, v197
	v_exp_f32_e32 v196, v196
	v_cmp_ngt_f32_e32 vcc, s30, v190
	v_ldexp_f32 v196, v196, v197
	s_nop 0
	v_cndmask_b32_e32 v196, 0, v196, vcc
	v_cmp_nlt_f32_e32 vcc, s47, v190
	s_nop 1
	v_cndmask_b32_e32 v190, v253, v196, vcc
	v_add_f32_e32 v190, 1.0, v190
	v_rcp_f32_e32 v190, v190
	s_nop 0
	v_fma_f32 v203, v190, -2.0, 1.0
.LBB25_430:                             ;   in Loop: Header=BB25_384 Depth=2
	s_andn2_saveexec_b64 s[52:53], s[52:53]
; %bb.431:                              ;   in Loop: Header=BB25_384 Depth=2
	v_mul_f32_e32 v190, v29, v29
	v_fmamk_f32 v196, v190, 0xbbbac73d, v252
	v_fmaak_f32 v196, v190, v196, 0xbd5c1c4e
	v_fmaak_f32 v196, v190, v196, 0x3e088382
	;; [unrolled: 1-line block ×3, first 2 shown]
	v_mul_f32_e64 v196, |v29|, v196
	v_fma_f32 v203, v190, v196, |v29|
; %bb.432:                              ;   in Loop: Header=BB25_384 Depth=2
	s_or_b64 exec, exec, s[52:53]
	v_cmp_nlt_f32_e64 s[52:53], |v30|, s39
                                        ; implicit-def: $vgpr204
	s_and_saveexec_b64 s[98:99], s[52:53]
	s_xor_b64 s[52:53], exec, s[98:99]
	s_cbranch_execz .LBB25_434
; %bb.433:                              ;   in Loop: Header=BB25_384 Depth=2
	v_add_f32_e64 v190, |v30|, |v30|
	v_mul_f32_e32 v196, 0x3fb8aa3b, v190
	v_rndne_f32_e32 v197, v196
	v_sub_f32_e32 v199, v196, v197
	v_fma_f32 v196, v190, s61, -v196
	v_fmac_f32_e32 v196, 0x32a5705f, v190
	v_add_f32_e32 v196, v199, v196
	v_cvt_i32_f32_e32 v197, v197
	v_exp_f32_e32 v196, v196
	v_cmp_ngt_f32_e32 vcc, s30, v190
	v_ldexp_f32 v196, v196, v197
	s_nop 0
	v_cndmask_b32_e32 v196, 0, v196, vcc
	v_cmp_nlt_f32_e32 vcc, s47, v190
	s_nop 1
	v_cndmask_b32_e32 v190, v253, v196, vcc
	v_add_f32_e32 v190, 1.0, v190
	v_rcp_f32_e32 v190, v190
	s_nop 0
	v_fma_f32 v204, v190, -2.0, 1.0
.LBB25_434:                             ;   in Loop: Header=BB25_384 Depth=2
	s_andn2_saveexec_b64 s[52:53], s[52:53]
; %bb.435:                              ;   in Loop: Header=BB25_384 Depth=2
	v_mul_f32_e32 v190, v30, v30
	v_fmamk_f32 v196, v190, 0xbbbac73d, v252
	v_fmaak_f32 v196, v190, v196, 0xbd5c1c4e
	v_fmaak_f32 v196, v190, v196, 0x3e088382
	;; [unrolled: 1-line block ×3, first 2 shown]
	v_mul_f32_e64 v196, |v30|, v196
	v_fma_f32 v204, v190, v196, |v30|
; %bb.436:                              ;   in Loop: Header=BB25_384 Depth=2
	s_or_b64 exec, exec, s[52:53]
	v_cmp_nlt_f32_e64 s[52:53], |v31|, s39
                                        ; implicit-def: $vgpr206
	s_and_saveexec_b64 s[98:99], s[52:53]
	s_xor_b64 s[52:53], exec, s[98:99]
	s_cbranch_execz .LBB25_438
; %bb.437:                              ;   in Loop: Header=BB25_384 Depth=2
	v_add_f32_e64 v190, |v31|, |v31|
	v_mul_f32_e32 v196, 0x3fb8aa3b, v190
	v_rndne_f32_e32 v197, v196
	v_sub_f32_e32 v199, v196, v197
	v_fma_f32 v196, v190, s61, -v196
	v_fmac_f32_e32 v196, 0x32a5705f, v190
	v_add_f32_e32 v196, v199, v196
	v_cvt_i32_f32_e32 v197, v197
	v_exp_f32_e32 v196, v196
	v_cmp_ngt_f32_e32 vcc, s30, v190
	v_ldexp_f32 v196, v196, v197
	s_nop 0
	v_cndmask_b32_e32 v196, 0, v196, vcc
	v_cmp_nlt_f32_e32 vcc, s47, v190
	s_nop 1
	v_cndmask_b32_e32 v190, v253, v196, vcc
	v_add_f32_e32 v190, 1.0, v190
	v_rcp_f32_e32 v190, v190
	s_nop 0
	v_fma_f32 v206, v190, -2.0, 1.0
.LBB25_438:                             ;   in Loop: Header=BB25_384 Depth=2
	s_andn2_saveexec_b64 s[52:53], s[52:53]
; %bb.439:                              ;   in Loop: Header=BB25_384 Depth=2
	v_mul_f32_e32 v190, v31, v31
	v_fmamk_f32 v196, v190, 0xbbbac73d, v252
	v_fmaak_f32 v196, v190, v196, 0xbd5c1c4e
	v_fmaak_f32 v196, v190, v196, 0x3e088382
	;; [unrolled: 1-line block ×3, first 2 shown]
	v_mul_f32_e64 v196, |v31|, v196
	v_fma_f32 v206, v190, v196, |v31|
; %bb.440:                              ;   in Loop: Header=BB25_384 Depth=2
	s_or_b64 exec, exec, s[52:53]
	v_cmp_nlt_f32_e64 s[52:53], |v32|, s39
                                        ; implicit-def: $vgpr208
	s_and_saveexec_b64 s[98:99], s[52:53]
	s_xor_b64 s[52:53], exec, s[98:99]
	s_cbranch_execz .LBB25_442
; %bb.441:                              ;   in Loop: Header=BB25_384 Depth=2
	v_add_f32_e64 v190, |v32|, |v32|
	v_mul_f32_e32 v196, 0x3fb8aa3b, v190
	v_rndne_f32_e32 v197, v196
	v_sub_f32_e32 v199, v196, v197
	v_fma_f32 v196, v190, s61, -v196
	v_fmac_f32_e32 v196, 0x32a5705f, v190
	v_add_f32_e32 v196, v199, v196
	v_cvt_i32_f32_e32 v197, v197
	v_exp_f32_e32 v196, v196
	v_cmp_ngt_f32_e32 vcc, s30, v190
	v_ldexp_f32 v196, v196, v197
	s_nop 0
	v_cndmask_b32_e32 v196, 0, v196, vcc
	v_cmp_nlt_f32_e32 vcc, s47, v190
	s_nop 1
	v_cndmask_b32_e32 v190, v253, v196, vcc
	v_add_f32_e32 v190, 1.0, v190
	v_rcp_f32_e32 v190, v190
	s_nop 0
	v_fma_f32 v208, v190, -2.0, 1.0
.LBB25_442:                             ;   in Loop: Header=BB25_384 Depth=2
	s_andn2_saveexec_b64 s[52:53], s[52:53]
; %bb.443:                              ;   in Loop: Header=BB25_384 Depth=2
	v_mul_f32_e32 v190, v32, v32
	v_fmamk_f32 v196, v190, 0xbbbac73d, v252
	v_fmaak_f32 v196, v190, v196, 0xbd5c1c4e
	v_fmaak_f32 v196, v190, v196, 0x3e088382
	;; [unrolled: 1-line block ×3, first 2 shown]
	v_mul_f32_e64 v196, |v32|, v196
	v_fma_f32 v208, v190, v196, |v32|
; %bb.444:                              ;   in Loop: Header=BB25_384 Depth=2
	s_or_b64 exec, exec, s[52:53]
	v_cmp_nlt_f32_e64 s[52:53], |v33|, s39
                                        ; implicit-def: $vgpr209
	s_and_saveexec_b64 s[98:99], s[52:53]
	s_xor_b64 s[52:53], exec, s[98:99]
	s_cbranch_execz .LBB25_446
; %bb.445:                              ;   in Loop: Header=BB25_384 Depth=2
	v_add_f32_e64 v190, |v33|, |v33|
	v_mul_f32_e32 v196, 0x3fb8aa3b, v190
	v_rndne_f32_e32 v197, v196
	v_sub_f32_e32 v199, v196, v197
	v_fma_f32 v196, v190, s61, -v196
	v_fmac_f32_e32 v196, 0x32a5705f, v190
	v_add_f32_e32 v196, v199, v196
	v_cvt_i32_f32_e32 v197, v197
	v_exp_f32_e32 v196, v196
	v_cmp_ngt_f32_e32 vcc, s30, v190
	v_ldexp_f32 v196, v196, v197
	s_nop 0
	v_cndmask_b32_e32 v196, 0, v196, vcc
	v_cmp_nlt_f32_e32 vcc, s47, v190
	s_nop 1
	v_cndmask_b32_e32 v190, v253, v196, vcc
	v_add_f32_e32 v190, 1.0, v190
	v_rcp_f32_e32 v190, v190
	s_nop 0
	v_fma_f32 v209, v190, -2.0, 1.0
.LBB25_446:                             ;   in Loop: Header=BB25_384 Depth=2
	s_andn2_saveexec_b64 s[52:53], s[52:53]
; %bb.447:                              ;   in Loop: Header=BB25_384 Depth=2
	v_mul_f32_e32 v190, v33, v33
	v_fmamk_f32 v196, v190, 0xbbbac73d, v252
	v_fmaak_f32 v196, v190, v196, 0xbd5c1c4e
	v_fmaak_f32 v196, v190, v196, 0x3e088382
	;; [unrolled: 1-line block ×3, first 2 shown]
	v_mul_f32_e64 v196, |v33|, v196
	v_fma_f32 v209, v190, v196, |v33|
; %bb.448:                              ;   in Loop: Header=BB25_384 Depth=2
	s_or_b64 exec, exec, s[52:53]
	v_bfi_b32 v190, s0, v204, v30
	ds_read_b32 v30, v176 offset:17408
	v_bfi_b32 v18, s0, v91, v18
	v_bfi_b32 v19, s0, v95, v19
	;; [unrolled: 1-line block ×4, first 2 shown]
	s_waitcnt lgkmcnt(0)
	v_fma_mix_f32 v95, s33, v18, v30 op_sel_hi:[0,0,1]
	ds_read_b32 v18, v177 offset:17408
	v_bfi_b32 v22, s0, v172, v22
	v_fma_mix_f32 v164, s33, v19, v30 op_sel:[0,0,1] op_sel_hi:[0,0,1]
	v_bfi_b32 v23, s0, v191, v23
	v_bfi_b32 v25, s0, v198, v25
	s_waitcnt lgkmcnt(0)
	v_fma_mix_f32 v165, s33, v20, v18 op_sel_hi:[0,0,1]
	v_fma_mix_f32 v172, s33, v21, v18 op_sel:[0,0,1] op_sel_hi:[0,0,1]
	v_add_u32_e32 v18, 0x4400, v233
	ds_read2_b32 v[18:19], v18 offset1:1
	v_bfi_b32 v24, s0, v192, v24
	v_bfi_b32 v26, s0, v200, v26
	;; [unrolled: 1-line block ×4, first 2 shown]
	s_waitcnt lgkmcnt(0)
	v_fma_mix_f32 v191, s33, v22, v18 op_sel_hi:[0,0,1]
	v_fma_mix_f32 v192, s33, v23, v18 op_sel:[0,0,1] op_sel_hi:[0,0,1]
	v_add_u32_e32 v18, 0x4400, v234
	v_fma_mix_f32 v196, s33, v24, v19 op_sel_hi:[0,0,1]
	v_fma_mix_f32 v197, s33, v25, v19 op_sel:[0,0,1] op_sel_hi:[0,0,1]
	ds_read2_b32 v[18:19], v18 offset1:1
	v_bfi_b32 v32, s0, v208, v32
	v_bfi_b32 v33, s0, v209, v33
	v_add_f32_e32 v24, 0x40051340, v172
	v_bfi_b32 v29, s0, v203, v29
	s_waitcnt lgkmcnt(0)
	v_fma_mix_f32 v198, s33, v26, v18 op_sel_hi:[0,0,1]
	v_fma_mix_f32 v30, s33, v27, v18 op_sel:[0,0,1] op_sel_hi:[0,0,1]
	v_add_u32_e32 v18, 0x4400, v235
	ds_read2_b32 v[22:23], v18 offset1:1
	v_bfi_b32 v28, s0, v202, v28
	v_fma_mix_f32 v27, s33, v28, v19 op_sel_hi:[0,0,1]
	v_fma_mix_f32 v19, s33, v29, v19 op_sel:[0,0,1] op_sel_hi:[0,0,1]
	s_add_i32 s3, s3, -1
	s_waitcnt lgkmcnt(0)
	v_fma_mix_f32 v26, s33, v190, v22 op_sel_hi:[0,0,1]
	v_fma_mix_f32 v21, s33, v31, v22 op_sel:[0,0,1] op_sel_hi:[0,0,1]
	v_fma_mix_f32 v20, s33, v32, v23 op_sel_hi:[0,0,1]
	v_fma_mix_f32 v18, s33, v33, v23 op_sel:[0,0,1] op_sel_hi:[0,0,1]
	v_add_f32_e32 v22, 0x40051340, v95
	v_add_f32_e32 v23, 0x40051340, v164
	v_max3_f32 v22, v163, v22, v23
	v_add_f32_e32 v23, 0x40051340, v165
	v_max3_f32 v22, v22, v23, v24
	v_add_f32_e32 v23, 0x40051340, v191
	v_add_f32_e32 v24, 0x40051340, v192
	v_max3_f32 v22, v22, v23, v24
	v_add_f32_e32 v23, 0x40051340, v196
	;; [unrolled: 3-line block ×6, first 2 shown]
	v_add_f32_e32 v24, 0x40051340, v18
	v_max3_f32 v22, v22, v23, v24
	ds_bpermute_b32 v23, v205, v22
	s_mov_b64 s[52:53], 0x80
	v_lshl_add_u64 v[144:145], v[144:145], 0, s[52:53]
	v_lshl_add_u64 v[140:141], v[140:141], 0, s[66:67]
	;; [unrolled: 1-line block ×3, first 2 shown]
	s_waitcnt lgkmcnt(0)
	v_max_f32_e32 v23, v23, v23
	v_max_f32_e32 v22, v22, v23
	ds_bpermute_b32 v23, v207, v22
	v_lshl_add_u64 v[154:155], v[154:155], 0, s[66:67]
	v_lshl_add_u64 v[156:157], v[156:157], 0, s[66:67]
	s_cmp_lg_u32 s3, 0
	s_waitcnt lgkmcnt(0)
	v_max_f32_e32 v23, v23, v23
	v_max_f32_e32 v91, v22, v23
	v_sub_f32_e32 v22, v95, v91
	v_mul_f32_e32 v23, 0x3fb8aa3b, v22
	v_fma_f32 v24, v22, s61, -v23
	v_rndne_f32_e32 v25, v23
	v_fmac_f32_e32 v24, 0x32a5705f, v22
	v_sub_f32_e32 v23, v23, v25
	v_add_f32_e32 v23, v23, v24
	v_exp_f32_e32 v23, v23
	v_cvt_i32_f32_e32 v24, v25
	v_cmp_ngt_f32_e32 vcc, s30, v22
	v_sub_f32_e32 v30, v30, v91
	v_sub_f32_e32 v27, v27, v91
	v_ldexp_f32 v23, v23, v24
	v_cndmask_b32_e32 v23, 0, v23, vcc
	v_cmp_nlt_f32_e32 vcc, s47, v22
	v_sub_f32_e32 v19, v19, v91
	v_sub_f32_e32 v26, v26, v91
	v_cndmask_b32_e32 v22, v253, v23, vcc
	v_sub_f32_e32 v23, v164, v91
	v_mul_f32_e32 v24, 0x3fb8aa3b, v23
	v_fma_f32 v25, v23, s61, -v24
	v_rndne_f32_e32 v28, v24
	v_fmac_f32_e32 v25, 0x32a5705f, v23
	v_sub_f32_e32 v24, v24, v28
	v_add_f32_e32 v24, v24, v25
	v_exp_f32_e32 v24, v24
	v_cvt_i32_f32_e32 v25, v28
	v_cmp_ngt_f32_e32 vcc, s30, v23
	v_sub_f32_e32 v21, v21, v91
	v_sub_f32_e32 v20, v20, v91
	v_ldexp_f32 v24, v24, v25
	v_cndmask_b32_e32 v24, 0, v24, vcc
	v_cmp_nlt_f32_e32 vcc, s47, v23
	v_sub_f32_e32 v18, v18, v91
	s_nop 0
	v_cndmask_b32_e32 v23, v253, v24, vcc
	v_sub_f32_e32 v24, v165, v91
	v_mul_f32_e32 v28, 0x3fb8aa3b, v24
	v_fma_f32 v29, v24, s61, -v28
	v_rndne_f32_e32 v31, v28
	v_fmac_f32_e32 v29, 0x32a5705f, v24
	v_sub_f32_e32 v28, v28, v31
	v_add_f32_e32 v28, v28, v29
	v_exp_f32_e32 v28, v28
	v_cvt_i32_f32_e32 v29, v31
	v_cmp_ngt_f32_e32 vcc, s30, v24
	v_add_f32_e32 v25, v22, v23
	v_ldexp_f32 v28, v28, v29
	v_cndmask_b32_e32 v28, 0, v28, vcc
	v_cmp_nlt_f32_e32 vcc, s47, v24
	s_nop 1
	v_cndmask_b32_e32 v24, v253, v28, vcc
	v_add_f32_e32 v28, v24, v25
	v_sub_f32_e32 v25, v172, v91
	v_mul_f32_e32 v29, 0x3fb8aa3b, v25
	v_fma_f32 v31, v25, s61, -v29
	v_rndne_f32_e32 v32, v29
	v_fmac_f32_e32 v31, 0x32a5705f, v25
	v_sub_f32_e32 v29, v29, v32
	v_add_f32_e32 v29, v29, v31
	v_exp_f32_e32 v29, v29
	v_cvt_i32_f32_e32 v31, v32
	v_cmp_ngt_f32_e32 vcc, s30, v25
	v_ldexp_f32 v29, v29, v31
	s_nop 0
	v_cndmask_b32_e32 v29, 0, v29, vcc
	v_cmp_nlt_f32_e32 vcc, s47, v25
	s_nop 1
	v_cndmask_b32_e32 v25, v253, v29, vcc
	v_add_f32_e32 v29, v25, v28
	v_sub_f32_e32 v28, v191, v91
	v_mul_f32_e32 v31, 0x3fb8aa3b, v28
	v_fma_f32 v32, v28, s61, -v31
	v_rndne_f32_e32 v33, v31
	v_fmac_f32_e32 v32, 0x32a5705f, v28
	v_sub_f32_e32 v31, v31, v33
	v_add_f32_e32 v31, v31, v32
	v_exp_f32_e32 v31, v31
	v_cvt_i32_f32_e32 v32, v33
	v_cmp_ngt_f32_e32 vcc, s30, v28
	v_ldexp_f32 v31, v31, v32
	s_nop 0
	;; [unrolled: 17-line block ×3, first 2 shown]
	v_cndmask_b32_e32 v32, 0, v32, vcc
	v_cmp_nlt_f32_e32 vcc, s47, v29
	s_nop 1
	v_cndmask_b32_e32 v29, v253, v32, vcc
	v_sub_f32_e32 v32, v196, v91
	v_mul_f32_e32 v33, 0x3fb8aa3b, v32
	v_fma_f32 v95, v32, s61, -v33
	v_rndne_f32_e32 v164, v33
	v_fmac_f32_e32 v95, 0x32a5705f, v32
	v_sub_f32_e32 v33, v33, v164
	v_add_f32_e32 v33, v33, v95
	v_exp_f32_e32 v33, v33
	v_cvt_i32_f32_e32 v95, v164
	v_cmp_ngt_f32_e32 vcc, s30, v32
	v_add_f32_e32 v31, v29, v31
	v_ldexp_f32 v33, v33, v95
	v_cndmask_b32_e32 v33, 0, v33, vcc
	v_cmp_nlt_f32_e32 vcc, s47, v32
	s_nop 1
	v_cndmask_b32_e32 v32, v253, v33, vcc
	v_sub_f32_e32 v33, v197, v91
	v_mul_f32_e32 v95, 0x3fb8aa3b, v33
	v_fma_f32 v164, v33, s61, -v95
	v_rndne_f32_e32 v165, v95
	v_fmac_f32_e32 v164, 0x32a5705f, v33
	v_sub_f32_e32 v95, v95, v165
	v_add_f32_e32 v95, v95, v164
	v_exp_f32_e32 v95, v95
	v_cvt_i32_f32_e32 v164, v165
	v_cmp_ngt_f32_e32 vcc, s30, v33
	v_add_f32_e32 v31, v32, v31
	v_ldexp_f32 v95, v95, v164
	v_cndmask_b32_e32 v95, 0, v95, vcc
	v_cmp_nlt_f32_e32 vcc, s47, v33
	v_sub_f32_e32 v33, v198, v91
	s_nop 0
	v_cndmask_b32_e32 v204, v253, v95, vcc
	v_mul_f32_e32 v95, 0x3fb8aa3b, v33
	v_fma_f32 v164, v33, s61, -v95
	v_rndne_f32_e32 v165, v95
	v_fmac_f32_e32 v164, 0x32a5705f, v33
	v_sub_f32_e32 v95, v95, v165
	v_add_f32_e32 v95, v95, v164
	v_exp_f32_e32 v95, v95
	v_cvt_i32_f32_e32 v164, v165
	v_cmp_ngt_f32_e32 vcc, s30, v33
	v_add_f32_e32 v31, v204, v31
	v_cvt_pk_f16_f32 v165, v24, v25
	v_ldexp_f32 v95, v95, v164
	v_cndmask_b32_e32 v95, 0, v95, vcc
	v_cmp_nlt_f32_e32 vcc, s47, v33
	v_mul_f32_e32 v33, 0x3fb8aa3b, v30
	v_rndne_f32_e32 v164, v33
	v_cndmask_b32_e32 v200, v253, v95, vcc
	v_fma_f32 v95, v30, s61, -v33
	v_fmac_f32_e32 v95, 0x32a5705f, v30
	v_sub_f32_e32 v33, v33, v164
	v_add_f32_e32 v33, v33, v95
	v_exp_f32_e32 v33, v33
	v_cvt_i32_f32_e32 v95, v164
	v_cmp_ngt_f32_e32 vcc, s30, v30
	v_add_f32_e32 v31, v200, v31
	v_cvt_pk_f16_f32 v164, v22, v23
	v_ldexp_f32 v33, v33, v95
	v_cndmask_b32_e32 v33, 0, v33, vcc
	v_cmp_nlt_f32_e32 vcc, s47, v30
	s_nop 1
	v_cndmask_b32_e32 v202, v253, v33, vcc
	v_add_f32_e32 v30, v202, v31
	v_mul_f32_e32 v31, 0x3fb8aa3b, v27
	v_fma_f32 v33, v27, s61, -v31
	v_rndne_f32_e32 v95, v31
	v_fmac_f32_e32 v33, 0x32a5705f, v27
	v_sub_f32_e32 v31, v31, v95
	v_add_f32_e32 v31, v31, v33
	v_exp_f32_e32 v31, v31
	v_cvt_i32_f32_e32 v33, v95
	v_cmp_ngt_f32_e32 vcc, s30, v27
	v_ldexp_f32 v31, v31, v33
	s_nop 0
	v_cndmask_b32_e32 v31, 0, v31, vcc
	v_cmp_nlt_f32_e32 vcc, s47, v27
	s_nop 1
	v_cndmask_b32_e32 v208, v253, v31, vcc
	v_add_f32_e32 v27, v208, v30
	v_mul_f32_e32 v30, 0x3fb8aa3b, v19
	v_fma_f32 v31, v19, s61, -v30
	v_rndne_f32_e32 v33, v30
	v_fmac_f32_e32 v31, 0x32a5705f, v19
	v_sub_f32_e32 v30, v30, v33
	v_add_f32_e32 v30, v30, v31
	v_exp_f32_e32 v30, v30
	v_cvt_i32_f32_e32 v31, v33
	v_cmp_ngt_f32_e32 vcc, s30, v19
	v_ldexp_f32 v30, v30, v31
	s_nop 0
	;; [unrolled: 16-line block ×3, first 2 shown]
	v_cndmask_b32_e32 v27, 0, v27, vcc
	v_cmp_nlt_f32_e32 vcc, s47, v26
	v_mul_f32_e32 v26, 0x3fb8aa3b, v21
	v_rndne_f32_e32 v30, v26
	v_cndmask_b32_e32 v198, v253, v27, vcc
	v_fma_f32 v27, v21, s61, -v26
	v_fmac_f32_e32 v27, 0x32a5705f, v21
	v_sub_f32_e32 v26, v26, v30
	v_add_f32_e32 v26, v26, v27
	v_exp_f32_e32 v26, v26
	v_cvt_i32_f32_e32 v27, v30
	v_cmp_ngt_f32_e32 vcc, s30, v21
	v_add_f32_e32 v19, v198, v19
	v_ldexp_f32 v26, v26, v27
	v_cndmask_b32_e32 v26, 0, v26, vcc
	v_cmp_nlt_f32_e32 vcc, s47, v21
	v_mul_f32_e32 v21, 0x3fb8aa3b, v20
	v_rndne_f32_e32 v27, v21
	v_cndmask_b32_e32 v201, v253, v26, vcc
	v_fma_f32 v26, v20, s61, -v21
	v_fmac_f32_e32 v26, 0x32a5705f, v20
	v_sub_f32_e32 v21, v21, v27
	v_add_f32_e32 v21, v21, v26
	v_exp_f32_e32 v21, v21
	v_cvt_i32_f32_e32 v26, v27
	v_cmp_ngt_f32_e32 vcc, s30, v20
	v_add_f32_e32 v19, v201, v19
	v_ldexp_f32 v21, v21, v26
	;; [unrolled: 14-line block ×3, first 2 shown]
	v_cndmask_b32_e32 v20, 0, v20, vcc
	v_cmp_nlt_f32_e32 vcc, s47, v18
	v_sub_f32_e32 v18, v163, v91
	v_cvt_pk_f16_f32 v163, v32, v204
	v_cndmask_b32_e32 v172, v253, v20, vcc
	v_add_f32_e32 v95, v172, v19
	v_mul_f32_e32 v19, 0x3fb8aa3b, v18
	v_fma_f32 v20, v18, s61, -v19
	v_rndne_f32_e32 v21, v19
	v_fmac_f32_e32 v20, 0x32a5705f, v18
	v_sub_f32_e32 v19, v19, v21
	v_add_f32_e32 v19, v19, v20
	v_exp_f32_e32 v19, v19
	v_cvt_i32_f32_e32 v20, v21
	v_cmp_ngt_f32_e32 vcc, s30, v18
	v_ldexp_f32 v19, v19, v20
	s_nop 0
	v_cndmask_b32_e32 v19, 0, v19, vcc
	v_cmp_nlt_f32_e32 vcc, s47, v18
	s_nop 1
	v_cndmask_b32_e32 v19, v253, v19, vcc
	v_cmp_le_f32_e32 vcc, s1, v18
	s_nop 1
	v_cndmask_b32_e32 v18, 0, v19, vcc
	v_fmac_f32_e32 v95, v162, v18
	v_cvt_f16_f32_e32 v18, v18
	v_cvt_pk_f16_f32 v162, v28, v29
	v_mul_u32_u24_e32 v18, 0x10001, v18
	v_pk_mul_f16 v161, v161, v18
	v_pk_mul_f16 v160, v160, v18
	;; [unrolled: 1-line block ×16, first 2 shown]
	v_lshl_add_u64 v[18:19], v[146:147], 0, v[74:75]
	global_load_dwordx4 v[18:21], v[18:19], off
	v_lshl_add_u64 v[36:37], v[148:149], 0, v[74:75]
	v_lshl_add_u64 v[40:41], v[150:151], 0, v[74:75]
	;; [unrolled: 1-line block ×3, first 2 shown]
	v_cvt_f32_f16_sdwa v209, v27 dst_sel:DWORD dst_unused:UNUSED_PAD src0_sel:WORD_1
	v_cvt_f32_f16_e32 v210, v26
	v_cvt_f32_f16_sdwa v211, v26 dst_sel:DWORD dst_unused:UNUSED_PAD src0_sel:WORD_1
	v_lshl_add_u64 v[146:147], v[146:147], 0, s[64:65]
	v_lshl_add_u64 v[148:149], v[148:149], 0, s[64:65]
	;; [unrolled: 1-line block ×4, first 2 shown]
	s_waitcnt vmcnt(0)
	ds_write_b128 v77, v[18:21]
	global_load_dwordx4 v[18:21], v[36:37], off
	s_waitcnt vmcnt(0)
	ds_write_b128 v230, v[18:21]
	global_load_dwordx4 v[18:21], v[40:41], off
	;; [unrolled: 3-line block ×3, first 2 shown]
	v_cvt_pk_f16_f32 v159, v191, v172
	v_cvt_pk_f16_f32 v158, v198, v201
	v_cvt_f32_f16_sdwa v201, v206 dst_sel:DWORD dst_unused:UNUSED_PAD src0_sel:WORD_1
	s_waitcnt vmcnt(0)
	ds_write_b128 v232, v[18:21]
	s_waitcnt lgkmcnt(0)
	s_barrier
	ds_read_u16 v36, v178 offset:272
	ds_read_u16 v37, v178 offset:544
	ds_read_u16 v40, v179
	ds_read_u16 v41, v179 offset:32
	v_cvt_f32_f16_e32 v18, v161
	v_cvt_f32_f16_sdwa v19, v161 dst_sel:DWORD dst_unused:UNUSED_PAD src0_sel:WORD_1
	v_cvt_f32_f16_e32 v20, v160
	s_waitcnt lgkmcnt(1)
	v_perm_b32 v37, v40, v37, s63
	ds_read_u16 v40, v178
	ds_read_u16 v44, v178 offset:32
	v_cvt_f32_f16_sdwa v21, v160 dst_sel:DWORD dst_unused:UNUSED_PAD src0_sel:WORD_1
	ds_read_u16 v22, v178 offset:4352
	ds_read_u16 v24, v178 offset:4624
	;; [unrolled: 1-line block ×4, first 2 shown]
	v_cvt_pk_f16_f32 v161, v208, v192
	s_waitcnt lgkmcnt(5)
	v_perm_b32 v36, v36, v40, s63
	s_waitcnt lgkmcnt(2)
	v_perm_b32 v22, v24, v22, s63
	v_cvt_pk_f16_f32 v160, v200, v202
	v_mfma_f32_16x16x16_f16 v[18:21], v[36:37], v[164:165], v[18:21]
	s_waitcnt lgkmcnt(0)
	v_perm_b32 v23, v25, v23, s63
	v_cvt_f32_f16_e32 v208, v27
	v_cvt_f32_f16_e32 v200, v206
	s_nop 3
	v_cvt_f16_f32_e32 v18, v18
	v_cvt_f16_f32_e32 v19, v19
	;; [unrolled: 1-line block ×4, first 2 shown]
	v_cvt_f32_f16_e32 v18, v18
	v_cvt_f32_f16_e32 v19, v19
	v_cvt_f32_f16_e32 v20, v20
	v_cvt_f32_f16_e32 v21, v21
	v_cvt_f32_f16_e32 v202, v203
	v_cvt_f32_f16_sdwa v203, v203 dst_sel:DWORD dst_unused:UNUSED_PAD src0_sel:WORD_1
	v_mfma_f32_16x16x16_f16 v[18:21], v[22:23], v[162:163], v[18:21]
	ds_read_u16 v22, v178 offset:8704
	ds_read_u16 v24, v178 offset:8976
	ds_read_u16 v23, v178 offset:9248
	ds_read_u16 v25, v179 offset:8704
	s_nop 3
	v_cvt_f16_f32_e32 v18, v18
	v_cvt_f16_f32_e32 v19, v19
	;; [unrolled: 1-line block ×4, first 2 shown]
	s_waitcnt lgkmcnt(0)
	v_perm_b32 v23, v25, v23, s63
	v_perm_b32 v22, v24, v22, s63
	v_cvt_f32_f16_e32 v18, v18
	v_cvt_f32_f16_e32 v19, v19
	;; [unrolled: 1-line block ×4, first 2 shown]
	s_nop 1
	v_mfma_f32_16x16x16_f16 v[18:21], v[22:23], v[160:161], v[18:21]
	ds_read_u16 v22, v178 offset:13056
	ds_read_u16 v24, v178 offset:13328
	;; [unrolled: 1-line block ×6, first 2 shown]
	s_nop 1
	v_cvt_f16_f32_e32 v18, v18
	v_cvt_f16_f32_e32 v19, v19
	;; [unrolled: 1-line block ×4, first 2 shown]
	s_waitcnt lgkmcnt(2)
	v_perm_b32 v23, v25, v23, s63
	v_perm_b32 v22, v24, v22, s63
	v_cvt_f32_f16_e32 v18, v18
	v_cvt_f32_f16_e32 v19, v19
	;; [unrolled: 1-line block ×4, first 2 shown]
	s_waitcnt lgkmcnt(0)
	v_perm_b32 v29, v41, v29, s63
	v_perm_b32 v28, v28, v44, s63
	v_mfma_f32_16x16x16_f16 v[18:21], v[22:23], v[158:159], v[18:21]
	v_cvt_f32_f16_e32 v22, v45
	v_cvt_f32_f16_sdwa v23, v45 dst_sel:DWORD dst_unused:UNUSED_PAD src0_sel:WORD_1
	v_cvt_f32_f16_e32 v24, v33
	v_cvt_f32_f16_sdwa v25, v33 dst_sel:DWORD dst_unused:UNUSED_PAD src0_sel:WORD_1
	s_nop 1
	v_mfma_f32_16x16x16_f16 v[22:25], v[28:29], v[164:165], v[22:25]
	ds_read_u16 v28, v178 offset:4384
	ds_read_u16 v32, v178 offset:4656
	ds_read_u16 v29, v178 offset:4928
	ds_read_u16 v33, v179 offset:4384
	s_nop 3
	v_cvt_f16_f32_e32 v22, v22
	v_cvt_f16_f32_e32 v23, v23
	v_cvt_f16_f32_e32 v24, v24
	v_cvt_f16_f32_e32 v25, v25
	s_waitcnt lgkmcnt(0)
	v_perm_b32 v29, v33, v29, s63
	v_perm_b32 v28, v32, v28, s63
	v_cvt_f32_f16_e32 v22, v22
	v_cvt_f32_f16_e32 v23, v23
	v_cvt_f32_f16_e32 v24, v24
	v_cvt_f32_f16_e32 v25, v25
	s_nop 1
	v_mfma_f32_16x16x16_f16 v[22:25], v[28:29], v[162:163], v[22:25]
	ds_read_u16 v28, v178 offset:8736
	ds_read_u16 v32, v178 offset:9008
	ds_read_u16 v29, v178 offset:9280
	ds_read_u16 v33, v179 offset:8736
	s_nop 3
	v_cvt_f16_f32_e32 v22, v22
	v_cvt_f16_f32_e32 v23, v23
	v_cvt_f16_f32_e32 v24, v24
	v_cvt_f16_f32_e32 v25, v25
	s_waitcnt lgkmcnt(0)
	v_perm_b32 v29, v33, v29, s63
	v_perm_b32 v28, v32, v28, s63
	v_cvt_f32_f16_e32 v22, v22
	v_cvt_f32_f16_e32 v23, v23
	v_cvt_f32_f16_e32 v24, v24
	v_cvt_f32_f16_e32 v25, v25
	;; [unrolled: 18-line block ×3, first 2 shown]
	s_nop 1
	v_mfma_f32_16x16x16_f16 v[22:25], v[28:29], v[158:159], v[22:25]
	ds_read_u16 v28, v178 offset:64
	ds_read_u16 v29, v178 offset:336
	;; [unrolled: 1-line block ×4, first 2 shown]
	s_waitcnt lgkmcnt(2)
	v_perm_b32 v26, v29, v28, s63
	s_waitcnt lgkmcnt(0)
	v_perm_b32 v27, v33, v32, s63
	ds_read_u16 v32, v178 offset:4416
	ds_read_u16 v36, v178 offset:4688
	;; [unrolled: 1-line block ×4, first 2 shown]
	v_mfma_f32_16x16x16_f16 v[26:29], v[26:27], v[164:165], v[208:211]
	s_waitcnt lgkmcnt(0)
	v_perm_b32 v33, v37, v33, s63
	v_perm_b32 v32, v36, v32, s63
	v_cvt_f32_f16_e32 v208, v31
	s_nop 3
	v_cvt_f16_f32_e32 v26, v26
	v_cvt_f16_f32_e32 v27, v27
	;; [unrolled: 1-line block ×4, first 2 shown]
	v_cvt_f32_f16_e32 v26, v26
	v_cvt_f32_f16_e32 v27, v27
	;; [unrolled: 1-line block ×4, first 2 shown]
	v_cvt_f32_f16_sdwa v209, v31 dst_sel:DWORD dst_unused:UNUSED_PAD src0_sel:WORD_1
	v_cvt_f32_f16_e32 v210, v30
	v_mfma_f32_16x16x16_f16 v[26:29], v[32:33], v[162:163], v[26:29]
	ds_read_u16 v32, v178 offset:8768
	ds_read_u16 v36, v178 offset:9040
	;; [unrolled: 1-line block ×4, first 2 shown]
	v_cvt_f32_f16_sdwa v211, v30 dst_sel:DWORD dst_unused:UNUSED_PAD src0_sel:WORD_1
	s_nop 2
	v_cvt_f16_f32_e32 v26, v26
	v_cvt_f16_f32_e32 v27, v27
	;; [unrolled: 1-line block ×4, first 2 shown]
	s_waitcnt lgkmcnt(0)
	v_perm_b32 v33, v37, v33, s63
	v_perm_b32 v32, v36, v32, s63
	v_cvt_f32_f16_e32 v26, v26
	v_cvt_f32_f16_e32 v27, v27
	;; [unrolled: 1-line block ×4, first 2 shown]
	s_nop 1
	v_mfma_f32_16x16x16_f16 v[26:29], v[32:33], v[160:161], v[26:29]
	ds_read_u16 v32, v178 offset:13120
	ds_read_u16 v36, v178 offset:13392
	;; [unrolled: 1-line block ×4, first 2 shown]
	s_nop 3
	v_cvt_f16_f32_e32 v26, v26
	v_cvt_f16_f32_e32 v27, v27
	;; [unrolled: 1-line block ×4, first 2 shown]
	s_waitcnt lgkmcnt(0)
	v_perm_b32 v33, v37, v33, s63
	v_perm_b32 v32, v36, v32, s63
	v_cvt_f32_f16_e32 v26, v26
	v_cvt_f32_f16_e32 v27, v27
	;; [unrolled: 1-line block ×4, first 2 shown]
	s_nop 1
	v_mfma_f32_16x16x16_f16 v[26:29], v[32:33], v[158:159], v[26:29]
	ds_read_u16 v32, v178 offset:96
	ds_read_u16 v33, v178 offset:368
	;; [unrolled: 1-line block ×4, first 2 shown]
	s_waitcnt lgkmcnt(2)
	v_perm_b32 v30, v33, v32, s63
	s_waitcnt lgkmcnt(0)
	v_perm_b32 v31, v37, v36, s63
	ds_read_u16 v36, v178 offset:4448
	ds_read_u16 v40, v178 offset:4720
	;; [unrolled: 1-line block ×4, first 2 shown]
	v_mfma_f32_16x16x16_f16 v[30:33], v[30:31], v[164:165], v[208:211]
	s_waitcnt lgkmcnt(0)
	v_perm_b32 v37, v41, v37, s63
	v_perm_b32 v36, v40, v36, s63
	v_cvt_f32_f16_e32 v208, v35
	s_nop 3
	v_cvt_f16_f32_e32 v30, v30
	v_cvt_f16_f32_e32 v31, v31
	;; [unrolled: 1-line block ×4, first 2 shown]
	v_cvt_f32_f16_e32 v30, v30
	v_cvt_f32_f16_e32 v31, v31
	;; [unrolled: 1-line block ×4, first 2 shown]
	v_cvt_f32_f16_sdwa v209, v35 dst_sel:DWORD dst_unused:UNUSED_PAD src0_sel:WORD_1
	v_cvt_f32_f16_e32 v210, v34
	v_mfma_f32_16x16x16_f16 v[30:33], v[36:37], v[162:163], v[30:33]
	ds_read_u16 v36, v178 offset:8800
	ds_read_u16 v40, v178 offset:9072
	;; [unrolled: 1-line block ×4, first 2 shown]
	v_cvt_f32_f16_sdwa v211, v34 dst_sel:DWORD dst_unused:UNUSED_PAD src0_sel:WORD_1
	s_nop 2
	v_cvt_f16_f32_e32 v30, v30
	v_cvt_f16_f32_e32 v31, v31
	v_cvt_f16_f32_e32 v32, v32
	v_cvt_f16_f32_e32 v33, v33
	s_waitcnt lgkmcnt(0)
	v_perm_b32 v37, v41, v37, s63
	v_perm_b32 v36, v40, v36, s63
	v_cvt_f32_f16_e32 v30, v30
	v_cvt_f32_f16_e32 v31, v31
	;; [unrolled: 1-line block ×4, first 2 shown]
	s_nop 1
	v_mfma_f32_16x16x16_f16 v[30:33], v[36:37], v[160:161], v[30:33]
	ds_read_u16 v36, v178 offset:13152
	ds_read_u16 v40, v178 offset:13424
	;; [unrolled: 1-line block ×4, first 2 shown]
	s_nop 3
	v_cvt_f16_f32_e32 v30, v30
	v_cvt_f16_f32_e32 v31, v31
	;; [unrolled: 1-line block ×4, first 2 shown]
	s_waitcnt lgkmcnt(0)
	v_perm_b32 v37, v41, v37, s63
	v_perm_b32 v36, v40, v36, s63
	v_cvt_f32_f16_e32 v30, v30
	v_cvt_f32_f16_e32 v31, v31
	v_cvt_f32_f16_e32 v32, v32
	v_cvt_f32_f16_e32 v33, v33
	s_nop 1
	v_mfma_f32_16x16x16_f16 v[30:33], v[36:37], v[158:159], v[30:33]
	ds_read_u16 v36, v178 offset:128
	ds_read_u16 v37, v178 offset:400
	;; [unrolled: 1-line block ×4, first 2 shown]
	s_waitcnt lgkmcnt(2)
	v_perm_b32 v34, v37, v36, s63
	s_waitcnt lgkmcnt(0)
	v_perm_b32 v35, v41, v40, s63
	ds_read_u16 v40, v178 offset:4480
	ds_read_u16 v44, v178 offset:4752
	;; [unrolled: 1-line block ×4, first 2 shown]
	v_mfma_f32_16x16x16_f16 v[34:37], v[34:35], v[164:165], v[208:211]
	s_waitcnt lgkmcnt(0)
	v_perm_b32 v41, v45, v41, s63
	v_perm_b32 v40, v44, v40, s63
	v_cvt_f32_f16_e32 v208, v39
	s_nop 3
	v_cvt_f16_f32_e32 v34, v34
	v_cvt_f16_f32_e32 v35, v35
	;; [unrolled: 1-line block ×4, first 2 shown]
	v_cvt_f32_f16_e32 v34, v34
	v_cvt_f32_f16_e32 v35, v35
	;; [unrolled: 1-line block ×4, first 2 shown]
	v_cvt_f32_f16_sdwa v209, v39 dst_sel:DWORD dst_unused:UNUSED_PAD src0_sel:WORD_1
	v_cvt_f32_f16_e32 v210, v38
	v_mfma_f32_16x16x16_f16 v[34:37], v[40:41], v[162:163], v[34:37]
	ds_read_u16 v40, v178 offset:8832
	ds_read_u16 v44, v178 offset:9104
	;; [unrolled: 1-line block ×4, first 2 shown]
	v_cvt_f32_f16_sdwa v211, v38 dst_sel:DWORD dst_unused:UNUSED_PAD src0_sel:WORD_1
	s_nop 2
	v_cvt_f16_f32_e32 v34, v34
	v_cvt_f16_f32_e32 v35, v35
	;; [unrolled: 1-line block ×4, first 2 shown]
	s_waitcnt lgkmcnt(0)
	v_perm_b32 v41, v45, v41, s63
	v_perm_b32 v40, v44, v40, s63
	v_cvt_f32_f16_e32 v34, v34
	v_cvt_f32_f16_e32 v35, v35
	;; [unrolled: 1-line block ×4, first 2 shown]
	s_nop 1
	v_mfma_f32_16x16x16_f16 v[34:37], v[40:41], v[160:161], v[34:37]
	ds_read_u16 v40, v178 offset:13184
	ds_read_u16 v44, v178 offset:13456
	;; [unrolled: 1-line block ×4, first 2 shown]
	s_nop 3
	v_cvt_f16_f32_e32 v34, v34
	v_cvt_f16_f32_e32 v35, v35
	;; [unrolled: 1-line block ×4, first 2 shown]
	s_waitcnt lgkmcnt(0)
	v_perm_b32 v41, v45, v41, s63
	v_perm_b32 v40, v44, v40, s63
	v_cvt_f32_f16_e32 v34, v34
	v_cvt_f32_f16_e32 v35, v35
	;; [unrolled: 1-line block ×4, first 2 shown]
	s_nop 1
	v_mfma_f32_16x16x16_f16 v[34:37], v[40:41], v[158:159], v[34:37]
	ds_read_u16 v40, v178 offset:160
	ds_read_u16 v41, v178 offset:432
	;; [unrolled: 1-line block ×4, first 2 shown]
	s_waitcnt lgkmcnt(2)
	v_perm_b32 v38, v41, v40, s63
	s_nop 1
	v_cvt_pk_f16_f32 v35, v34, v35
	s_waitcnt lgkmcnt(0)
	v_perm_b32 v39, v45, v44, s63
	ds_read_u16 v44, v178 offset:4512
	ds_read_u16 v172, v178 offset:4784
	ds_read_u16 v45, v178 offset:5056
	ds_read_u16 v190, v179 offset:4512
	v_mfma_f32_16x16x16_f16 v[38:41], v[38:39], v[164:165], v[208:211]
	s_waitcnt lgkmcnt(0)
	v_perm_b32 v45, v190, v45, s63
	v_perm_b32 v44, v172, v44, s63
	v_cvt_f32_f16_e32 v208, v43
	s_nop 3
	v_cvt_f16_f32_e32 v38, v38
	v_cvt_f16_f32_e32 v39, v39
	;; [unrolled: 1-line block ×4, first 2 shown]
	v_cvt_f32_f16_e32 v38, v38
	v_cvt_f32_f16_e32 v39, v39
	;; [unrolled: 1-line block ×4, first 2 shown]
	v_cvt_f32_f16_sdwa v209, v43 dst_sel:DWORD dst_unused:UNUSED_PAD src0_sel:WORD_1
	v_cvt_f32_f16_e32 v210, v42
	v_mfma_f32_16x16x16_f16 v[38:41], v[44:45], v[162:163], v[38:41]
	ds_read_u16 v44, v178 offset:8864
	ds_read_u16 v172, v178 offset:9136
	;; [unrolled: 1-line block ×4, first 2 shown]
	v_cvt_f32_f16_sdwa v211, v42 dst_sel:DWORD dst_unused:UNUSED_PAD src0_sel:WORD_1
	v_cvt_pk_f16_f32 v34, v36, v37
	s_nop 1
	v_cvt_f16_f32_e32 v38, v38
	v_cvt_f16_f32_e32 v39, v39
	;; [unrolled: 1-line block ×4, first 2 shown]
	s_waitcnt lgkmcnt(0)
	v_perm_b32 v45, v190, v45, s63
	v_perm_b32 v44, v172, v44, s63
	v_cvt_f32_f16_e32 v38, v38
	v_cvt_f32_f16_e32 v39, v39
	v_cvt_f32_f16_e32 v40, v40
	v_cvt_f32_f16_e32 v41, v41
	v_cvt_pk_f16_f32 v37, v30, v31
	v_cvt_pk_f16_f32 v36, v32, v33
	v_mfma_f32_16x16x16_f16 v[38:41], v[44:45], v[160:161], v[38:41]
	ds_read_u16 v44, v178 offset:13216
	ds_read_u16 v172, v178 offset:13488
	;; [unrolled: 1-line block ×4, first 2 shown]
	s_nop 3
	v_cvt_f16_f32_e32 v38, v38
	v_cvt_f16_f32_e32 v39, v39
	;; [unrolled: 1-line block ×4, first 2 shown]
	s_waitcnt lgkmcnt(0)
	v_perm_b32 v45, v190, v45, s63
	v_perm_b32 v44, v172, v44, s63
	v_cvt_f32_f16_e32 v38, v38
	v_cvt_f32_f16_e32 v39, v39
	;; [unrolled: 1-line block ×4, first 2 shown]
	s_nop 1
	v_mfma_f32_16x16x16_f16 v[38:41], v[44:45], v[158:159], v[38:41]
	ds_read_u16 v44, v178 offset:192
	ds_read_u16 v45, v178 offset:464
	;; [unrolled: 1-line block ×4, first 2 shown]
	s_waitcnt lgkmcnt(2)
	v_perm_b32 v42, v45, v44, s63
	s_nop 1
	v_cvt_pk_f16_f32 v39, v38, v39
	s_waitcnt lgkmcnt(0)
	v_perm_b32 v43, v190, v172, s63
	ds_read_u16 v172, v178 offset:4544
	ds_read_u16 v190, v178 offset:4816
	;; [unrolled: 1-line block ×4, first 2 shown]
	v_mfma_f32_16x16x16_f16 v[42:45], v[42:43], v[164:165], v[208:211]
	s_waitcnt lgkmcnt(0)
	v_perm_b32 v191, v192, v191, s63
	v_perm_b32 v190, v190, v172, s63
	v_cvt_pk_f16_f32 v38, v40, v41
	s_nop 3
	v_cvt_f16_f32_e32 v42, v42
	v_cvt_f16_f32_e32 v43, v43
	;; [unrolled: 1-line block ×4, first 2 shown]
	v_cvt_f32_f16_e32 v42, v42
	v_cvt_f32_f16_e32 v43, v43
	;; [unrolled: 1-line block ×4, first 2 shown]
	v_cvt_pk_f16_f32 v41, v26, v27
	v_cvt_pk_f16_f32 v40, v28, v29
	v_mfma_f32_16x16x16_f16 v[42:45], v[190:191], v[162:163], v[42:45]
	ds_read_u16 v172, v178 offset:8896
	ds_read_u16 v190, v178 offset:9168
	;; [unrolled: 1-line block ×4, first 2 shown]
	s_nop 3
	v_cvt_f16_f32_e32 v42, v42
	v_cvt_f16_f32_e32 v43, v43
	;; [unrolled: 1-line block ×4, first 2 shown]
	s_waitcnt lgkmcnt(0)
	v_perm_b32 v191, v192, v191, s63
	v_perm_b32 v190, v190, v172, s63
	v_cvt_f32_f16_e32 v42, v42
	v_cvt_f32_f16_e32 v43, v43
	;; [unrolled: 1-line block ×4, first 2 shown]
	s_nop 1
	v_mfma_f32_16x16x16_f16 v[42:45], v[190:191], v[160:161], v[42:45]
	ds_read_u16 v172, v178 offset:13248
	ds_read_u16 v190, v178 offset:13520
	;; [unrolled: 1-line block ×4, first 2 shown]
	s_nop 3
	v_cvt_f16_f32_e32 v42, v42
	v_cvt_f16_f32_e32 v43, v43
	;; [unrolled: 1-line block ×4, first 2 shown]
	s_waitcnt lgkmcnt(0)
	v_perm_b32 v191, v192, v191, s63
	v_perm_b32 v190, v190, v172, s63
	v_cvt_f32_f16_e32 v42, v42
	v_cvt_f32_f16_e32 v43, v43
	;; [unrolled: 1-line block ×4, first 2 shown]
	s_nop 1
	v_mfma_f32_16x16x16_f16 v[42:45], v[190:191], v[158:159], v[42:45]
	ds_read_u16 v172, v178 offset:224
	ds_read_u16 v190, v178 offset:496
	;; [unrolled: 1-line block ×4, first 2 shown]
	s_waitcnt lgkmcnt(2)
	v_perm_b32 v190, v190, v172, s63
	s_nop 1
	v_cvt_pk_f16_f32 v43, v42, v43
	s_waitcnt lgkmcnt(0)
	v_perm_b32 v191, v192, v191, s63
	v_cvt_pk_f16_f32 v42, v44, v45
	v_cvt_pk_f16_f32 v45, v22, v23
	v_mfma_f32_16x16x16_f16 v[200:203], v[190:191], v[164:165], v[200:203]
	ds_read_u16 v191, v178 offset:4576
	ds_read_u16 v192, v178 offset:4848
	;; [unrolled: 1-line block ×4, first 2 shown]
	v_cvt_pk_f16_f32 v44, v24, v25
	s_nop 2
	v_cvt_f16_f32_e32 v164, v200
	v_cvt_f16_f32_e32 v165, v201
	;; [unrolled: 1-line block ×4, first 2 shown]
	v_cvt_f32_f16_e32 v200, v164
	v_cvt_f32_f16_e32 v201, v165
	s_waitcnt lgkmcnt(0)
	v_perm_b32 v165, v197, v196, s63
	v_perm_b32 v164, v192, v191, s63
	v_cvt_f32_f16_e32 v202, v172
	v_cvt_f32_f16_e32 v203, v190
	ds_read_u16 v172, v178 offset:8928
	ds_read_u16 v190, v178 offset:9200
	;; [unrolled: 1-line block ×4, first 2 shown]
	v_mfma_f32_16x16x16_f16 v[162:165], v[164:165], v[162:163], v[200:203]
	s_waitcnt lgkmcnt(2)
	v_perm_b32 v190, v190, v172, s63
	s_waitcnt lgkmcnt(0)
	v_perm_b32 v191, v192, v191, s63
	s_nop 3
	v_cvt_f16_f32_e32 v162, v162
	v_cvt_f16_f32_e32 v163, v163
	;; [unrolled: 1-line block ×4, first 2 shown]
	v_cvt_f32_f16_e32 v162, v162
	v_cvt_f32_f16_e32 v163, v163
	v_cvt_f32_f16_e32 v164, v164
	v_cvt_f32_f16_e32 v165, v165
	s_nop 1
	v_mfma_f32_16x16x16_f16 v[162:165], v[190:191], v[160:161], v[162:165]
	ds_read_u16 v160, v178 offset:13280
	ds_read_u16 v161, v178 offset:13552
	ds_read_u16 v200, v178 offset:13824
	ds_read_u16 v202, v179 offset:13280
	s_waitcnt lgkmcnt(0)
	s_barrier
	s_nop 1
	v_cvt_f16_f32_e32 v162, v162
	v_cvt_f16_f32_e32 v163, v163
	;; [unrolled: 1-line block ×4, first 2 shown]
	v_perm_b32 v191, v202, v200, s63
	v_perm_b32 v190, v161, v160, s63
	v_cvt_f32_f16_e32 v162, v162
	v_cvt_f32_f16_e32 v163, v163
	;; [unrolled: 1-line block ×4, first 2 shown]
	s_nop 1
	v_mfma_f32_16x16x16_f16 v[158:161], v[190:191], v[158:159], v[162:165]
	s_nop 7
	v_cvt_pk_f16_f32 v158, v158, v159
	v_cvt_pk_f16_f32 v159, v160, v161
	;; [unrolled: 1-line block ×4, first 2 shown]
	s_cbranch_scc0 .LBB25_451
; %bb.449:                              ;   in Loop: Header=BB25_384 Depth=2
	v_mov_b32_e32 v162, v95
	v_mov_b32_e32 v163, v91
	s_branch .LBB25_384
.LBB25_450:                             ;   in Loop: Header=BB25_14 Depth=1
	v_mov_b32_e32 v91, 0xfeffffff
	v_mov_b32_e32 v95, 0
	s_mov_b64 s[98:99], 0
	v_mov_b32_e32 v160, 0
	v_mov_b32_e32 v161, 0
	;; [unrolled: 1-line block ×16, first 2 shown]
	s_branch .LBB25_452
.LBB25_451:                             ;   in Loop: Header=BB25_14 Depth=1
	v_readlane_b32 s52, v255, 15
	v_readlane_b32 s53, v255, 16
	s_mov_b32 s3, s53
	s_lshl_b32 s98, s2, 6
	v_writelane_b32 v255, s2, 15
	s_mov_b32 s99, s53
	v_mov_b32_e32 v190, v173
	v_writelane_b32 v255, s3, 16
	v_mov_b32_e32 v191, v174
	v_mov_b32_e32 v192, v1
.LBB25_452:                             ;   in Loop: Header=BB25_14 Depth=1
	v_mad_i64_i32 v[18:19], s[2:3], v52, s38, 0
	s_lshl_b64 s[2:3], s[98:99], 1
	s_nop 0
	v_lshl_add_u64 v[20:21], v[138:139], 0, s[2:3]
	v_lshl_add_u64 v[18:19], v[18:19], 1, v[20:21]
	v_lshlrev_b32_e32 v52, 1, v50
	v_lshl_add_u64 v[18:19], v[18:19], 0, v[52:53]
	global_load_dword v18, v[18:19], off
	s_mul_i32 s2, s98, s37
	s_mul_hi_u32 s3, s98, s36
	s_add_i32 s3, s3, s2
	s_mul_i32 s2, s98, s36
	s_lshl_b64 s[2:3], s[2:3], 2
	v_lshlrev_b32_e32 v52, 2, v54
	v_add_u32_e32 v30, 0x1000, v223
	v_add_u32_e32 v140, 0x3000, v223
	s_waitcnt vmcnt(0)
	ds_write_b32 v55, v18 offset:17408
	v_lshl_add_u64 v[18:19], v[136:137], 0, s[2:3]
	v_lshl_add_u64 v[20:21], v[56:57], 2, v[18:19]
	v_lshl_add_u64 v[20:21], v[20:21], 0, v[52:53]
	v_lshl_add_u64 v[22:23], v[58:59], 2, v[18:19]
	v_lshl_add_u64 v[24:25], v[60:61], 2, v[18:19]
	v_lshl_add_u64 v[18:19], v[62:63], 2, v[18:19]
	v_lshl_add_u64 v[26:27], v[18:19], 0, v[52:53]
	global_load_dwordx4 v[18:21], v[20:21], off
	v_lshl_add_u64 v[22:23], v[22:23], 0, v[52:53]
	v_lshl_add_u64 v[24:25], v[24:25], 0, v[52:53]
	v_add_u32_e32 v136, 0x2000, v223
	s_waitcnt vmcnt(0)
	ds_write_b128 v77, v[18:21]
	global_load_dwordx4 v[18:21], v[22:23], off
	s_waitcnt vmcnt(0)
	ds_write_b128 v230, v[18:21]
	global_load_dwordx4 v[18:21], v[24:25], off
	;; [unrolled: 3-line block ×3, first 2 shown]
	s_waitcnt vmcnt(0)
	ds_write_b128 v232, v[18:21]
	s_waitcnt lgkmcnt(0)
	s_barrier
	ds_read2_b64 v[18:21], v223 offset1:4
	s_waitcnt lgkmcnt(0)
	v_mfma_f32_16x16x16_f16 v[22:25], v[18:19], v[14:15], 0
	v_mfma_f32_16x16x16_f16 v[18:21], v[20:21], v[16:17], v[22:25]
	s_nop 6
	ds_read2_b64 v[22:25], v223 offset0:8 offset1:12
	s_waitcnt lgkmcnt(0)
	v_mfma_f32_16x16x16_f16 v[18:21], v[22:23], v[10:11], v[18:21]
	v_mfma_f32_16x16x16_f16 v[18:21], v[24:25], v[12:13], v[18:21]
	ds_read2_b64 v[22:25], v223 offset0:16 offset1:20
	s_waitcnt lgkmcnt(0)
	v_mfma_f32_16x16x16_f16 v[18:21], v[22:23], v[6:7], v[18:21]
	v_mfma_f32_16x16x16_f16 v[18:21], v[24:25], v[8:9], v[18:21]
	ds_read2_b64 v[22:25], v223 offset0:24 offset1:28
	s_waitcnt lgkmcnt(0)
	v_mfma_f32_16x16x16_f16 v[18:21], v[22:23], v[2:3], v[18:21]
	v_mfma_f32_16x16x16_f16 v[18:21], v[24:25], v[4:5], v[18:21]
	ds_read2_b64 v[22:25], v30 offset0:32 offset1:36
	s_waitcnt lgkmcnt(0)
	v_mfma_f32_16x16x16_f16 v[26:29], v[22:23], v[14:15], 0
	s_nop 4
	v_cmp_nlt_f32_e64 s[2:3], |v18|, s39
	v_mfma_f32_16x16x16_f16 v[22:25], v[24:25], v[16:17], v[26:29]
	s_nop 2
	ds_read2_b64 v[26:29], v30 offset0:40 offset1:44
	s_waitcnt lgkmcnt(0)
	v_mfma_f32_16x16x16_f16 v[22:25], v[26:27], v[10:11], v[22:25]
	v_mfma_f32_16x16x16_f16 v[22:25], v[28:29], v[12:13], v[22:25]
	ds_read2_b64 v[26:29], v30 offset0:48 offset1:52
	s_waitcnt lgkmcnt(0)
	v_mfma_f32_16x16x16_f16 v[22:25], v[26:27], v[6:7], v[22:25]
	v_mfma_f32_16x16x16_f16 v[22:25], v[28:29], v[8:9], v[22:25]
	;; [unrolled: 4-line block ×4, first 2 shown]
	s_nop 6
	ds_read2_b64 v[30:33], v136 offset0:72 offset1:76
	s_waitcnt lgkmcnt(0)
	v_mfma_f32_16x16x16_f16 v[26:29], v[30:31], v[10:11], v[26:29]
	v_mfma_f32_16x16x16_f16 v[26:29], v[32:33], v[12:13], v[26:29]
	ds_read2_b64 v[30:33], v136 offset0:80 offset1:84
	s_waitcnt lgkmcnt(0)
	v_mfma_f32_16x16x16_f16 v[26:29], v[30:31], v[6:7], v[26:29]
	v_mfma_f32_16x16x16_f16 v[26:29], v[32:33], v[8:9], v[26:29]
	;; [unrolled: 4-line block ×5, first 2 shown]
	s_nop 6
	ds_read2_b64 v[14:17], v140 offset0:112 offset1:116
	s_waitcnt lgkmcnt(0)
	v_mfma_f32_16x16x16_f16 v[10:13], v[14:15], v[6:7], v[10:13]
	v_mfma_f32_16x16x16_f16 v[6:9], v[16:17], v[8:9], v[10:13]
	s_nop 6
	ds_read2_b64 v[10:13], v140 offset0:120 offset1:124
	s_waitcnt lgkmcnt(0)
	v_mfma_f32_16x16x16_f16 v[6:9], v[10:11], v[2:3], v[6:9]
	s_barrier
	v_mfma_f32_16x16x16_f16 v[2:5], v[12:13], v[4:5], v[6:9]
                                        ; implicit-def: $vgpr6
	s_and_saveexec_b64 s[52:53], s[2:3]
	s_xor_b64 s[52:53], exec, s[52:53]
	s_cbranch_execz .LBB25_454
; %bb.453:                              ;   in Loop: Header=BB25_14 Depth=1
	s_nop 2
	v_add_f32_e64 v6, |v18|, |v18|
	v_mul_f32_e32 v7, 0x3fb8aa3b, v6
	v_rndne_f32_e32 v8, v7
	v_sub_f32_e32 v9, v7, v8
	v_fma_f32 v7, v6, s61, -v7
	v_fmac_f32_e32 v7, 0x32a5705f, v6
	v_add_f32_e32 v7, v9, v7
	v_cvt_i32_f32_e32 v8, v8
	v_exp_f32_e32 v7, v7
	v_cmp_ngt_f32_e32 vcc, s30, v6
	v_ldexp_f32 v7, v7, v8
	s_nop 0
	v_cndmask_b32_e32 v7, 0, v7, vcc
	v_cmp_nlt_f32_e32 vcc, s47, v6
	s_nop 1
	v_cndmask_b32_e32 v6, v253, v7, vcc
	v_add_f32_e32 v6, 1.0, v6
	v_rcp_f32_e32 v6, v6
	s_nop 0
	v_fma_f32 v6, v6, -2.0, 1.0
.LBB25_454:                             ;   in Loop: Header=BB25_14 Depth=1
	s_andn2_saveexec_b64 s[52:53], s[52:53]
; %bb.455:                              ;   in Loop: Header=BB25_14 Depth=1
	s_nop 1
	v_mul_f32_e32 v6, v18, v18
	v_fmamk_f32 v7, v6, 0xbbbac73d, v252
	v_fmaak_f32 v7, v6, v7, 0xbd5c1c4e
	v_fmaak_f32 v7, v6, v7, 0x3e088382
	;; [unrolled: 1-line block ×3, first 2 shown]
	v_mul_f32_e64 v7, |v18|, v7
	v_fma_f32 v6, v6, v7, |v18|
; %bb.456:                              ;   in Loop: Header=BB25_14 Depth=1
	s_or_b64 exec, exec, s[52:53]
	v_cmp_nlt_f32_e64 s[2:3], |v19|, s39
                                        ; implicit-def: $vgpr7
	s_and_saveexec_b64 s[52:53], s[2:3]
	s_xor_b64 s[52:53], exec, s[52:53]
	s_cbranch_execz .LBB25_458
; %bb.457:                              ;   in Loop: Header=BB25_14 Depth=1
	v_add_f32_e64 v7, |v19|, |v19|
	v_mul_f32_e32 v8, 0x3fb8aa3b, v7
	v_rndne_f32_e32 v9, v8
	v_sub_f32_e32 v10, v8, v9
	v_fma_f32 v8, v7, s61, -v8
	v_fmac_f32_e32 v8, 0x32a5705f, v7
	v_add_f32_e32 v8, v10, v8
	v_cvt_i32_f32_e32 v9, v9
	v_exp_f32_e32 v8, v8
	v_cmp_ngt_f32_e32 vcc, s30, v7
	v_ldexp_f32 v8, v8, v9
	s_nop 0
	v_cndmask_b32_e32 v8, 0, v8, vcc
	v_cmp_nlt_f32_e32 vcc, s47, v7
	s_nop 1
	v_cndmask_b32_e32 v7, v253, v8, vcc
	v_add_f32_e32 v7, 1.0, v7
	v_rcp_f32_e32 v7, v7
	s_nop 0
	v_fma_f32 v7, v7, -2.0, 1.0
.LBB25_458:                             ;   in Loop: Header=BB25_14 Depth=1
	s_andn2_saveexec_b64 s[52:53], s[52:53]
; %bb.459:                              ;   in Loop: Header=BB25_14 Depth=1
	v_mul_f32_e32 v7, v19, v19
	v_fmamk_f32 v8, v7, 0xbbbac73d, v252
	v_fmaak_f32 v8, v7, v8, 0xbd5c1c4e
	v_fmaak_f32 v8, v7, v8, 0x3e088382
	;; [unrolled: 1-line block ×3, first 2 shown]
	v_mul_f32_e64 v8, |v19|, v8
	v_fma_f32 v7, v7, v8, |v19|
; %bb.460:                              ;   in Loop: Header=BB25_14 Depth=1
	s_or_b64 exec, exec, s[52:53]
	v_cmp_nlt_f32_e64 s[2:3], |v20|, s39
                                        ; implicit-def: $vgpr8
	s_and_saveexec_b64 s[52:53], s[2:3]
	s_xor_b64 s[52:53], exec, s[52:53]
	s_cbranch_execz .LBB25_462
; %bb.461:                              ;   in Loop: Header=BB25_14 Depth=1
	v_add_f32_e64 v8, |v20|, |v20|
	v_mul_f32_e32 v9, 0x3fb8aa3b, v8
	v_rndne_f32_e32 v10, v9
	v_sub_f32_e32 v11, v9, v10
	v_fma_f32 v9, v8, s61, -v9
	v_fmac_f32_e32 v9, 0x32a5705f, v8
	v_add_f32_e32 v9, v11, v9
	v_cvt_i32_f32_e32 v10, v10
	v_exp_f32_e32 v9, v9
	v_cmp_ngt_f32_e32 vcc, s30, v8
	v_ldexp_f32 v9, v9, v10
	s_nop 0
	v_cndmask_b32_e32 v9, 0, v9, vcc
	v_cmp_nlt_f32_e32 vcc, s47, v8
	s_nop 1
	v_cndmask_b32_e32 v8, v253, v9, vcc
	v_add_f32_e32 v8, 1.0, v8
	v_rcp_f32_e32 v8, v8
	s_nop 0
	v_fma_f32 v8, v8, -2.0, 1.0
.LBB25_462:                             ;   in Loop: Header=BB25_14 Depth=1
	s_andn2_saveexec_b64 s[52:53], s[52:53]
; %bb.463:                              ;   in Loop: Header=BB25_14 Depth=1
	v_mul_f32_e32 v8, v20, v20
	v_fmamk_f32 v9, v8, 0xbbbac73d, v252
	v_fmaak_f32 v9, v8, v9, 0xbd5c1c4e
	v_fmaak_f32 v9, v8, v9, 0x3e088382
	;; [unrolled: 1-line block ×3, first 2 shown]
	v_mul_f32_e64 v9, |v20|, v9
	v_fma_f32 v8, v8, v9, |v20|
; %bb.464:                              ;   in Loop: Header=BB25_14 Depth=1
	s_or_b64 exec, exec, s[52:53]
	v_cmp_nlt_f32_e64 s[2:3], |v21|, s39
                                        ; implicit-def: $vgpr9
	s_and_saveexec_b64 s[52:53], s[2:3]
	s_xor_b64 s[52:53], exec, s[52:53]
	s_cbranch_execz .LBB25_466
; %bb.465:                              ;   in Loop: Header=BB25_14 Depth=1
	v_add_f32_e64 v9, |v21|, |v21|
	v_mul_f32_e32 v10, 0x3fb8aa3b, v9
	v_rndne_f32_e32 v11, v10
	v_sub_f32_e32 v12, v10, v11
	v_fma_f32 v10, v9, s61, -v10
	v_fmac_f32_e32 v10, 0x32a5705f, v9
	v_add_f32_e32 v10, v12, v10
	v_cvt_i32_f32_e32 v11, v11
	v_exp_f32_e32 v10, v10
	v_cmp_ngt_f32_e32 vcc, s30, v9
	v_ldexp_f32 v10, v10, v11
	s_nop 0
	v_cndmask_b32_e32 v10, 0, v10, vcc
	v_cmp_nlt_f32_e32 vcc, s47, v9
	s_nop 1
	v_cndmask_b32_e32 v9, v253, v10, vcc
	v_add_f32_e32 v9, 1.0, v9
	v_rcp_f32_e32 v9, v9
	s_nop 0
	v_fma_f32 v9, v9, -2.0, 1.0
.LBB25_466:                             ;   in Loop: Header=BB25_14 Depth=1
	s_andn2_saveexec_b64 s[52:53], s[52:53]
; %bb.467:                              ;   in Loop: Header=BB25_14 Depth=1
	v_mul_f32_e32 v9, v21, v21
	v_fmamk_f32 v10, v9, 0xbbbac73d, v252
	v_fmaak_f32 v10, v9, v10, 0xbd5c1c4e
	v_fmaak_f32 v10, v9, v10, 0x3e088382
	;; [unrolled: 1-line block ×3, first 2 shown]
	v_mul_f32_e64 v10, |v21|, v10
	v_fma_f32 v9, v9, v10, |v21|
; %bb.468:                              ;   in Loop: Header=BB25_14 Depth=1
	s_or_b64 exec, exec, s[52:53]
	v_cmp_nlt_f32_e64 s[2:3], |v22|, s39
                                        ; implicit-def: $vgpr10
	s_and_saveexec_b64 s[52:53], s[2:3]
	s_xor_b64 s[52:53], exec, s[52:53]
	s_cbranch_execz .LBB25_470
; %bb.469:                              ;   in Loop: Header=BB25_14 Depth=1
	v_add_f32_e64 v10, |v22|, |v22|
	v_mul_f32_e32 v11, 0x3fb8aa3b, v10
	v_rndne_f32_e32 v12, v11
	v_sub_f32_e32 v13, v11, v12
	v_fma_f32 v11, v10, s61, -v11
	v_fmac_f32_e32 v11, 0x32a5705f, v10
	v_add_f32_e32 v11, v13, v11
	v_cvt_i32_f32_e32 v12, v12
	v_exp_f32_e32 v11, v11
	v_cmp_ngt_f32_e32 vcc, s30, v10
	v_ldexp_f32 v11, v11, v12
	s_nop 0
	v_cndmask_b32_e32 v11, 0, v11, vcc
	v_cmp_nlt_f32_e32 vcc, s47, v10
	s_nop 1
	v_cndmask_b32_e32 v10, v253, v11, vcc
	v_add_f32_e32 v10, 1.0, v10
	v_rcp_f32_e32 v10, v10
	s_nop 0
	v_fma_f32 v10, v10, -2.0, 1.0
.LBB25_470:                             ;   in Loop: Header=BB25_14 Depth=1
	s_andn2_saveexec_b64 s[52:53], s[52:53]
; %bb.471:                              ;   in Loop: Header=BB25_14 Depth=1
	v_mul_f32_e32 v10, v22, v22
	v_fmamk_f32 v11, v10, 0xbbbac73d, v252
	v_fmaak_f32 v11, v10, v11, 0xbd5c1c4e
	v_fmaak_f32 v11, v10, v11, 0x3e088382
	;; [unrolled: 1-line block ×3, first 2 shown]
	v_mul_f32_e64 v11, |v22|, v11
	v_fma_f32 v10, v10, v11, |v22|
; %bb.472:                              ;   in Loop: Header=BB25_14 Depth=1
	s_or_b64 exec, exec, s[52:53]
	v_cmp_nlt_f32_e64 s[2:3], |v23|, s39
                                        ; implicit-def: $vgpr11
	s_and_saveexec_b64 s[52:53], s[2:3]
	s_xor_b64 s[52:53], exec, s[52:53]
	s_cbranch_execz .LBB25_474
; %bb.473:                              ;   in Loop: Header=BB25_14 Depth=1
	v_add_f32_e64 v11, |v23|, |v23|
	v_mul_f32_e32 v12, 0x3fb8aa3b, v11
	v_rndne_f32_e32 v13, v12
	v_sub_f32_e32 v14, v12, v13
	v_fma_f32 v12, v11, s61, -v12
	v_fmac_f32_e32 v12, 0x32a5705f, v11
	v_add_f32_e32 v12, v14, v12
	v_cvt_i32_f32_e32 v13, v13
	v_exp_f32_e32 v12, v12
	v_cmp_ngt_f32_e32 vcc, s30, v11
	v_ldexp_f32 v12, v12, v13
	s_nop 0
	v_cndmask_b32_e32 v12, 0, v12, vcc
	v_cmp_nlt_f32_e32 vcc, s47, v11
	s_nop 1
	v_cndmask_b32_e32 v11, v253, v12, vcc
	v_add_f32_e32 v11, 1.0, v11
	v_rcp_f32_e32 v11, v11
	s_nop 0
	v_fma_f32 v11, v11, -2.0, 1.0
.LBB25_474:                             ;   in Loop: Header=BB25_14 Depth=1
	s_andn2_saveexec_b64 s[52:53], s[52:53]
; %bb.475:                              ;   in Loop: Header=BB25_14 Depth=1
	v_mul_f32_e32 v11, v23, v23
	v_fmamk_f32 v12, v11, 0xbbbac73d, v252
	v_fmaak_f32 v12, v11, v12, 0xbd5c1c4e
	v_fmaak_f32 v12, v11, v12, 0x3e088382
	;; [unrolled: 1-line block ×3, first 2 shown]
	v_mul_f32_e64 v12, |v23|, v12
	v_fma_f32 v11, v11, v12, |v23|
; %bb.476:                              ;   in Loop: Header=BB25_14 Depth=1
	s_or_b64 exec, exec, s[52:53]
	v_cmp_nlt_f32_e64 s[2:3], |v24|, s39
                                        ; implicit-def: $vgpr12
	s_and_saveexec_b64 s[52:53], s[2:3]
	s_xor_b64 s[52:53], exec, s[52:53]
	s_cbranch_execz .LBB25_478
; %bb.477:                              ;   in Loop: Header=BB25_14 Depth=1
	v_add_f32_e64 v12, |v24|, |v24|
	v_mul_f32_e32 v13, 0x3fb8aa3b, v12
	v_rndne_f32_e32 v14, v13
	v_sub_f32_e32 v15, v13, v14
	v_fma_f32 v13, v12, s61, -v13
	v_fmac_f32_e32 v13, 0x32a5705f, v12
	v_add_f32_e32 v13, v15, v13
	v_cvt_i32_f32_e32 v14, v14
	v_exp_f32_e32 v13, v13
	v_cmp_ngt_f32_e32 vcc, s30, v12
	v_ldexp_f32 v13, v13, v14
	s_nop 0
	v_cndmask_b32_e32 v13, 0, v13, vcc
	v_cmp_nlt_f32_e32 vcc, s47, v12
	s_nop 1
	v_cndmask_b32_e32 v12, v253, v13, vcc
	v_add_f32_e32 v12, 1.0, v12
	v_rcp_f32_e32 v12, v12
	s_nop 0
	v_fma_f32 v12, v12, -2.0, 1.0
.LBB25_478:                             ;   in Loop: Header=BB25_14 Depth=1
	s_andn2_saveexec_b64 s[52:53], s[52:53]
; %bb.479:                              ;   in Loop: Header=BB25_14 Depth=1
	v_mul_f32_e32 v12, v24, v24
	v_fmamk_f32 v13, v12, 0xbbbac73d, v252
	v_fmaak_f32 v13, v12, v13, 0xbd5c1c4e
	v_fmaak_f32 v13, v12, v13, 0x3e088382
	;; [unrolled: 1-line block ×3, first 2 shown]
	v_mul_f32_e64 v13, |v24|, v13
	v_fma_f32 v12, v12, v13, |v24|
; %bb.480:                              ;   in Loop: Header=BB25_14 Depth=1
	s_or_b64 exec, exec, s[52:53]
	v_cmp_nlt_f32_e64 s[2:3], |v25|, s39
                                        ; implicit-def: $vgpr13
	s_and_saveexec_b64 s[52:53], s[2:3]
	s_xor_b64 s[52:53], exec, s[52:53]
	s_cbranch_execz .LBB25_482
; %bb.481:                              ;   in Loop: Header=BB25_14 Depth=1
	v_add_f32_e64 v13, |v25|, |v25|
	v_mul_f32_e32 v14, 0x3fb8aa3b, v13
	v_rndne_f32_e32 v15, v14
	v_sub_f32_e32 v16, v14, v15
	v_fma_f32 v14, v13, s61, -v14
	v_fmac_f32_e32 v14, 0x32a5705f, v13
	v_add_f32_e32 v14, v16, v14
	v_cvt_i32_f32_e32 v15, v15
	v_exp_f32_e32 v14, v14
	v_cmp_ngt_f32_e32 vcc, s30, v13
	v_ldexp_f32 v14, v14, v15
	s_nop 0
	v_cndmask_b32_e32 v14, 0, v14, vcc
	v_cmp_nlt_f32_e32 vcc, s47, v13
	s_nop 1
	v_cndmask_b32_e32 v13, v253, v14, vcc
	v_add_f32_e32 v13, 1.0, v13
	v_rcp_f32_e32 v13, v13
	s_nop 0
	v_fma_f32 v13, v13, -2.0, 1.0
.LBB25_482:                             ;   in Loop: Header=BB25_14 Depth=1
	s_andn2_saveexec_b64 s[52:53], s[52:53]
; %bb.483:                              ;   in Loop: Header=BB25_14 Depth=1
	v_mul_f32_e32 v13, v25, v25
	v_fmamk_f32 v14, v13, 0xbbbac73d, v252
	v_fmaak_f32 v14, v13, v14, 0xbd5c1c4e
	v_fmaak_f32 v14, v13, v14, 0x3e088382
	;; [unrolled: 1-line block ×3, first 2 shown]
	v_mul_f32_e64 v14, |v25|, v14
	v_fma_f32 v13, v13, v14, |v25|
; %bb.484:                              ;   in Loop: Header=BB25_14 Depth=1
	s_or_b64 exec, exec, s[52:53]
	v_cmp_nlt_f32_e64 s[2:3], |v26|, s39
                                        ; implicit-def: $vgpr14
	s_and_saveexec_b64 s[52:53], s[2:3]
	s_xor_b64 s[52:53], exec, s[52:53]
	s_cbranch_execz .LBB25_486
; %bb.485:                              ;   in Loop: Header=BB25_14 Depth=1
	v_add_f32_e64 v14, |v26|, |v26|
	v_mul_f32_e32 v15, 0x3fb8aa3b, v14
	v_rndne_f32_e32 v16, v15
	v_sub_f32_e32 v17, v15, v16
	v_fma_f32 v15, v14, s61, -v15
	v_fmac_f32_e32 v15, 0x32a5705f, v14
	v_add_f32_e32 v15, v17, v15
	v_cvt_i32_f32_e32 v16, v16
	v_exp_f32_e32 v15, v15
	v_cmp_ngt_f32_e32 vcc, s30, v14
	v_ldexp_f32 v15, v15, v16
	s_nop 0
	v_cndmask_b32_e32 v15, 0, v15, vcc
	v_cmp_nlt_f32_e32 vcc, s47, v14
	s_nop 1
	v_cndmask_b32_e32 v14, v253, v15, vcc
	v_add_f32_e32 v14, 1.0, v14
	v_rcp_f32_e32 v14, v14
	s_nop 0
	v_fma_f32 v14, v14, -2.0, 1.0
.LBB25_486:                             ;   in Loop: Header=BB25_14 Depth=1
	s_andn2_saveexec_b64 s[52:53], s[52:53]
; %bb.487:                              ;   in Loop: Header=BB25_14 Depth=1
	v_mul_f32_e32 v14, v26, v26
	v_fmamk_f32 v15, v14, 0xbbbac73d, v252
	v_fmaak_f32 v15, v14, v15, 0xbd5c1c4e
	v_fmaak_f32 v15, v14, v15, 0x3e088382
	;; [unrolled: 1-line block ×3, first 2 shown]
	v_mul_f32_e64 v15, |v26|, v15
	v_fma_f32 v14, v14, v15, |v26|
; %bb.488:                              ;   in Loop: Header=BB25_14 Depth=1
	s_or_b64 exec, exec, s[52:53]
	v_cmp_nlt_f32_e64 s[2:3], |v27|, s39
                                        ; implicit-def: $vgpr15
	s_and_saveexec_b64 s[52:53], s[2:3]
	s_xor_b64 s[52:53], exec, s[52:53]
	s_cbranch_execz .LBB25_490
; %bb.489:                              ;   in Loop: Header=BB25_14 Depth=1
	v_add_f32_e64 v15, |v27|, |v27|
	v_mul_f32_e32 v16, 0x3fb8aa3b, v15
	v_rndne_f32_e32 v17, v16
	v_sub_f32_e32 v30, v16, v17
	v_fma_f32 v16, v15, s61, -v16
	v_fmac_f32_e32 v16, 0x32a5705f, v15
	v_add_f32_e32 v16, v30, v16
	v_cvt_i32_f32_e32 v17, v17
	v_exp_f32_e32 v16, v16
	v_cmp_ngt_f32_e32 vcc, s30, v15
	v_ldexp_f32 v16, v16, v17
	s_nop 0
	v_cndmask_b32_e32 v16, 0, v16, vcc
	v_cmp_nlt_f32_e32 vcc, s47, v15
	s_nop 1
	v_cndmask_b32_e32 v15, v253, v16, vcc
	v_add_f32_e32 v15, 1.0, v15
	v_rcp_f32_e32 v15, v15
	s_nop 0
	v_fma_f32 v15, v15, -2.0, 1.0
.LBB25_490:                             ;   in Loop: Header=BB25_14 Depth=1
	s_andn2_saveexec_b64 s[52:53], s[52:53]
; %bb.491:                              ;   in Loop: Header=BB25_14 Depth=1
	v_mul_f32_e32 v15, v27, v27
	v_fmamk_f32 v16, v15, 0xbbbac73d, v252
	v_fmaak_f32 v16, v15, v16, 0xbd5c1c4e
	v_fmaak_f32 v16, v15, v16, 0x3e088382
	;; [unrolled: 1-line block ×3, first 2 shown]
	v_mul_f32_e64 v16, |v27|, v16
	v_fma_f32 v15, v15, v16, |v27|
; %bb.492:                              ;   in Loop: Header=BB25_14 Depth=1
	s_or_b64 exec, exec, s[52:53]
	v_cmp_nlt_f32_e64 s[2:3], |v28|, s39
                                        ; implicit-def: $vgpr16
	s_and_saveexec_b64 s[52:53], s[2:3]
	s_xor_b64 s[52:53], exec, s[52:53]
	s_cbranch_execz .LBB25_494
; %bb.493:                              ;   in Loop: Header=BB25_14 Depth=1
	v_add_f32_e64 v16, |v28|, |v28|
	v_mul_f32_e32 v17, 0x3fb8aa3b, v16
	v_rndne_f32_e32 v30, v17
	v_sub_f32_e32 v31, v17, v30
	v_fma_f32 v17, v16, s61, -v17
	v_fmac_f32_e32 v17, 0x32a5705f, v16
	v_add_f32_e32 v17, v31, v17
	v_cvt_i32_f32_e32 v30, v30
	v_exp_f32_e32 v17, v17
	v_cmp_ngt_f32_e32 vcc, s30, v16
	v_ldexp_f32 v17, v17, v30
	s_nop 0
	v_cndmask_b32_e32 v17, 0, v17, vcc
	v_cmp_nlt_f32_e32 vcc, s47, v16
	s_nop 1
	v_cndmask_b32_e32 v16, v253, v17, vcc
	v_add_f32_e32 v16, 1.0, v16
	v_rcp_f32_e32 v16, v16
	s_nop 0
	v_fma_f32 v16, v16, -2.0, 1.0
.LBB25_494:                             ;   in Loop: Header=BB25_14 Depth=1
	s_andn2_saveexec_b64 s[52:53], s[52:53]
; %bb.495:                              ;   in Loop: Header=BB25_14 Depth=1
	v_mul_f32_e32 v16, v28, v28
	v_fmamk_f32 v17, v16, 0xbbbac73d, v252
	v_fmaak_f32 v17, v16, v17, 0xbd5c1c4e
	v_fmaak_f32 v17, v16, v17, 0x3e088382
	v_fmaak_f32 v17, v16, v17, 0xbeaaaa99
	v_mul_f32_e64 v17, |v28|, v17
	v_fma_f32 v16, v16, v17, |v28|
; %bb.496:                              ;   in Loop: Header=BB25_14 Depth=1
	s_or_b64 exec, exec, s[52:53]
	v_cmp_nlt_f32_e64 s[2:3], |v29|, s39
                                        ; implicit-def: $vgpr17
	s_and_saveexec_b64 s[52:53], s[2:3]
	s_xor_b64 s[52:53], exec, s[52:53]
	s_cbranch_execz .LBB25_498
; %bb.497:                              ;   in Loop: Header=BB25_14 Depth=1
	v_add_f32_e64 v17, |v29|, |v29|
	v_mul_f32_e32 v30, 0x3fb8aa3b, v17
	v_rndne_f32_e32 v31, v30
	v_sub_f32_e32 v32, v30, v31
	v_fma_f32 v30, v17, s61, -v30
	v_fmac_f32_e32 v30, 0x32a5705f, v17
	v_add_f32_e32 v30, v32, v30
	v_cvt_i32_f32_e32 v31, v31
	v_exp_f32_e32 v30, v30
	v_cmp_ngt_f32_e32 vcc, s30, v17
	v_ldexp_f32 v30, v30, v31
	s_nop 0
	v_cndmask_b32_e32 v30, 0, v30, vcc
	v_cmp_nlt_f32_e32 vcc, s47, v17
	s_nop 1
	v_cndmask_b32_e32 v17, v253, v30, vcc
	v_add_f32_e32 v17, 1.0, v17
	v_rcp_f32_e32 v17, v17
	s_nop 0
	v_fma_f32 v17, v17, -2.0, 1.0
.LBB25_498:                             ;   in Loop: Header=BB25_14 Depth=1
	s_andn2_saveexec_b64 s[52:53], s[52:53]
; %bb.499:                              ;   in Loop: Header=BB25_14 Depth=1
	v_mul_f32_e32 v17, v29, v29
	v_fmamk_f32 v30, v17, 0xbbbac73d, v252
	v_fmaak_f32 v30, v17, v30, 0xbd5c1c4e
	v_fmaak_f32 v30, v17, v30, 0x3e088382
	;; [unrolled: 1-line block ×3, first 2 shown]
	v_mul_f32_e64 v30, |v29|, v30
	v_fma_f32 v17, v17, v30, |v29|
; %bb.500:                              ;   in Loop: Header=BB25_14 Depth=1
	s_or_b64 exec, exec, s[52:53]
	v_cmp_nlt_f32_e64 s[2:3], |v2|, s39
                                        ; implicit-def: $vgpr30
	s_and_saveexec_b64 s[52:53], s[2:3]
	s_xor_b64 s[52:53], exec, s[52:53]
	s_cbranch_execz .LBB25_502
; %bb.501:                              ;   in Loop: Header=BB25_14 Depth=1
	v_add_f32_e64 v30, |v2|, |v2|
	v_mul_f32_e32 v31, 0x3fb8aa3b, v30
	v_rndne_f32_e32 v32, v31
	v_sub_f32_e32 v33, v31, v32
	v_fma_f32 v31, v30, s61, -v31
	v_fmac_f32_e32 v31, 0x32a5705f, v30
	v_add_f32_e32 v31, v33, v31
	v_cvt_i32_f32_e32 v32, v32
	v_exp_f32_e32 v31, v31
	v_cmp_ngt_f32_e32 vcc, s30, v30
	v_ldexp_f32 v31, v31, v32
	s_nop 0
	v_cndmask_b32_e32 v31, 0, v31, vcc
	v_cmp_nlt_f32_e32 vcc, s47, v30
	s_nop 1
	v_cndmask_b32_e32 v30, v253, v31, vcc
	v_add_f32_e32 v30, 1.0, v30
	v_rcp_f32_e32 v30, v30
	s_nop 0
	v_fma_f32 v30, v30, -2.0, 1.0
.LBB25_502:                             ;   in Loop: Header=BB25_14 Depth=1
	s_andn2_saveexec_b64 s[52:53], s[52:53]
; %bb.503:                              ;   in Loop: Header=BB25_14 Depth=1
	v_mul_f32_e32 v30, v2, v2
	v_fmamk_f32 v31, v30, 0xbbbac73d, v252
	v_fmaak_f32 v31, v30, v31, 0xbd5c1c4e
	v_fmaak_f32 v31, v30, v31, 0x3e088382
	;; [unrolled: 1-line block ×3, first 2 shown]
	v_mul_f32_e64 v31, |v2|, v31
	v_fma_f32 v30, v30, v31, |v2|
; %bb.504:                              ;   in Loop: Header=BB25_14 Depth=1
	s_or_b64 exec, exec, s[52:53]
	v_cmp_nlt_f32_e64 s[2:3], |v3|, s39
                                        ; implicit-def: $vgpr31
	s_and_saveexec_b64 s[52:53], s[2:3]
	s_xor_b64 s[52:53], exec, s[52:53]
	s_cbranch_execz .LBB25_506
; %bb.505:                              ;   in Loop: Header=BB25_14 Depth=1
	v_add_f32_e64 v31, |v3|, |v3|
	v_mul_f32_e32 v32, 0x3fb8aa3b, v31
	v_rndne_f32_e32 v33, v32
	v_sub_f32_e32 v136, v32, v33
	v_fma_f32 v32, v31, s61, -v32
	v_fmac_f32_e32 v32, 0x32a5705f, v31
	v_add_f32_e32 v32, v136, v32
	v_cvt_i32_f32_e32 v33, v33
	v_exp_f32_e32 v32, v32
	v_cmp_ngt_f32_e32 vcc, s30, v31
	v_ldexp_f32 v32, v32, v33
	s_nop 0
	v_cndmask_b32_e32 v32, 0, v32, vcc
	v_cmp_nlt_f32_e32 vcc, s47, v31
	s_nop 1
	v_cndmask_b32_e32 v31, v253, v32, vcc
	v_add_f32_e32 v31, 1.0, v31
	v_rcp_f32_e32 v31, v31
	s_nop 0
	v_fma_f32 v31, v31, -2.0, 1.0
.LBB25_506:                             ;   in Loop: Header=BB25_14 Depth=1
	s_andn2_saveexec_b64 s[52:53], s[52:53]
; %bb.507:                              ;   in Loop: Header=BB25_14 Depth=1
	v_mul_f32_e32 v31, v3, v3
	v_fmamk_f32 v32, v31, 0xbbbac73d, v252
	v_fmaak_f32 v32, v31, v32, 0xbd5c1c4e
	v_fmaak_f32 v32, v31, v32, 0x3e088382
	;; [unrolled: 1-line block ×3, first 2 shown]
	v_mul_f32_e64 v32, |v3|, v32
	v_fma_f32 v31, v31, v32, |v3|
; %bb.508:                              ;   in Loop: Header=BB25_14 Depth=1
	s_or_b64 exec, exec, s[52:53]
	v_cmp_nlt_f32_e64 s[2:3], |v4|, s39
                                        ; implicit-def: $vgpr32
	s_and_saveexec_b64 s[52:53], s[2:3]
	s_xor_b64 s[52:53], exec, s[52:53]
	s_cbranch_execz .LBB25_510
; %bb.509:                              ;   in Loop: Header=BB25_14 Depth=1
	v_add_f32_e64 v32, |v4|, |v4|
	v_mul_f32_e32 v33, 0x3fb8aa3b, v32
	v_rndne_f32_e32 v136, v33
	v_sub_f32_e32 v137, v33, v136
	v_fma_f32 v33, v32, s61, -v33
	v_fmac_f32_e32 v33, 0x32a5705f, v32
	v_add_f32_e32 v33, v137, v33
	v_cvt_i32_f32_e32 v136, v136
	v_exp_f32_e32 v33, v33
	v_cmp_ngt_f32_e32 vcc, s30, v32
	v_ldexp_f32 v33, v33, v136
	s_nop 0
	v_cndmask_b32_e32 v33, 0, v33, vcc
	v_cmp_nlt_f32_e32 vcc, s47, v32
	s_nop 1
	v_cndmask_b32_e32 v32, v253, v33, vcc
	v_add_f32_e32 v32, 1.0, v32
	v_rcp_f32_e32 v32, v32
	s_nop 0
	v_fma_f32 v32, v32, -2.0, 1.0
.LBB25_510:                             ;   in Loop: Header=BB25_14 Depth=1
	s_andn2_saveexec_b64 s[52:53], s[52:53]
; %bb.511:                              ;   in Loop: Header=BB25_14 Depth=1
	v_mul_f32_e32 v32, v4, v4
	v_fmamk_f32 v33, v32, 0xbbbac73d, v252
	v_fmaak_f32 v33, v32, v33, 0xbd5c1c4e
	v_fmaak_f32 v33, v32, v33, 0x3e088382
	;; [unrolled: 1-line block ×3, first 2 shown]
	v_mul_f32_e64 v33, |v4|, v33
	v_fma_f32 v32, v32, v33, |v4|
; %bb.512:                              ;   in Loop: Header=BB25_14 Depth=1
	s_or_b64 exec, exec, s[52:53]
	v_cmp_nlt_f32_e64 s[2:3], |v5|, s39
                                        ; implicit-def: $vgpr33
	s_and_saveexec_b64 s[52:53], s[2:3]
	s_xor_b64 s[52:53], exec, s[52:53]
	s_cbranch_execz .LBB25_514
; %bb.513:                              ;   in Loop: Header=BB25_14 Depth=1
	v_add_f32_e64 v33, |v5|, |v5|
	v_mul_f32_e32 v136, 0x3fb8aa3b, v33
	v_rndne_f32_e32 v137, v136
	v_sub_f32_e32 v138, v136, v137
	v_fma_f32 v136, v33, s61, -v136
	v_fmac_f32_e32 v136, 0x32a5705f, v33
	v_add_f32_e32 v136, v138, v136
	v_cvt_i32_f32_e32 v137, v137
	v_exp_f32_e32 v136, v136
	v_cmp_ngt_f32_e32 vcc, s30, v33
	v_ldexp_f32 v136, v136, v137
	s_nop 0
	v_cndmask_b32_e32 v136, 0, v136, vcc
	v_cmp_nlt_f32_e32 vcc, s47, v33
	s_nop 1
	v_cndmask_b32_e32 v33, v253, v136, vcc
	v_add_f32_e32 v33, 1.0, v33
	v_rcp_f32_e32 v33, v33
	s_nop 0
	v_fma_f32 v33, v33, -2.0, 1.0
.LBB25_514:                             ;   in Loop: Header=BB25_14 Depth=1
	s_andn2_saveexec_b64 s[52:53], s[52:53]
; %bb.515:                              ;   in Loop: Header=BB25_14 Depth=1
	v_mul_f32_e32 v33, v5, v5
	v_fmamk_f32 v136, v33, 0xbbbac73d, v252
	v_fmaak_f32 v136, v33, v136, 0xbd5c1c4e
	v_fmaak_f32 v136, v33, v136, 0x3e088382
	;; [unrolled: 1-line block ×3, first 2 shown]
	v_mul_f32_e64 v136, |v5|, v136
	v_fma_f32 v33, v33, v136, |v5|
; %bb.516:                              ;   in Loop: Header=BB25_14 Depth=1
	s_or_b64 exec, exec, s[52:53]
	v_bfi_b32 v31, s0, v31, v3
	v_bfi_b32 v3, s0, v6, v18
	;; [unrolled: 1-line block ×3, first 2 shown]
	ds_read_b32 v5, v176 offset:17408
	v_bfi_b32 v6, s0, v7, v19
	v_bfi_b32 v30, s0, v30, v2
	;; [unrolled: 1-line block ×4, first 2 shown]
	s_waitcnt lgkmcnt(0)
	v_fma_mix_f32 v19, s33, v3, v5 op_sel_hi:[0,0,1]
	ds_read_b32 v3, v177 offset:17408
	v_bfi_b32 v7, s0, v8, v20
	v_bfi_b32 v11, s0, v11, v23
	;; [unrolled: 1-line block ×4, first 2 shown]
	s_waitcnt lgkmcnt(0)
	v_fma_mix_f32 v24, s33, v2, v3 op_sel:[0,0,1] op_sel_hi:[0,0,1]
	v_add_u32_e32 v2, 0x4400, v233
	v_fma_mix_f32 v23, s33, v7, v3 op_sel_hi:[0,0,1]
	ds_read2_b32 v[2:3], v2 offset1:1
	v_bfi_b32 v14, s0, v14, v26
	v_bfi_b32 v15, s0, v15, v27
	v_fma_mix_f32 v22, s33, v6, v5 op_sel:[0,0,1] op_sel_hi:[0,0,1]
	v_bfi_b32 v4, s0, v32, v4
	s_waitcnt lgkmcnt(0)
	v_fma_mix_f32 v25, s33, v10, v2 op_sel_hi:[0,0,1]
	v_fma_mix_f32 v11, s33, v11, v2 op_sel:[0,0,1] op_sel_hi:[0,0,1]
	v_add_u32_e32 v2, 0x4400, v234
	v_fma_mix_f32 v12, s33, v12, v3 op_sel_hi:[0,0,1]
	v_fma_mix_f32 v13, s33, v13, v3 op_sel:[0,0,1] op_sel_hi:[0,0,1]
	ds_read2_b32 v[2:3], v2 offset1:1
	v_bfi_b32 v17, s0, v17, v29
	v_bfi_b32 v16, s0, v16, v28
	s_mul_i32 s2, s98, s27
	s_mul_hi_u32 s3, s98, s26
	s_waitcnt lgkmcnt(0)
	v_fma_mix_f32 v14, s33, v14, v2 op_sel_hi:[0,0,1]
	v_fma_mix_f32 v10, s33, v15, v2 op_sel:[0,0,1] op_sel_hi:[0,0,1]
	v_add_u32_e32 v2, 0x4400, v235
	ds_read2_b32 v[6:7], v2 offset1:1
	v_add_f32_e32 v15, 0x40051340, v24
	v_fma_mix_f32 v9, s33, v16, v3 op_sel_hi:[0,0,1]
	v_fma_mix_f32 v3, s33, v17, v3 op_sel:[0,0,1] op_sel_hi:[0,0,1]
	s_add_i32 s3, s3, s2
	s_waitcnt lgkmcnt(0)
	v_fma_mix_f32 v8, s33, v30, v6 op_sel_hi:[0,0,1]
	v_fma_mix_f32 v5, s33, v31, v6 op_sel:[0,0,1] op_sel_hi:[0,0,1]
	v_fma_mix_f32 v4, s33, v4, v7 op_sel_hi:[0,0,1]
	v_fma_mix_f32 v2, s33, v18, v7 op_sel:[0,0,1] op_sel_hi:[0,0,1]
	v_add_f32_e32 v6, 0x40051340, v19
	v_add_f32_e32 v7, 0x40051340, v22
	v_max3_f32 v6, v91, v6, v7
	v_add_f32_e32 v7, 0x40051340, v23
	v_max3_f32 v6, v6, v7, v15
	v_add_f32_e32 v7, 0x40051340, v25
	v_add_f32_e32 v15, 0x40051340, v11
	v_max3_f32 v6, v6, v7, v15
	v_add_f32_e32 v7, 0x40051340, v12
	;; [unrolled: 3-line block ×6, first 2 shown]
	v_add_f32_e32 v15, 0x40051340, v2
	v_max3_f32 v6, v6, v7, v15
	v_and_b32_e32 v7, 64, v228
	v_add_u32_e32 v7, 64, v7
	v_xor_b32_e32 v15, 32, v228
	v_cmp_lt_i32_e32 vcc, v15, v7
	s_mul_i32 s2, s98, s26
	s_lshl_b64 s[2:3], s[2:3], 2
	v_cndmask_b32_e32 v15, v228, v15, vcc
	v_lshlrev_b32_e32 v28, 2, v15
	ds_bpermute_b32 v15, v28, v6
	s_waitcnt lgkmcnt(0)
	v_max_f32_e32 v15, v15, v15
	v_max_f32_e32 v6, v6, v15
	v_xor_b32_e32 v15, 16, v228
	v_cmp_lt_i32_e32 vcc, v15, v7
	s_nop 1
	v_cndmask_b32_e32 v7, v228, v15, vcc
	v_lshlrev_b32_e32 v21, 2, v7
	ds_bpermute_b32 v7, v21, v6
	s_waitcnt lgkmcnt(0)
	v_max_f32_e32 v7, v7, v7
	v_max_f32_e32 v20, v6, v7
	v_sub_f32_e32 v6, v19, v20
	v_mul_f32_e32 v7, 0x3fb8aa3b, v6
	v_fma_f32 v15, v6, s61, -v7
	v_rndne_f32_e32 v16, v7
	v_fmac_f32_e32 v15, 0x32a5705f, v6
	v_sub_f32_e32 v7, v7, v16
	v_add_f32_e32 v7, v7, v15
	v_exp_f32_e32 v7, v7
	v_cvt_i32_f32_e32 v15, v16
	v_cmp_ngt_f32_e32 vcc, s30, v6
	v_sub_f32_e32 v11, v11, v20
	v_sub_f32_e32 v12, v12, v20
	v_ldexp_f32 v7, v7, v15
	v_cndmask_b32_e32 v7, 0, v7, vcc
	v_cmp_nlt_f32_e32 vcc, s47, v6
	v_sub_f32_e32 v10, v10, v20
	v_sub_f32_e32 v9, v9, v20
	v_cndmask_b32_e32 v6, v253, v7, vcc
	v_sub_f32_e32 v7, v22, v20
	v_mul_f32_e32 v15, 0x3fb8aa3b, v7
	v_fma_f32 v16, v7, s61, -v15
	v_rndne_f32_e32 v17, v15
	v_fmac_f32_e32 v16, 0x32a5705f, v7
	v_sub_f32_e32 v15, v15, v17
	v_add_f32_e32 v15, v15, v16
	v_exp_f32_e32 v15, v15
	v_cvt_i32_f32_e32 v16, v17
	v_cmp_ngt_f32_e32 vcc, s30, v7
	v_sub_f32_e32 v3, v3, v20
	v_sub_f32_e32 v8, v8, v20
	v_ldexp_f32 v15, v15, v16
	v_sub_f32_e32 v16, v23, v20
	v_mul_f32_e32 v17, 0x3fb8aa3b, v16
	v_fma_f32 v18, v16, s61, -v17
	v_rndne_f32_e32 v19, v17
	v_fmac_f32_e32 v18, 0x32a5705f, v16
	v_sub_f32_e32 v17, v17, v19
	v_add_f32_e32 v17, v17, v18
	v_exp_f32_e32 v17, v17
	v_cvt_i32_f32_e32 v18, v19
	v_cndmask_b32_e32 v15, 0, v15, vcc
	v_cmp_nlt_f32_e32 vcc, s47, v7
	v_sub_f32_e32 v5, v5, v20
	v_ldexp_f32 v17, v17, v18
	v_cndmask_b32_e32 v7, v253, v15, vcc
	v_cmp_ngt_f32_e32 vcc, s30, v16
	v_add_f32_e32 v15, v6, v7
	v_sub_f32_e32 v4, v4, v20
	v_cndmask_b32_e32 v17, 0, v17, vcc
	v_cmp_nlt_f32_e32 vcc, s47, v16
	v_sub_f32_e32 v16, v24, v20
	v_sub_f32_e32 v2, v2, v20
	v_cndmask_b32_e32 v18, v253, v17, vcc
	v_mul_f32_e32 v17, 0x3fb8aa3b, v16
	v_fma_f32 v19, v16, s61, -v17
	v_rndne_f32_e32 v22, v17
	v_fmac_f32_e32 v19, 0x32a5705f, v16
	v_sub_f32_e32 v17, v17, v22
	v_add_f32_e32 v17, v17, v19
	v_exp_f32_e32 v17, v17
	v_cvt_i32_f32_e32 v19, v22
	v_cmp_ngt_f32_e32 vcc, s30, v16
	v_add_f32_e32 v15, v18, v15
	v_ldexp_f32 v17, v17, v19
	v_cndmask_b32_e32 v17, 0, v17, vcc
	v_cmp_nlt_f32_e32 vcc, s47, v16
	v_sub_f32_e32 v16, v25, v20
	s_nop 0
	v_cndmask_b32_e32 v19, v253, v17, vcc
	v_mul_f32_e32 v17, 0x3fb8aa3b, v16
	v_fma_f32 v22, v16, s61, -v17
	v_rndne_f32_e32 v23, v17
	v_fmac_f32_e32 v22, 0x32a5705f, v16
	v_sub_f32_e32 v17, v17, v23
	v_add_f32_e32 v17, v17, v22
	v_exp_f32_e32 v17, v17
	v_cvt_i32_f32_e32 v22, v23
	v_cmp_ngt_f32_e32 vcc, s30, v16
	v_add_f32_e32 v15, v19, v15
	v_ldexp_f32 v17, v17, v22
	v_cndmask_b32_e32 v17, 0, v17, vcc
	v_cmp_nlt_f32_e32 vcc, s47, v16
	v_mul_f32_e32 v16, 0x3fb8aa3b, v11
	v_rndne_f32_e32 v23, v16
	v_cndmask_b32_e32 v22, v253, v17, vcc
	v_fma_f32 v17, v11, s61, -v16
	v_fmac_f32_e32 v17, 0x32a5705f, v11
	v_sub_f32_e32 v16, v16, v23
	v_add_f32_e32 v16, v16, v17
	v_exp_f32_e32 v16, v16
	v_cvt_i32_f32_e32 v17, v23
	v_cmp_ngt_f32_e32 vcc, s30, v11
	v_add_f32_e32 v15, v22, v15
	v_ldexp_f32 v16, v16, v17
	v_cndmask_b32_e32 v16, 0, v16, vcc
	v_cmp_nlt_f32_e32 vcc, s47, v11
	s_nop 1
	v_cndmask_b32_e32 v23, v253, v16, vcc
	v_add_f32_e32 v11, v23, v15
	v_mul_f32_e32 v15, 0x3fb8aa3b, v12
	v_fma_f32 v16, v12, s61, -v15
	v_rndne_f32_e32 v17, v15
	v_fmac_f32_e32 v16, 0x32a5705f, v12
	v_sub_f32_e32 v15, v15, v17
	v_add_f32_e32 v15, v15, v16
	v_exp_f32_e32 v15, v15
	v_cvt_i32_f32_e32 v16, v17
	v_cmp_ngt_f32_e32 vcc, s30, v12
	v_ldexp_f32 v15, v15, v16
	s_nop 0
	v_cndmask_b32_e32 v15, 0, v15, vcc
	v_cmp_nlt_f32_e32 vcc, s47, v12
	v_sub_f32_e32 v12, v13, v20
	v_mul_f32_e32 v13, 0x3fb8aa3b, v12
	v_cndmask_b32_e32 v24, v253, v15, vcc
	v_fma_f32 v15, v12, s61, -v13
	v_rndne_f32_e32 v16, v13
	v_fmac_f32_e32 v15, 0x32a5705f, v12
	v_sub_f32_e32 v13, v13, v16
	v_add_f32_e32 v13, v13, v15
	v_exp_f32_e32 v13, v13
	v_cvt_i32_f32_e32 v15, v16
	v_cmp_ngt_f32_e32 vcc, s30, v12
	v_add_f32_e32 v11, v24, v11
	v_ldexp_f32 v13, v13, v15
	v_cndmask_b32_e32 v13, 0, v13, vcc
	v_cmp_nlt_f32_e32 vcc, s47, v12
	v_sub_f32_e32 v12, v14, v20
	s_nop 0
	v_cndmask_b32_e32 v25, v253, v13, vcc
	v_mul_f32_e32 v13, 0x3fb8aa3b, v12
	v_fma_f32 v14, v12, s61, -v13
	v_rndne_f32_e32 v15, v13
	v_fmac_f32_e32 v14, 0x32a5705f, v12
	v_sub_f32_e32 v13, v13, v15
	v_add_f32_e32 v13, v13, v14
	v_exp_f32_e32 v13, v13
	v_cvt_i32_f32_e32 v14, v15
	v_cmp_ngt_f32_e32 vcc, s30, v12
	v_add_f32_e32 v11, v25, v11
	v_cvt_pk_f16_f32 v25, v24, v25
	v_ldexp_f32 v13, v13, v14
	v_cndmask_b32_e32 v13, 0, v13, vcc
	v_cmp_nlt_f32_e32 vcc, s47, v12
	v_mul_f32_e32 v12, 0x3fb8aa3b, v10
	v_rndne_f32_e32 v14, v12
	v_cndmask_b32_e32 v30, v253, v13, vcc
	v_fma_f32 v13, v10, s61, -v12
	v_fmac_f32_e32 v13, 0x32a5705f, v10
	v_sub_f32_e32 v12, v12, v14
	v_add_f32_e32 v12, v12, v13
	v_exp_f32_e32 v12, v12
	v_cvt_i32_f32_e32 v13, v14
	v_cmp_ngt_f32_e32 vcc, s30, v10
	v_add_f32_e32 v11, v30, v11
	v_cvt_pk_f16_f32 v24, v22, v23
	v_ldexp_f32 v12, v12, v13
	v_cndmask_b32_e32 v12, 0, v12, vcc
	v_cmp_nlt_f32_e32 vcc, s47, v10
	s_nop 1
	v_cndmask_b32_e32 v33, v253, v12, vcc
	v_add_f32_e32 v10, v33, v11
	v_mul_f32_e32 v11, 0x3fb8aa3b, v9
	v_fma_f32 v12, v9, s61, -v11
	v_rndne_f32_e32 v13, v11
	v_fmac_f32_e32 v12, 0x32a5705f, v9
	v_sub_f32_e32 v11, v11, v13
	v_add_f32_e32 v11, v11, v12
	v_exp_f32_e32 v11, v11
	v_cvt_i32_f32_e32 v12, v13
	v_cmp_ngt_f32_e32 vcc, s30, v9
	v_cvt_pk_f16_f32 v22, v30, v33
	v_ldexp_f32 v11, v11, v12
	v_cndmask_b32_e32 v11, 0, v11, vcc
	v_cmp_nlt_f32_e32 vcc, s47, v9
	s_nop 1
	v_cndmask_b32_e32 v136, v253, v11, vcc
	v_add_f32_e32 v9, v136, v10
	v_mul_f32_e32 v10, 0x3fb8aa3b, v3
	v_fma_f32 v11, v3, s61, -v10
	v_rndne_f32_e32 v12, v10
	v_fmac_f32_e32 v11, 0x32a5705f, v3
	v_sub_f32_e32 v10, v10, v12
	v_add_f32_e32 v10, v10, v11
	v_exp_f32_e32 v10, v10
	v_cvt_i32_f32_e32 v11, v12
	v_cmp_ngt_f32_e32 vcc, s30, v3
	v_ldexp_f32 v10, v10, v11
	s_nop 0
	v_cndmask_b32_e32 v10, 0, v10, vcc
	v_cmp_nlt_f32_e32 vcc, s47, v3
	s_nop 1
	v_cndmask_b32_e32 v138, v253, v10, vcc
	v_add_f32_e32 v3, v138, v9
	v_mul_f32_e32 v9, 0x3fb8aa3b, v8
	v_fma_f32 v10, v8, s61, -v9
	v_rndne_f32_e32 v11, v9
	v_fmac_f32_e32 v10, 0x32a5705f, v8
	v_sub_f32_e32 v9, v9, v11
	v_add_f32_e32 v9, v9, v10
	v_exp_f32_e32 v9, v9
	v_cvt_i32_f32_e32 v10, v11
	v_cmp_ngt_f32_e32 vcc, s30, v8
	v_cvt_pk_f16_f32 v23, v136, v138
	v_ldexp_f32 v9, v9, v10
	v_cndmask_b32_e32 v9, 0, v9, vcc
	v_cmp_nlt_f32_e32 vcc, s47, v8
	v_mul_f32_e32 v8, 0x3fb8aa3b, v5
	v_rndne_f32_e32 v10, v8
	v_cndmask_b32_e32 v137, v253, v9, vcc
	v_fma_f32 v9, v5, s61, -v8
	v_fmac_f32_e32 v9, 0x32a5705f, v5
	v_sub_f32_e32 v8, v8, v10
	v_add_f32_e32 v8, v8, v9
	v_exp_f32_e32 v8, v8
	v_cvt_i32_f32_e32 v9, v10
	v_cmp_ngt_f32_e32 vcc, s30, v5
	v_add_f32_e32 v3, v137, v3
	v_ldexp_f32 v8, v8, v9
	v_cndmask_b32_e32 v8, 0, v8, vcc
	v_cmp_nlt_f32_e32 vcc, s47, v5
	v_mul_f32_e32 v5, 0x3fb8aa3b, v4
	v_rndne_f32_e32 v9, v5
	v_cndmask_b32_e32 v139, v253, v8, vcc
	v_fma_f32 v8, v4, s61, -v5
	v_fmac_f32_e32 v8, 0x32a5705f, v4
	v_sub_f32_e32 v5, v5, v9
	v_add_f32_e32 v5, v5, v8
	v_exp_f32_e32 v5, v5
	v_cvt_i32_f32_e32 v8, v9
	v_cmp_ngt_f32_e32 vcc, s30, v4
	v_add_f32_e32 v3, v139, v3
	;; [unrolled: 14-line block ×3, first 2 shown]
	v_ldexp_f32 v4, v4, v5
	v_cndmask_b32_e32 v4, 0, v4, vcc
	v_cmp_nlt_f32_e32 vcc, s47, v2
	v_sub_f32_e32 v2, v91, v20
	s_nop 0
	v_cndmask_b32_e32 v141, v253, v4, vcc
	v_add_f32_e32 v29, v141, v3
	v_mul_f32_e32 v3, 0x3fb8aa3b, v2
	v_fma_f32 v4, v2, s61, -v3
	v_rndne_f32_e32 v5, v3
	v_fmac_f32_e32 v4, 0x32a5705f, v2
	v_sub_f32_e32 v3, v3, v5
	v_add_f32_e32 v3, v3, v4
	v_exp_f32_e32 v3, v3
	v_cvt_i32_f32_e32 v4, v5
	v_cmp_ngt_f32_e32 vcc, s30, v2
	v_ldexp_f32 v3, v3, v4
	s_nop 0
	v_cndmask_b32_e32 v3, 0, v3, vcc
	v_cmp_nlt_f32_e32 vcc, s47, v2
	s_nop 1
	v_cndmask_b32_e32 v3, v253, v3, vcc
	v_cmp_le_f32_e32 vcc, s1, v2
	s_nop 1
	v_cndmask_b32_e32 v2, 0, v3, vcc
	v_fmac_f32_e32 v29, v95, v2
	v_cvt_f16_f32_e32 v2, v2
	v_cmp_eq_u64_e32 vcc, 0, v[132:133]
	s_and_b64 vcc, exec, vcc
	v_mul_u32_u24_e32 v2, 0x10001, v2
	v_pk_mul_f16 v27, v161, v2
	v_pk_mul_f16 v26, v160, v2
	;; [unrolled: 1-line block ×16, first 2 shown]
	v_lshl_add_u64 v[2:3], v[134:135], 0, s[2:3]
	v_lshl_add_u64 v[4:5], v[64:65], 2, v[2:3]
	;; [unrolled: 1-line block ×7, first 2 shown]
	global_load_dwordx4 v[2:5], v[4:5], off
	v_lshl_add_u64 v[38:39], v[38:39], 0, v[52:53]
	v_lshl_add_u64 v[40:41], v[40:41], 0, v[52:53]
	s_waitcnt vmcnt(0)
	ds_write_b128 v77, v[2:5]
	global_load_dwordx4 v[2:5], v[38:39], off
	s_waitcnt vmcnt(0)
	ds_write_b128 v230, v[2:5]
	global_load_dwordx4 v[2:5], v[40:41], off
	v_cvt_f32_f16_sdwa v41, v8 dst_sel:DWORD dst_unused:UNUSED_PAD src0_sel:WORD_1
	s_waitcnt vmcnt(0)
	ds_write_b128 v231, v[2:5]
	global_load_dwordx4 v[2:5], v[42:43], off
	s_waitcnt vmcnt(0)
	ds_write_b128 v232, v[2:5]
	s_waitcnt lgkmcnt(0)
	s_barrier
	ds_read_u16 v34, v178 offset:272
	ds_read_u16 v37, v178 offset:544
	v_cvt_f32_f16_e32 v4, v26
	v_cvt_f32_f16_sdwa v5, v26 dst_sel:DWORD dst_unused:UNUSED_PAD src0_sel:WORD_1
	ds_read_u16 v26, v179
	ds_read_u16 v40, v179 offset:32
	v_cvt_f32_f16_e32 v2, v27
	v_cvt_f32_f16_sdwa v3, v27 dst_sel:DWORD dst_unused:UNUSED_PAD src0_sel:WORD_1
	v_cvt_pk_f16_f32 v27, v18, v19
	s_waitcnt lgkmcnt(1)
	v_perm_b32 v39, v26, v37, s63
	ds_read_u16 v26, v178
	ds_read_u16 v37, v178 offset:32
	s_waitcnt lgkmcnt(1)
	v_perm_b32 v38, v34, v26, s63
	v_cvt_pk_f16_f32 v26, v6, v7
	ds_read_u16 v6, v178 offset:4352
	ds_read_u16 v18, v178 offset:4624
	;; [unrolled: 1-line block ×4, first 2 shown]
	v_mfma_f32_16x16x16_f16 v[2:5], v[38:39], v[26:27], v[2:5]
	s_waitcnt lgkmcnt(2)
	v_perm_b32 v6, v18, v6, s63
	s_waitcnt lgkmcnt(0)
	v_perm_b32 v7, v19, v7, s63
	v_cvt_f32_f16_e32 v38, v9
	s_nop 2
	v_cvt_f16_f32_e32 v2, v2
	v_cvt_f16_f32_e32 v3, v3
	;; [unrolled: 1-line block ×4, first 2 shown]
	v_cvt_f32_f16_e32 v2, v2
	v_cvt_f32_f16_e32 v3, v3
	;; [unrolled: 1-line block ×4, first 2 shown]
	v_cvt_f32_f16_sdwa v39, v9 dst_sel:DWORD dst_unused:UNUSED_PAD src0_sel:WORD_1
	s_nop 0
	v_mfma_f32_16x16x16_f16 v[2:5], v[6:7], v[24:25], v[2:5]
	ds_read_u16 v6, v178 offset:8704
	ds_read_u16 v18, v178 offset:8976
	ds_read_u16 v7, v178 offset:9248
	ds_read_u16 v19, v179 offset:8704
	s_nop 3
	v_cvt_f16_f32_e32 v2, v2
	v_cvt_f16_f32_e32 v3, v3
	;; [unrolled: 1-line block ×4, first 2 shown]
	s_waitcnt lgkmcnt(0)
	v_perm_b32 v7, v19, v7, s63
	v_perm_b32 v6, v18, v6, s63
	v_cvt_f32_f16_e32 v2, v2
	v_cvt_f32_f16_e32 v3, v3
	;; [unrolled: 1-line block ×4, first 2 shown]
	s_nop 1
	v_mfma_f32_16x16x16_f16 v[2:5], v[6:7], v[22:23], v[2:5]
	ds_read_u16 v6, v178 offset:13056
	ds_read_u16 v18, v178 offset:13328
	;; [unrolled: 1-line block ×6, first 2 shown]
	s_nop 1
	v_cvt_f16_f32_e32 v2, v2
	v_cvt_f16_f32_e32 v3, v3
	;; [unrolled: 1-line block ×4, first 2 shown]
	s_waitcnt lgkmcnt(2)
	v_perm_b32 v7, v19, v7, s63
	v_perm_b32 v6, v18, v6, s63
	v_cvt_f32_f16_e32 v2, v2
	v_cvt_f32_f16_e32 v3, v3
	;; [unrolled: 1-line block ×4, first 2 shown]
	v_cvt_pk_f16_f32 v19, v140, v141
	v_cvt_pk_f16_f32 v18, v137, v139
	s_waitcnt lgkmcnt(0)
	v_perm_b32 v33, v40, v33, s63
	v_cvt_f32_f16_e32 v40, v8
	v_mfma_f32_16x16x16_f16 v[2:5], v[6:7], v[18:19], v[2:5]
	v_cvt_f32_f16_e32 v6, v31
	v_cvt_f32_f16_sdwa v7, v31 dst_sel:DWORD dst_unused:UNUSED_PAD src0_sel:WORD_1
	s_nop 5
	v_cvt_f16_f32_e32 v4, v4
	v_cvt_f16_f32_e32 v5, v5
	v_perm_b32 v30, v5, v4, s63
	v_cvt_f32_f16_e32 v4, v32
	v_cvt_f32_f16_sdwa v5, v32 dst_sel:DWORD dst_unused:UNUSED_PAD src0_sel:WORD_1
	v_perm_b32 v32, v34, v37, s63
	s_nop 1
	v_mfma_f32_16x16x16_f16 v[4:7], v[32:33], v[26:27], v[4:7]
	ds_read_u16 v31, v178 offset:4384
	ds_read_u16 v32, v178 offset:4656
	ds_read_u16 v33, v178 offset:4928
	ds_read_u16 v34, v179 offset:4384
	s_nop 3
	v_cvt_f16_f32_e32 v4, v4
	v_cvt_f16_f32_e32 v5, v5
	v_cvt_f16_f32_e32 v6, v6
	v_cvt_f16_f32_e32 v7, v7
	s_waitcnt lgkmcnt(0)
	v_perm_b32 v33, v34, v33, s63
	v_perm_b32 v32, v32, v31, s63
	v_cvt_f32_f16_e32 v4, v4
	v_cvt_f32_f16_e32 v5, v5
	v_cvt_f32_f16_e32 v6, v6
	v_cvt_f32_f16_e32 v7, v7
	s_nop 1
	v_mfma_f32_16x16x16_f16 v[4:7], v[32:33], v[24:25], v[4:7]
	ds_read_u16 v31, v178 offset:8736
	ds_read_u16 v32, v178 offset:9008
	ds_read_u16 v33, v178 offset:9280
	ds_read_u16 v34, v179 offset:8736
	s_nop 3
	v_cvt_f16_f32_e32 v4, v4
	v_cvt_f16_f32_e32 v5, v5
	v_cvt_f16_f32_e32 v6, v6
	v_cvt_f16_f32_e32 v7, v7
	s_waitcnt lgkmcnt(0)
	v_perm_b32 v33, v34, v33, s63
	v_perm_b32 v32, v32, v31, s63
	v_cvt_f32_f16_e32 v4, v4
	v_cvt_f32_f16_e32 v5, v5
	v_cvt_f32_f16_e32 v6, v6
	v_cvt_f32_f16_e32 v7, v7
	;; [unrolled: 18-line block ×3, first 2 shown]
	s_nop 1
	v_mfma_f32_16x16x16_f16 v[4:7], v[32:33], v[18:19], v[4:7]
	s_nop 7
	v_cvt_f16_f32_e32 v6, v6
	v_cvt_f16_f32_e32 v7, v7
	v_perm_b32 v31, v7, v6, s63
	ds_read_u16 v6, v178 offset:64
	ds_read_u16 v32, v178 offset:336
	;; [unrolled: 1-line block ×4, first 2 shown]
	s_waitcnt lgkmcnt(2)
	v_perm_b32 v6, v32, v6, s63
	s_waitcnt lgkmcnt(0)
	v_perm_b32 v7, v33, v7, s63
	ds_read_u16 v32, v178 offset:4416
	ds_read_u16 v34, v178 offset:4688
	;; [unrolled: 1-line block ×4, first 2 shown]
	v_mfma_f32_16x16x16_f16 v[6:9], v[6:7], v[26:27], v[38:41]
	s_waitcnt lgkmcnt(0)
	v_perm_b32 v33, v37, v33, s63
	v_perm_b32 v32, v34, v32, s63
	v_cvt_f32_f16_e32 v38, v11
	s_nop 3
	v_cvt_f16_f32_e32 v6, v6
	v_cvt_f16_f32_e32 v7, v7
	;; [unrolled: 1-line block ×4, first 2 shown]
	v_cvt_f32_f16_e32 v6, v6
	v_cvt_f32_f16_e32 v7, v7
	;; [unrolled: 1-line block ×4, first 2 shown]
	v_cvt_f32_f16_sdwa v39, v11 dst_sel:DWORD dst_unused:UNUSED_PAD src0_sel:WORD_1
	v_cvt_f32_f16_e32 v40, v10
	v_mfma_f32_16x16x16_f16 v[6:9], v[32:33], v[24:25], v[6:9]
	ds_read_u16 v32, v178 offset:8768
	ds_read_u16 v34, v178 offset:9040
	;; [unrolled: 1-line block ×4, first 2 shown]
	v_cvt_f32_f16_sdwa v41, v10 dst_sel:DWORD dst_unused:UNUSED_PAD src0_sel:WORD_1
	s_nop 2
	v_cvt_f16_f32_e32 v6, v6
	v_cvt_f16_f32_e32 v7, v7
	v_cvt_f16_f32_e32 v8, v8
	v_cvt_f16_f32_e32 v9, v9
	s_waitcnt lgkmcnt(0)
	v_perm_b32 v33, v37, v33, s63
	v_perm_b32 v32, v34, v32, s63
	v_cvt_f32_f16_e32 v6, v6
	v_cvt_f32_f16_e32 v7, v7
	;; [unrolled: 1-line block ×4, first 2 shown]
	s_nop 1
	v_mfma_f32_16x16x16_f16 v[6:9], v[32:33], v[22:23], v[6:9]
	ds_read_u16 v32, v178 offset:13120
	ds_read_u16 v34, v178 offset:13392
	;; [unrolled: 1-line block ×4, first 2 shown]
	s_nop 3
	v_cvt_f16_f32_e32 v6, v6
	v_cvt_f16_f32_e32 v7, v7
	;; [unrolled: 1-line block ×4, first 2 shown]
	s_waitcnt lgkmcnt(0)
	v_perm_b32 v33, v37, v33, s63
	v_perm_b32 v32, v34, v32, s63
	v_cvt_f32_f16_e32 v6, v6
	v_cvt_f32_f16_e32 v7, v7
	;; [unrolled: 1-line block ×4, first 2 shown]
	s_nop 1
	v_mfma_f32_16x16x16_f16 v[6:9], v[32:33], v[18:19], v[6:9]
	s_nop 7
	v_cvt_f16_f32_e32 v8, v8
	v_cvt_f16_f32_e32 v9, v9
	v_perm_b32 v32, v9, v8, s63
	ds_read_u16 v8, v178 offset:96
	ds_read_u16 v33, v178 offset:368
	;; [unrolled: 1-line block ×4, first 2 shown]
	s_waitcnt lgkmcnt(2)
	v_perm_b32 v8, v33, v8, s63
	s_waitcnt lgkmcnt(0)
	v_perm_b32 v9, v34, v9, s63
	s_nop 1
	v_mfma_f32_16x16x16_f16 v[8:11], v[8:9], v[26:27], v[38:41]
	ds_read_u16 v33, v178 offset:4448
	ds_read_u16 v34, v178 offset:4720
	;; [unrolled: 1-line block ×4, first 2 shown]
	v_cvt_f32_f16_e32 v40, v12
	v_cvt_f32_f16_sdwa v41, v12 dst_sel:DWORD dst_unused:UNUSED_PAD src0_sel:WORD_1
	s_nop 1
	v_cvt_f16_f32_e32 v8, v8
	v_cvt_f16_f32_e32 v9, v9
	;; [unrolled: 1-line block ×4, first 2 shown]
	s_waitcnt lgkmcnt(0)
	v_perm_b32 v39, v38, v37, s63
	v_perm_b32 v38, v34, v33, s63
	v_cvt_f32_f16_e32 v8, v8
	v_cvt_f32_f16_e32 v9, v9
	;; [unrolled: 1-line block ×4, first 2 shown]
	s_nop 1
	v_mfma_f32_16x16x16_f16 v[8:11], v[38:39], v[24:25], v[8:11]
	ds_read_u16 v33, v178 offset:8800
	ds_read_u16 v34, v178 offset:9072
	;; [unrolled: 1-line block ×4, first 2 shown]
	s_nop 3
	v_cvt_f16_f32_e32 v8, v8
	v_cvt_f16_f32_e32 v9, v9
	;; [unrolled: 1-line block ×4, first 2 shown]
	s_waitcnt lgkmcnt(0)
	v_perm_b32 v39, v38, v37, s63
	v_perm_b32 v38, v34, v33, s63
	v_cvt_f32_f16_e32 v8, v8
	v_cvt_f32_f16_e32 v9, v9
	;; [unrolled: 1-line block ×4, first 2 shown]
	s_nop 1
	v_mfma_f32_16x16x16_f16 v[8:11], v[38:39], v[22:23], v[8:11]
	ds_read_u16 v33, v178 offset:13152
	ds_read_u16 v34, v178 offset:13424
	ds_read_u16 v37, v178 offset:13696
	ds_read_u16 v38, v179 offset:13152
	s_nop 3
	v_cvt_f16_f32_e32 v8, v8
	v_cvt_f16_f32_e32 v9, v9
	;; [unrolled: 1-line block ×4, first 2 shown]
	s_waitcnt lgkmcnt(0)
	v_perm_b32 v39, v38, v37, s63
	v_perm_b32 v38, v34, v33, s63
	v_cvt_f32_f16_e32 v8, v8
	v_cvt_f32_f16_e32 v9, v9
	;; [unrolled: 1-line block ×4, first 2 shown]
	s_nop 1
	v_mfma_f32_16x16x16_f16 v[8:11], v[38:39], v[18:19], v[8:11]
	v_cvt_f32_f16_e32 v38, v13
	v_cvt_f32_f16_sdwa v39, v13 dst_sel:DWORD dst_unused:UNUSED_PAD src0_sel:WORD_1
	s_nop 5
	v_cvt_f16_f32_e32 v10, v10
	v_cvt_f16_f32_e32 v11, v11
	v_perm_b32 v33, v11, v10, s63
	ds_read_u16 v10, v178 offset:128
	ds_read_u16 v34, v178 offset:400
	;; [unrolled: 1-line block ×4, first 2 shown]
	s_waitcnt lgkmcnt(2)
	v_perm_b32 v10, v34, v10, s63
	s_waitcnt lgkmcnt(0)
	v_perm_b32 v11, v37, v11, s63
	s_nop 1
	v_mfma_f32_16x16x16_f16 v[10:13], v[10:11], v[26:27], v[38:41]
	ds_read_u16 v34, v178 offset:4480
	ds_read_u16 v37, v178 offset:4752
	s_nop 0
	ds_read_u16 v38, v178 offset:5024
	ds_read_u16 v39, v179 offset:4480
	v_cvt_f32_f16_e32 v40, v14
	v_cvt_f32_f16_sdwa v41, v14 dst_sel:DWORD dst_unused:UNUSED_PAD src0_sel:WORD_1
	s_nop 0
	v_cvt_f16_f32_e32 v10, v10
	v_cvt_f16_f32_e32 v11, v11
	;; [unrolled: 1-line block ×4, first 2 shown]
	s_waitcnt lgkmcnt(0)
	v_perm_b32 v39, v39, v38, s63
	v_perm_b32 v38, v37, v34, s63
	v_cvt_f32_f16_e32 v10, v10
	v_cvt_f32_f16_e32 v11, v11
	;; [unrolled: 1-line block ×4, first 2 shown]
	s_nop 1
	v_mfma_f32_16x16x16_f16 v[10:13], v[38:39], v[24:25], v[10:13]
	ds_read_u16 v34, v178 offset:8832
	ds_read_u16 v37, v178 offset:9104
	;; [unrolled: 1-line block ×4, first 2 shown]
	s_nop 3
	v_cvt_f16_f32_e32 v10, v10
	v_cvt_f16_f32_e32 v11, v11
	;; [unrolled: 1-line block ×4, first 2 shown]
	s_waitcnt lgkmcnt(0)
	v_perm_b32 v39, v39, v38, s63
	v_perm_b32 v38, v37, v34, s63
	v_cvt_f32_f16_e32 v10, v10
	v_cvt_f32_f16_e32 v11, v11
	;; [unrolled: 1-line block ×4, first 2 shown]
	s_nop 1
	v_mfma_f32_16x16x16_f16 v[10:13], v[38:39], v[22:23], v[10:13]
	ds_read_u16 v34, v178 offset:13184
	ds_read_u16 v37, v178 offset:13456
	ds_read_u16 v38, v178 offset:13728
	ds_read_u16 v39, v179 offset:13184
	s_nop 3
	v_cvt_f16_f32_e32 v10, v10
	v_cvt_f16_f32_e32 v11, v11
	;; [unrolled: 1-line block ×4, first 2 shown]
	s_waitcnt lgkmcnt(0)
	v_perm_b32 v39, v39, v38, s63
	v_perm_b32 v38, v37, v34, s63
	v_cvt_f32_f16_e32 v10, v10
	v_cvt_f32_f16_e32 v11, v11
	;; [unrolled: 1-line block ×4, first 2 shown]
	s_nop 1
	v_mfma_f32_16x16x16_f16 v[10:13], v[38:39], v[18:19], v[10:13]
	v_cvt_f32_f16_e32 v38, v15
	v_cvt_f32_f16_sdwa v39, v15 dst_sel:DWORD dst_unused:UNUSED_PAD src0_sel:WORD_1
	s_nop 5
	v_cvt_f16_f32_e32 v12, v12
	v_cvt_f16_f32_e32 v13, v13
	v_perm_b32 v34, v13, v12, s63
	ds_read_u16 v12, v178 offset:160
	ds_read_u16 v37, v178 offset:432
	;; [unrolled: 1-line block ×4, first 2 shown]
	s_waitcnt lgkmcnt(2)
	v_perm_b32 v12, v37, v12, s63
	s_waitcnt lgkmcnt(0)
	v_perm_b32 v13, v42, v13, s63
	s_nop 1
	v_mfma_f32_16x16x16_f16 v[12:15], v[12:13], v[26:27], v[38:41]
	ds_read_u16 v37, v178 offset:4512
	s_nop 1
	ds_read_u16 v38, v178 offset:4784
	ds_read_u16 v39, v178 offset:5056
	;; [unrolled: 1-line block ×3, first 2 shown]
	v_cvt_f32_f16_sdwa v41, v16 dst_sel:DWORD dst_unused:UNUSED_PAD src0_sel:WORD_1
	s_nop 0
	v_cvt_f16_f32_e32 v12, v12
	v_cvt_f16_f32_e32 v13, v13
	;; [unrolled: 1-line block ×4, first 2 shown]
	s_waitcnt lgkmcnt(0)
	v_perm_b32 v39, v40, v39, s63
	v_perm_b32 v38, v38, v37, s63
	v_cvt_f32_f16_e32 v12, v12
	v_cvt_f32_f16_e32 v13, v13
	;; [unrolled: 1-line block ×4, first 2 shown]
	s_nop 1
	v_mfma_f32_16x16x16_f16 v[12:15], v[38:39], v[24:25], v[12:15]
	ds_read_u16 v37, v178 offset:8864
	ds_read_u16 v38, v178 offset:9136
	;; [unrolled: 1-line block ×4, first 2 shown]
	s_nop 3
	v_cvt_f16_f32_e32 v12, v12
	v_cvt_f16_f32_e32 v13, v13
	;; [unrolled: 1-line block ×4, first 2 shown]
	s_waitcnt lgkmcnt(0)
	v_perm_b32 v39, v40, v39, s63
	v_perm_b32 v38, v38, v37, s63
	v_cvt_f32_f16_e32 v12, v12
	v_cvt_f32_f16_e32 v13, v13
	;; [unrolled: 1-line block ×4, first 2 shown]
	s_nop 1
	v_mfma_f32_16x16x16_f16 v[12:15], v[38:39], v[22:23], v[12:15]
	ds_read_u16 v37, v178 offset:13216
	ds_read_u16 v38, v178 offset:13488
	;; [unrolled: 1-line block ×4, first 2 shown]
	s_nop 3
	v_cvt_f16_f32_e32 v12, v12
	v_cvt_f16_f32_e32 v13, v13
	;; [unrolled: 1-line block ×4, first 2 shown]
	s_waitcnt lgkmcnt(0)
	v_perm_b32 v39, v40, v39, s63
	v_perm_b32 v38, v38, v37, s63
	v_cvt_f32_f16_e32 v12, v12
	v_cvt_f32_f16_e32 v13, v13
	;; [unrolled: 1-line block ×5, first 2 shown]
	s_nop 0
	v_mfma_f32_16x16x16_f16 v[12:15], v[38:39], v[18:19], v[12:15]
	v_cvt_f32_f16_e32 v38, v17
	v_cvt_f32_f16_sdwa v39, v17 dst_sel:DWORD dst_unused:UNUSED_PAD src0_sel:WORD_1
	s_nop 5
	v_cvt_f16_f32_e32 v14, v14
	v_cvt_f16_f32_e32 v15, v15
	v_perm_b32 v37, v15, v14, s63
	ds_read_u16 v14, v178 offset:192
	ds_read_u16 v42, v178 offset:464
	;; [unrolled: 1-line block ×4, first 2 shown]
	s_waitcnt lgkmcnt(2)
	v_perm_b32 v14, v42, v14, s63
	v_cvt_f32_f16_e32 v42, v35
	s_waitcnt lgkmcnt(0)
	v_perm_b32 v15, v43, v15, s63
	v_cvt_f32_f16_sdwa v43, v35 dst_sel:DWORD dst_unused:UNUSED_PAD src0_sel:WORD_1
	s_nop 0
	v_mfma_f32_16x16x16_f16 v[14:17], v[14:15], v[26:27], v[38:41]
	s_nop 2
	ds_read_u16 v38, v178 offset:4544
	ds_read_u16 v40, v178 offset:4816
	;; [unrolled: 1-line block ×4, first 2 shown]
	s_nop 0
	v_cvt_f16_f32_e32 v14, v14
	v_cvt_f16_f32_e32 v15, v15
	;; [unrolled: 1-line block ×4, first 2 shown]
	s_waitcnt lgkmcnt(0)
	v_perm_b32 v39, v41, v39, s63
	v_perm_b32 v38, v40, v38, s63
	v_cvt_f32_f16_e32 v14, v14
	v_cvt_f32_f16_e32 v15, v15
	;; [unrolled: 1-line block ×4, first 2 shown]
	s_nop 1
	v_mfma_f32_16x16x16_f16 v[14:17], v[38:39], v[24:25], v[14:17]
	ds_read_u16 v38, v178 offset:8896
	ds_read_u16 v40, v178 offset:9168
	;; [unrolled: 1-line block ×4, first 2 shown]
	s_nop 3
	v_cvt_f16_f32_e32 v14, v14
	v_cvt_f16_f32_e32 v15, v15
	;; [unrolled: 1-line block ×4, first 2 shown]
	s_waitcnt lgkmcnt(0)
	v_perm_b32 v39, v41, v39, s63
	v_perm_b32 v38, v40, v38, s63
	v_cvt_f32_f16_e32 v14, v14
	v_cvt_f32_f16_e32 v15, v15
	;; [unrolled: 1-line block ×4, first 2 shown]
	s_nop 1
	v_mfma_f32_16x16x16_f16 v[14:17], v[38:39], v[22:23], v[14:17]
	ds_read_u16 v38, v178 offset:13248
	ds_read_u16 v40, v178 offset:13520
	ds_read_u16 v39, v178 offset:13792
	ds_read_u16 v41, v179 offset:13248
	s_nop 3
	v_cvt_f16_f32_e32 v14, v14
	v_cvt_f16_f32_e32 v15, v15
	;; [unrolled: 1-line block ×4, first 2 shown]
	s_waitcnt lgkmcnt(0)
	v_perm_b32 v39, v41, v39, s63
	v_perm_b32 v38, v40, v38, s63
	v_cvt_f32_f16_e32 v14, v14
	v_cvt_f32_f16_e32 v15, v15
	;; [unrolled: 1-line block ×5, first 2 shown]
	v_cvt_f32_f16_sdwa v41, v36 dst_sel:DWORD dst_unused:UNUSED_PAD src0_sel:WORD_1
	v_mfma_f32_16x16x16_f16 v[14:17], v[38:39], v[18:19], v[14:17]
	s_nop 7
	v_cvt_f16_f32_e32 v16, v16
	v_cvt_f16_f32_e32 v17, v17
	v_perm_b32 v38, v17, v16, s63
	ds_read_u16 v16, v178 offset:224
	ds_read_u16 v39, v178 offset:496
	;; [unrolled: 1-line block ×4, first 2 shown]
	s_waitcnt lgkmcnt(2)
	v_perm_b32 v16, v39, v16, s63
	s_waitcnt lgkmcnt(0)
	v_perm_b32 v17, v44, v17, s63
	ds_read_u16 v35, v178 offset:4576
	ds_read_u16 v36, v178 offset:4848
	;; [unrolled: 1-line block ×4, first 2 shown]
	v_mfma_f32_16x16x16_f16 v[40:43], v[16:17], v[26:27], v[40:43]
	s_nop 7
	v_cvt_f16_f32_e32 v16, v40
	v_cvt_f16_f32_e32 v17, v41
	;; [unrolled: 1-line block ×4, first 2 shown]
	v_cvt_f32_f16_e32 v40, v16
	v_cvt_f32_f16_e32 v41, v17
	s_waitcnt lgkmcnt(0)
	v_perm_b32 v17, v44, v39, s63
	v_perm_b32 v16, v36, v35, s63
	v_cvt_f32_f16_e32 v42, v26
	v_cvt_f32_f16_e32 v43, v27
	s_nop 1
	v_mfma_f32_16x16x16_f16 v[24:27], v[16:17], v[24:25], v[40:43]
	ds_read_u16 v35, v178 offset:8928
	ds_read_u16 v36, v178 offset:9200
	;; [unrolled: 1-line block ×4, first 2 shown]
	s_nop 3
	v_cvt_f16_f32_e32 v16, v24
	v_cvt_f16_f32_e32 v17, v25
	;; [unrolled: 1-line block ×4, first 2 shown]
	v_cvt_f32_f16_e32 v24, v16
	v_cvt_f32_f16_e32 v25, v17
	s_waitcnt lgkmcnt(0)
	v_perm_b32 v17, v40, v39, s63
	v_perm_b32 v16, v36, v35, s63
	v_cvt_f32_f16_e32 v26, v26
	v_cvt_f32_f16_e32 v27, v27
	s_nop 1
	v_mfma_f32_16x16x16_f16 v[22:25], v[16:17], v[22:23], v[24:27]
	ds_read_u16 v16, v178 offset:13280
	ds_read_u16 v17, v178 offset:13552
	s_nop 0
	ds_read_u16 v26, v178 offset:13824
	ds_read_u16 v27, v179 offset:13280
	s_waitcnt lgkmcnt(0)
	s_barrier
	s_nop 0
	v_cvt_f16_f32_e32 v22, v22
	v_cvt_f16_f32_e32 v23, v23
	;; [unrolled: 1-line block ×4, first 2 shown]
	v_perm_b32 v27, v27, v26, s63
	v_perm_b32 v26, v17, v16, s63
	v_cvt_f32_f16_e32 v22, v22
	v_cvt_f32_f16_e32 v23, v23
	;; [unrolled: 1-line block ×4, first 2 shown]
	s_nop 1
	v_mfma_f32_16x16x16_f16 v[16:19], v[26:27], v[18:19], v[22:25]
	s_nop 7
	v_cvt_f16_f32_e32 v18, v18
	v_cvt_f16_f32_e32 v19, v19
	v_perm_b32 v18, v19, v18, s63
	ds_bpermute_b32 v19, v28, v29
	s_waitcnt lgkmcnt(0)
	v_add_f32_e32 v19, v29, v19
	ds_bpermute_b32 v21, v21, v19
	s_waitcnt lgkmcnt(0)
	v_add_f32_e32 v21, v19, v21
	s_cbranch_vccnz .LBB25_518
; %bb.517:                              ;   in Loop: Header=BB25_14 Depth=1
	v_lshlrev_b32_e32 v19, 2, v76
	v_readfirstlane_b32 s2, v132
	v_readfirstlane_b32 s3, v133
	v_cvt_pk_f16_f32 v2, v2, v3
	v_cvt_pk_f16_f32 v3, v4, v5
	;; [unrolled: 1-line block ×3, first 2 shown]
	v_max_f32_e32 v6, v20, v20
	v_cvt_pk_f16_f32 v22, v10, v11
	global_load_dword v19, v19, s[2:3]
	v_cvt_pk_f16_f32 v5, v8, v9
	v_cvt_pk_f16_f32 v12, v12, v13
	;; [unrolled: 1-line block ×4, first 2 shown]
	s_waitcnt vmcnt(0)
	v_max_f32_e32 v7, v19, v19
	v_max_f32_e32 v10, v6, v7
	v_sub_f32_e32 v6, v20, v10
	v_sub_f32_e32 v7, v19, v10
	v_mul_f32_e32 v8, 0x3fb8aa3b, v6
	v_mul_f32_e32 v9, 0x3fb8aa3b, v7
	v_fma_f32 v11, v6, s61, -v8
	v_rndne_f32_e32 v13, v8
	v_fma_f32 v19, v7, s61, -v9
	v_rndne_f32_e32 v20, v9
	v_fmac_f32_e32 v11, 0x32a5705f, v6
	v_sub_f32_e32 v8, v8, v13
	v_fmac_f32_e32 v19, 0x32a5705f, v7
	v_sub_f32_e32 v9, v9, v20
	v_add_f32_e32 v8, v8, v11
	v_cvt_i32_f32_e32 v13, v13
	v_add_f32_e32 v9, v9, v19
	v_exp_f32_e32 v8, v8
	v_cvt_i32_f32_e32 v20, v20
	v_exp_f32_e32 v9, v9
	v_cmp_ngt_f32_e32 vcc, s30, v6
	v_ldexp_f32 v8, v8, v13
	v_ldexp_f32 v9, v9, v20
	v_cndmask_b32_e32 v8, 0, v8, vcc
	v_cmp_ngt_f32_e32 vcc, s30, v7
	s_nop 1
	v_cndmask_b32_e32 v9, 0, v9, vcc
	v_cmp_nlt_f32_e32 vcc, s47, v6
	s_nop 1
	v_cndmask_b32_e32 v8, v253, v8, vcc
	v_cmp_le_f32_e32 vcc, s1, v6
	s_nop 1
	v_cndmask_b32_e32 v6, 0, v8, vcc
	v_cvt_f16_f32_e32 v8, v6
	v_cmp_nlt_f32_e32 vcc, s47, v7
	v_mul_u32_u24_e32 v13, 0x10001, v8
	s_nop 0
	v_cndmask_b32_e32 v11, v253, v9, vcc
	v_fmac_f32_e32 v11, v21, v6
	v_pk_mul_f16 v9, v2, v13
	v_pk_mul_f16 v30, v30, v13
	;; [unrolled: 1-line block ×16, first 2 shown]
	v_mov_b64_e32 v[20:21], v[10:11]
	s_branch .LBB25_519
.LBB25_518:                             ;   in Loop: Header=BB25_14 Depth=1
	v_cvt_f16_f32_e32 v19, v2
	v_cvt_f16_f32_e32 v22, v3
	;; [unrolled: 1-line block ×16, first 2 shown]
	v_perm_b32 v2, v9, v2, s63
	v_perm_b32 v3, v10, v3, s63
	;; [unrolled: 1-line block ×8, first 2 shown]
.LBB25_519:                             ;   in Loop: Header=BB25_14 Depth=1
	s_mov_b64 s[52:53], exec
	v_readlane_b32 s2, v255, 17
	v_readlane_b32 s3, v255, 18
	s_and_b64 s[2:3], s[52:53], s[2:3]
	s_mov_b64 exec, s[2:3]
; %bb.520:                              ;   in Loop: Header=BB25_14 Depth=1
	ds_write2_b32 v227, v20, v21 offset0:64 offset1:65
; %bb.521:                              ;   in Loop: Header=BB25_14 Depth=1
	s_or_b64 exec, exec, s[52:53]
	v_add_u32_e32 v10, v175, v183
	s_waitcnt lgkmcnt(0)
	s_barrier
	ds_write2_b32 v10, v9, v30 offset1:1
	ds_write2_b32 v10, v8, v31 offset0:8 offset1:9
	ds_write2_b32 v10, v7, v32 offset0:16 offset1:17
	;; [unrolled: 1-line block ×7, first 2 shown]
	v_mov_b32_e32 v2, 50
	s_waitcnt lgkmcnt(0)
	s_barrier
	s_and_saveexec_b64 s[98:99], s[96:97]
	s_cbranch_execz .LBB25_523
; %bb.522:                              ;   in Loop: Header=BB25_14 Depth=1
	ds_read_b32 v6, v194 offset:260
	ds_read_b32 v4, v195
	v_mad_u64_u32 v[2:3], s[2:3], v79, s25, v[46:47]
	v_lshl_add_u32 v2, v2, 6, v48
	v_ashrrev_i32_e32 v3, 31, v2
	s_waitcnt lgkmcnt(0)
	v_cvt_f32_f16_sdwa v5, v4 dst_sel:DWORD dst_unused:UNUSED_PAD src0_sel:WORD_1
	v_cvt_f32_f16_e32 v4, v4
	v_lshl_add_u64 v[2:3], v[2:3], 3, v[130:131]
	v_pk_add_f32 v[4:5], v[4:5], 0 op_sel_hi:[1,0]
	s_nop 0
	v_div_scale_f32 v7, s[2:3], v6, v6, v5
	v_rcp_f32_e32 v8, v7
	s_nop 0
	v_fma_f32 v9, -v7, v8, 1.0
	v_fmac_f32_e32 v8, v9, v8
	v_div_scale_f32 v9, vcc, v5, v6, v5
	v_mul_f32_e32 v10, v9, v8
	v_fma_f32 v11, -v7, v10, v9
	v_fmac_f32_e32 v10, v11, v8
	v_fma_f32 v7, -v7, v10, v9
	v_div_fmas_f32 v7, v7, v8, v10
	v_div_fixup_f32 v5, v7, v6, v5
	v_div_scale_f32 v7, s[2:3], v6, v6, v4
	v_rcp_f32_e32 v8, v7
	s_nop 0
	v_fma_f32 v9, -v7, v8, 1.0
	v_fmac_f32_e32 v8, v9, v8
	v_div_scale_f32 v9, vcc, v4, v6, v4
	v_mul_f32_e32 v10, v9, v8
	v_fma_f32 v11, -v7, v10, v9
	v_fmac_f32_e32 v10, v11, v8
	v_fma_f32 v7, -v7, v10, v9
	v_div_fmas_f32 v7, v7, v8, v10
	v_div_fixup_f32 v4, v7, v6, v4
	global_store_dwordx2 v[2:3], v[4:5], off
	v_mov_b32_e32 v2, 0
.LBB25_523:                             ;   in Loop: Header=BB25_14 Depth=1
	s_or_b64 exec, exec, s[98:99]
	v_cmp_gt_i32_e32 vcc, 50, v2
	s_mov_b64 s[52:53], -1
	s_and_saveexec_b64 s[96:97], vcc
; %bb.524:                              ;   in Loop: Header=BB25_14 Depth=1
	v_cmp_eq_u32_e32 vcc, 0, v2
	s_orn2_b64 s[52:53], vcc, exec
; %bb.525:                              ;   in Loop: Header=BB25_14 Depth=1
	s_or_b64 exec, exec, s[96:97]
                                        ; implicit-def: $vgpr4_vgpr5
                                        ; implicit-def: $vgpr2
	s_and_saveexec_b64 s[96:97], s[52:53]
	s_cbranch_execz .LBB25_613
; %bb.526:                              ;   in Loop: Header=BB25_14 Depth=1
	v_mov_b32_e32 v2, 50
	s_and_saveexec_b64 s[98:99], s[94:95]
	s_cbranch_execz .LBB25_528
; %bb.527:                              ;   in Loop: Header=BB25_14 Depth=1
	v_add_u32_e32 v2, 0x440, v194
	ds_read_b32 v6, v2 offset:260
	ds_read_b32 v4, v171
	v_mad_u64_u32 v[2:3], s[2:3], v216, s25, v[80:81]
	v_lshl_add_u32 v2, v2, 6, v48
	v_ashrrev_i32_e32 v3, 31, v2
	s_waitcnt lgkmcnt(0)
	v_cvt_f32_f16_sdwa v5, v4 dst_sel:DWORD dst_unused:UNUSED_PAD src0_sel:WORD_1
	v_cvt_f32_f16_e32 v4, v4
	v_lshl_add_u64 v[2:3], v[2:3], 3, v[130:131]
	v_pk_add_f32 v[4:5], v[4:5], 0 op_sel_hi:[1,0]
	s_nop 0
	v_div_scale_f32 v7, s[2:3], v6, v6, v5
	v_rcp_f32_e32 v8, v7
	s_nop 0
	v_fma_f32 v9, -v7, v8, 1.0
	v_fmac_f32_e32 v8, v9, v8
	v_div_scale_f32 v9, vcc, v5, v6, v5
	v_mul_f32_e32 v10, v9, v8
	v_fma_f32 v11, -v7, v10, v9
	v_fmac_f32_e32 v10, v11, v8
	v_fma_f32 v7, -v7, v10, v9
	v_div_fmas_f32 v7, v7, v8, v10
	v_div_fixup_f32 v5, v7, v6, v5
	v_div_scale_f32 v7, s[2:3], v6, v6, v4
	v_rcp_f32_e32 v8, v7
	s_nop 0
	v_fma_f32 v9, -v7, v8, 1.0
	v_fmac_f32_e32 v8, v9, v8
	v_div_scale_f32 v9, vcc, v4, v6, v4
	v_mul_f32_e32 v10, v9, v8
	v_fma_f32 v11, -v7, v10, v9
	v_fmac_f32_e32 v10, v11, v8
	v_fma_f32 v7, -v7, v10, v9
	v_div_fmas_f32 v7, v7, v8, v10
	v_div_fixup_f32 v4, v7, v6, v4
	global_store_dwordx2 v[2:3], v[4:5], off
	v_mov_b32_e32 v2, 0
.LBB25_528:                             ;   in Loop: Header=BB25_14 Depth=1
	s_or_b64 exec, exec, s[98:99]
	v_cmp_gt_i32_e32 vcc, 50, v2
	s_mov_b64 s[98:99], -1
	s_and_saveexec_b64 s[52:53], vcc
; %bb.529:                              ;   in Loop: Header=BB25_14 Depth=1
	v_cmp_eq_u32_e32 vcc, 0, v2
	s_orn2_b64 s[98:99], vcc, exec
; %bb.530:                              ;   in Loop: Header=BB25_14 Depth=1
	s_or_b64 exec, exec, s[52:53]
	s_mov_b64 s[52:53], s[68:69]
                                        ; implicit-def: $vgpr4_vgpr5
                                        ; implicit-def: $vgpr2
	s_and_saveexec_b64 s[94:95], s[98:99]
	s_cbranch_execz .LBB25_612
; %bb.531:                              ;   in Loop: Header=BB25_14 Depth=1
	v_mov_b32_e32 v2, 50
	s_and_saveexec_b64 s[98:99], s[92:93]
	s_cbranch_execz .LBB25_533
; %bb.532:                              ;   in Loop: Header=BB25_14 Depth=1
	v_add_u32_e32 v2, 0x880, v194
	ds_read_b32 v6, v2 offset:260
	v_mad_u64_u32 v[2:3], s[2:3], v214, s25, v[46:47]
	scratch_load_dword v3, off, off         ; 4-byte Folded Reload
	v_lshl_add_u32 v2, v2, 6, v48
	s_waitcnt vmcnt(0)
	ds_read_b32 v4, v3
	v_ashrrev_i32_e32 v3, 31, v2
	v_lshl_add_u64 v[2:3], v[2:3], 3, v[130:131]
	s_waitcnt lgkmcnt(0)
	v_cvt_f32_f16_sdwa v5, v4 dst_sel:DWORD dst_unused:UNUSED_PAD src0_sel:WORD_1
	v_cvt_f32_f16_e32 v4, v4
	v_pk_add_f32 v[4:5], v[4:5], 0 op_sel_hi:[1,0]
	s_nop 0
	v_div_scale_f32 v7, s[2:3], v6, v6, v5
	v_rcp_f32_e32 v8, v7
	s_nop 0
	v_fma_f32 v9, -v7, v8, 1.0
	v_fmac_f32_e32 v8, v9, v8
	v_div_scale_f32 v9, vcc, v5, v6, v5
	v_mul_f32_e32 v10, v9, v8
	v_fma_f32 v11, -v7, v10, v9
	v_fmac_f32_e32 v10, v11, v8
	v_fma_f32 v7, -v7, v10, v9
	v_div_fmas_f32 v7, v7, v8, v10
	v_div_fixup_f32 v5, v7, v6, v5
	v_div_scale_f32 v7, s[2:3], v6, v6, v4
	v_rcp_f32_e32 v8, v7
	s_nop 0
	v_fma_f32 v9, -v7, v8, 1.0
	v_fmac_f32_e32 v8, v9, v8
	v_div_scale_f32 v9, vcc, v4, v6, v4
	v_mul_f32_e32 v10, v9, v8
	v_fma_f32 v11, -v7, v10, v9
	v_fmac_f32_e32 v10, v11, v8
	v_fma_f32 v7, -v7, v10, v9
	v_div_fmas_f32 v7, v7, v8, v10
	v_div_fixup_f32 v4, v7, v6, v4
	global_store_dwordx2 v[2:3], v[4:5], off
	v_mov_b32_e32 v2, 0
.LBB25_533:                             ;   in Loop: Header=BB25_14 Depth=1
	s_or_b64 exec, exec, s[98:99]
	v_cmp_gt_i32_e32 vcc, 50, v2
	s_mov_b64 s[98:99], -1
	s_and_saveexec_b64 s[52:53], vcc
; %bb.534:                              ;   in Loop: Header=BB25_14 Depth=1
	v_cmp_eq_u32_e32 vcc, 0, v2
	s_orn2_b64 s[98:99], vcc, exec
; %bb.535:                              ;   in Loop: Header=BB25_14 Depth=1
	s_or_b64 exec, exec, s[52:53]
	s_mov_b64 s[52:53], s[68:69]
                                        ; implicit-def: $vgpr4_vgpr5
                                        ; implicit-def: $vgpr2
	s_and_saveexec_b64 s[92:93], s[98:99]
	s_cbranch_execz .LBB25_611
; %bb.536:                              ;   in Loop: Header=BB25_14 Depth=1
	v_mov_b32_e32 v2, 50
	s_and_saveexec_b64 s[98:99], s[90:91]
	s_cbranch_execz .LBB25_538
; %bb.537:                              ;   in Loop: Header=BB25_14 Depth=1
	v_add_u32_e32 v2, 0xcc0, v194
	ds_read_b32 v6, v2 offset:260
	v_mad_u64_u32 v[2:3], s[2:3], v218, s25, v[84:85]
	scratch_load_dword v3, off, off offset:8 ; 4-byte Folded Reload
	v_lshl_add_u32 v2, v2, 6, v48
	s_waitcnt vmcnt(0)
	ds_read_b32 v4, v3
	v_ashrrev_i32_e32 v3, 31, v2
	v_lshl_add_u64 v[2:3], v[2:3], 3, v[130:131]
	s_waitcnt lgkmcnt(0)
	v_cvt_f32_f16_sdwa v5, v4 dst_sel:DWORD dst_unused:UNUSED_PAD src0_sel:WORD_1
	v_cvt_f32_f16_e32 v4, v4
	v_pk_add_f32 v[4:5], v[4:5], 0 op_sel_hi:[1,0]
	s_nop 0
	v_div_scale_f32 v7, s[2:3], v6, v6, v5
	v_rcp_f32_e32 v8, v7
	s_nop 0
	v_fma_f32 v9, -v7, v8, 1.0
	v_fmac_f32_e32 v8, v9, v8
	v_div_scale_f32 v9, vcc, v5, v6, v5
	v_mul_f32_e32 v10, v9, v8
	v_fma_f32 v11, -v7, v10, v9
	v_fmac_f32_e32 v10, v11, v8
	v_fma_f32 v7, -v7, v10, v9
	v_div_fmas_f32 v7, v7, v8, v10
	v_div_fixup_f32 v5, v7, v6, v5
	v_div_scale_f32 v7, s[2:3], v6, v6, v4
	v_rcp_f32_e32 v8, v7
	s_nop 0
	v_fma_f32 v9, -v7, v8, 1.0
	v_fmac_f32_e32 v8, v9, v8
	v_div_scale_f32 v9, vcc, v4, v6, v4
	v_mul_f32_e32 v10, v9, v8
	v_fma_f32 v11, -v7, v10, v9
	v_fmac_f32_e32 v10, v11, v8
	v_fma_f32 v7, -v7, v10, v9
	v_div_fmas_f32 v7, v7, v8, v10
	v_div_fixup_f32 v4, v7, v6, v4
	global_store_dwordx2 v[2:3], v[4:5], off
	v_mov_b32_e32 v2, 0
.LBB25_538:                             ;   in Loop: Header=BB25_14 Depth=1
	s_or_b64 exec, exec, s[98:99]
	v_cmp_gt_i32_e32 vcc, 50, v2
	s_mov_b64 s[98:99], -1
	s_and_saveexec_b64 s[52:53], vcc
; %bb.539:                              ;   in Loop: Header=BB25_14 Depth=1
	v_cmp_eq_u32_e32 vcc, 0, v2
	s_orn2_b64 s[98:99], vcc, exec
; %bb.540:                              ;   in Loop: Header=BB25_14 Depth=1
	s_or_b64 exec, exec, s[52:53]
	s_mov_b64 s[52:53], s[68:69]
                                        ; implicit-def: $vgpr4_vgpr5
                                        ; implicit-def: $vgpr2
	s_and_saveexec_b64 s[90:91], s[98:99]
	s_cbranch_execz .LBB25_610
; %bb.541:                              ;   in Loop: Header=BB25_14 Depth=1
	v_mov_b32_e32 v2, 50
	s_and_saveexec_b64 s[98:99], s[88:89]
	s_cbranch_execz .LBB25_543
; %bb.542:                              ;   in Loop: Header=BB25_14 Depth=1
	scratch_load_dword v2, off, off offset:16 ; 4-byte Folded Reload
	s_waitcnt vmcnt(0)
	ds_read_b32 v6, v2 offset:260
	v_mad_u64_u32 v[2:3], s[2:3], v220, s25, v[46:47]
	scratch_load_dword v3, off, off offset:20 ; 4-byte Folded Reload
	v_lshl_add_u32 v2, v2, 6, v48
	s_waitcnt vmcnt(0)
	ds_read_b32 v4, v3
	v_ashrrev_i32_e32 v3, 31, v2
	v_lshl_add_u64 v[2:3], v[2:3], 3, v[130:131]
	s_waitcnt lgkmcnt(0)
	v_cvt_f32_f16_sdwa v5, v4 dst_sel:DWORD dst_unused:UNUSED_PAD src0_sel:WORD_1
	v_cvt_f32_f16_e32 v4, v4
	v_pk_add_f32 v[4:5], v[4:5], 0 op_sel_hi:[1,0]
	s_nop 0
	v_div_scale_f32 v7, s[2:3], v6, v6, v5
	v_rcp_f32_e32 v8, v7
	s_nop 0
	v_fma_f32 v9, -v7, v8, 1.0
	v_fmac_f32_e32 v8, v9, v8
	v_div_scale_f32 v9, vcc, v5, v6, v5
	v_mul_f32_e32 v10, v9, v8
	v_fma_f32 v11, -v7, v10, v9
	v_fmac_f32_e32 v10, v11, v8
	v_fma_f32 v7, -v7, v10, v9
	v_div_fmas_f32 v7, v7, v8, v10
	v_div_fixup_f32 v5, v7, v6, v5
	v_div_scale_f32 v7, s[2:3], v6, v6, v4
	v_rcp_f32_e32 v8, v7
	s_nop 0
	v_fma_f32 v9, -v7, v8, 1.0
	v_fmac_f32_e32 v8, v9, v8
	v_div_scale_f32 v9, vcc, v4, v6, v4
	v_mul_f32_e32 v10, v9, v8
	v_fma_f32 v11, -v7, v10, v9
	v_fmac_f32_e32 v10, v11, v8
	v_fma_f32 v7, -v7, v10, v9
	v_div_fmas_f32 v7, v7, v8, v10
	v_div_fixup_f32 v4, v7, v6, v4
	global_store_dwordx2 v[2:3], v[4:5], off
	v_mov_b32_e32 v2, 0
.LBB25_543:                             ;   in Loop: Header=BB25_14 Depth=1
	s_or_b64 exec, exec, s[98:99]
	v_cmp_gt_i32_e32 vcc, 50, v2
	s_mov_b64 s[98:99], -1
	s_and_saveexec_b64 s[52:53], vcc
; %bb.544:                              ;   in Loop: Header=BB25_14 Depth=1
	v_cmp_eq_u32_e32 vcc, 0, v2
	s_orn2_b64 s[98:99], vcc, exec
; %bb.545:                              ;   in Loop: Header=BB25_14 Depth=1
	s_or_b64 exec, exec, s[52:53]
	s_mov_b64 s[52:53], s[68:69]
                                        ; implicit-def: $vgpr4_vgpr5
                                        ; implicit-def: $vgpr2
	s_and_saveexec_b64 s[88:89], s[98:99]
	s_cbranch_execz .LBB25_609
; %bb.546:                              ;   in Loop: Header=BB25_14 Depth=1
	v_mov_b32_e32 v2, 50
	s_and_saveexec_b64 s[98:99], s[86:87]
	s_cbranch_execz .LBB25_548
; %bb.547:                              ;   in Loop: Header=BB25_14 Depth=1
	v_add_u32_e32 v2, 0x1540, v194
	ds_read_b32 v6, v2 offset:260
	v_mad_u64_u32 v[2:3], s[2:3], v217, s25, v[88:89]
	scratch_load_dword v3, off, off offset:24 ; 4-byte Folded Reload
	v_lshl_add_u32 v2, v2, 6, v48
	s_waitcnt vmcnt(0)
	ds_read_b32 v4, v3
	v_ashrrev_i32_e32 v3, 31, v2
	v_lshl_add_u64 v[2:3], v[2:3], 3, v[130:131]
	s_waitcnt lgkmcnt(0)
	v_cvt_f32_f16_sdwa v5, v4 dst_sel:DWORD dst_unused:UNUSED_PAD src0_sel:WORD_1
	v_cvt_f32_f16_e32 v4, v4
	v_pk_add_f32 v[4:5], v[4:5], 0 op_sel_hi:[1,0]
	s_nop 0
	v_div_scale_f32 v7, s[2:3], v6, v6, v5
	v_rcp_f32_e32 v8, v7
	s_nop 0
	v_fma_f32 v9, -v7, v8, 1.0
	v_fmac_f32_e32 v8, v9, v8
	v_div_scale_f32 v9, vcc, v5, v6, v5
	v_mul_f32_e32 v10, v9, v8
	v_fma_f32 v11, -v7, v10, v9
	v_fmac_f32_e32 v10, v11, v8
	v_fma_f32 v7, -v7, v10, v9
	v_div_fmas_f32 v7, v7, v8, v10
	v_div_fixup_f32 v5, v7, v6, v5
	v_div_scale_f32 v7, s[2:3], v6, v6, v4
	v_rcp_f32_e32 v8, v7
	s_nop 0
	v_fma_f32 v9, -v7, v8, 1.0
	v_fmac_f32_e32 v8, v9, v8
	v_div_scale_f32 v9, vcc, v4, v6, v4
	v_mul_f32_e32 v10, v9, v8
	v_fma_f32 v11, -v7, v10, v9
	v_fmac_f32_e32 v10, v11, v8
	v_fma_f32 v7, -v7, v10, v9
	v_div_fmas_f32 v7, v7, v8, v10
	v_div_fixup_f32 v4, v7, v6, v4
	global_store_dwordx2 v[2:3], v[4:5], off
	v_mov_b32_e32 v2, 0
.LBB25_548:                             ;   in Loop: Header=BB25_14 Depth=1
	s_or_b64 exec, exec, s[98:99]
	v_cmp_gt_i32_e32 vcc, 50, v2
	s_mov_b64 s[98:99], -1
	s_and_saveexec_b64 s[52:53], vcc
; %bb.549:                              ;   in Loop: Header=BB25_14 Depth=1
	v_cmp_eq_u32_e32 vcc, 0, v2
	s_orn2_b64 s[98:99], vcc, exec
; %bb.550:                              ;   in Loop: Header=BB25_14 Depth=1
	s_or_b64 exec, exec, s[52:53]
	s_mov_b64 s[52:53], s[68:69]
                                        ; implicit-def: $vgpr4_vgpr5
                                        ; implicit-def: $vgpr2
	s_and_saveexec_b64 s[86:87], s[98:99]
	s_cbranch_execz .LBB25_608
; %bb.551:                              ;   in Loop: Header=BB25_14 Depth=1
	v_mov_b32_e32 v2, 50
	s_and_saveexec_b64 s[98:99], s[84:85]
	s_cbranch_execz .LBB25_553
; %bb.552:                              ;   in Loop: Header=BB25_14 Depth=1
	v_add_u32_e32 v2, 0x1980, v194
	ds_read_b32 v6, v2 offset:260
	v_mad_u64_u32 v[2:3], s[2:3], v222, s25, v[46:47]
	scratch_load_dword v3, off, off offset:28 ; 4-byte Folded Reload
	v_lshl_add_u32 v2, v2, 6, v48
	s_waitcnt vmcnt(0)
	ds_read_b32 v4, v3
	v_ashrrev_i32_e32 v3, 31, v2
	v_lshl_add_u64 v[2:3], v[2:3], 3, v[130:131]
	s_waitcnt lgkmcnt(0)
	v_cvt_f32_f16_sdwa v5, v4 dst_sel:DWORD dst_unused:UNUSED_PAD src0_sel:WORD_1
	v_cvt_f32_f16_e32 v4, v4
	v_pk_add_f32 v[4:5], v[4:5], 0 op_sel_hi:[1,0]
	s_nop 0
	v_div_scale_f32 v7, s[2:3], v6, v6, v5
	v_rcp_f32_e32 v8, v7
	s_nop 0
	v_fma_f32 v9, -v7, v8, 1.0
	v_fmac_f32_e32 v8, v9, v8
	v_div_scale_f32 v9, vcc, v5, v6, v5
	v_mul_f32_e32 v10, v9, v8
	v_fma_f32 v11, -v7, v10, v9
	v_fmac_f32_e32 v10, v11, v8
	v_fma_f32 v7, -v7, v10, v9
	v_div_fmas_f32 v7, v7, v8, v10
	v_div_fixup_f32 v5, v7, v6, v5
	v_div_scale_f32 v7, s[2:3], v6, v6, v4
	v_rcp_f32_e32 v8, v7
	s_nop 0
	v_fma_f32 v9, -v7, v8, 1.0
	v_fmac_f32_e32 v8, v9, v8
	v_div_scale_f32 v9, vcc, v4, v6, v4
	v_mul_f32_e32 v10, v9, v8
	v_fma_f32 v11, -v7, v10, v9
	v_fmac_f32_e32 v10, v11, v8
	v_fma_f32 v7, -v7, v10, v9
	v_div_fmas_f32 v7, v7, v8, v10
	v_div_fixup_f32 v4, v7, v6, v4
	global_store_dwordx2 v[2:3], v[4:5], off
	v_mov_b32_e32 v2, 0
.LBB25_553:                             ;   in Loop: Header=BB25_14 Depth=1
	;; [unrolled: 60-line block ×3, first 2 shown]
	s_or_b64 exec, exec, s[98:99]
	v_cmp_gt_i32_e32 vcc, 50, v2
	s_mov_b64 s[98:99], -1
	s_and_saveexec_b64 s[52:53], vcc
; %bb.559:                              ;   in Loop: Header=BB25_14 Depth=1
	v_cmp_eq_u32_e32 vcc, 0, v2
	s_orn2_b64 s[98:99], vcc, exec
; %bb.560:                              ;   in Loop: Header=BB25_14 Depth=1
	s_or_b64 exec, exec, s[52:53]
	s_mov_b64 s[52:53], s[68:69]
                                        ; implicit-def: $vgpr4_vgpr5
                                        ; implicit-def: $vgpr2
	s_and_saveexec_b64 s[82:83], s[98:99]
	s_cbranch_execz .LBB25_606
; %bb.561:                              ;   in Loop: Header=BB25_14 Depth=1
	v_mov_b32_e32 v2, 50
	s_and_saveexec_b64 s[98:99], s[80:81]
	s_cbranch_execz .LBB25_563
; %bb.562:                              ;   in Loop: Header=BB25_14 Depth=1
	scratch_load_dword v2, off, off offset:40 ; 4-byte Folded Reload
	s_waitcnt vmcnt(0)
	ds_read_b32 v6, v2 offset:260
	v_mad_u64_u32 v[2:3], s[2:3], v221, s25, v[46:47]
	scratch_load_dword v3, off, off offset:44 ; 4-byte Folded Reload
	v_lshl_add_u32 v2, v2, 6, v48
	s_waitcnt vmcnt(0)
	ds_read_b32 v4, v3
	v_ashrrev_i32_e32 v3, 31, v2
	v_lshl_add_u64 v[2:3], v[2:3], 3, v[130:131]
	s_waitcnt lgkmcnt(0)
	v_cvt_f32_f16_sdwa v5, v4 dst_sel:DWORD dst_unused:UNUSED_PAD src0_sel:WORD_1
	v_cvt_f32_f16_e32 v4, v4
	v_pk_add_f32 v[4:5], v[4:5], 0 op_sel_hi:[1,0]
	s_nop 0
	v_div_scale_f32 v7, s[2:3], v6, v6, v5
	v_rcp_f32_e32 v8, v7
	s_nop 0
	v_fma_f32 v9, -v7, v8, 1.0
	v_fmac_f32_e32 v8, v9, v8
	v_div_scale_f32 v9, vcc, v5, v6, v5
	v_mul_f32_e32 v10, v9, v8
	v_fma_f32 v11, -v7, v10, v9
	v_fmac_f32_e32 v10, v11, v8
	v_fma_f32 v7, -v7, v10, v9
	v_div_fmas_f32 v7, v7, v8, v10
	v_div_fixup_f32 v5, v7, v6, v5
	v_div_scale_f32 v7, s[2:3], v6, v6, v4
	v_rcp_f32_e32 v8, v7
	s_nop 0
	v_fma_f32 v9, -v7, v8, 1.0
	v_fmac_f32_e32 v8, v9, v8
	v_div_scale_f32 v9, vcc, v4, v6, v4
	v_mul_f32_e32 v10, v9, v8
	v_fma_f32 v11, -v7, v10, v9
	v_fmac_f32_e32 v10, v11, v8
	v_fma_f32 v7, -v7, v10, v9
	v_div_fmas_f32 v7, v7, v8, v10
	v_div_fixup_f32 v4, v7, v6, v4
	global_store_dwordx2 v[2:3], v[4:5], off
	v_mov_b32_e32 v2, 0
.LBB25_563:                             ;   in Loop: Header=BB25_14 Depth=1
	s_or_b64 exec, exec, s[98:99]
	v_cmp_gt_i32_e32 vcc, 50, v2
	s_mov_b64 s[98:99], -1
	s_and_saveexec_b64 s[52:53], vcc
; %bb.564:                              ;   in Loop: Header=BB25_14 Depth=1
	v_cmp_eq_u32_e32 vcc, 0, v2
	s_orn2_b64 s[98:99], vcc, exec
; %bb.565:                              ;   in Loop: Header=BB25_14 Depth=1
	s_or_b64 exec, exec, s[52:53]
	s_mov_b64 s[52:53], s[68:69]
                                        ; implicit-def: $vgpr4_vgpr5
                                        ; implicit-def: $vgpr2
	s_and_saveexec_b64 s[80:81], s[98:99]
	s_cbranch_execz .LBB25_605
; %bb.566:                              ;   in Loop: Header=BB25_14 Depth=1
	v_mov_b32_e32 v2, 50
	s_and_saveexec_b64 s[98:99], s[78:79]
	s_cbranch_execz .LBB25_568
; %bb.567:                              ;   in Loop: Header=BB25_14 Depth=1
	v_add_u32_e32 v2, 0x2640, v194
	ds_read_b32 v6, v2 offset:260
	v_mad_u64_u32 v[2:3], s[2:3], v254, s25, v[96:97]
	scratch_load_dword v3, off, off offset:48 ; 4-byte Folded Reload
	v_lshl_add_u32 v2, v2, 6, v48
	s_waitcnt vmcnt(0)
	ds_read_b32 v4, v3
	v_ashrrev_i32_e32 v3, 31, v2
	v_lshl_add_u64 v[2:3], v[2:3], 3, v[130:131]
	s_waitcnt lgkmcnt(0)
	v_cvt_f32_f16_sdwa v5, v4 dst_sel:DWORD dst_unused:UNUSED_PAD src0_sel:WORD_1
	v_cvt_f32_f16_e32 v4, v4
	v_pk_add_f32 v[4:5], v[4:5], 0 op_sel_hi:[1,0]
	s_nop 0
	v_div_scale_f32 v7, s[2:3], v6, v6, v5
	v_rcp_f32_e32 v8, v7
	s_nop 0
	v_fma_f32 v9, -v7, v8, 1.0
	v_fmac_f32_e32 v8, v9, v8
	v_div_scale_f32 v9, vcc, v5, v6, v5
	v_mul_f32_e32 v10, v9, v8
	v_fma_f32 v11, -v7, v10, v9
	v_fmac_f32_e32 v10, v11, v8
	v_fma_f32 v7, -v7, v10, v9
	v_div_fmas_f32 v7, v7, v8, v10
	v_div_fixup_f32 v5, v7, v6, v5
	v_div_scale_f32 v7, s[2:3], v6, v6, v4
	v_rcp_f32_e32 v8, v7
	s_nop 0
	v_fma_f32 v9, -v7, v8, 1.0
	v_fmac_f32_e32 v8, v9, v8
	v_div_scale_f32 v9, vcc, v4, v6, v4
	v_mul_f32_e32 v10, v9, v8
	v_fma_f32 v11, -v7, v10, v9
	v_fmac_f32_e32 v10, v11, v8
	v_fma_f32 v7, -v7, v10, v9
	v_div_fmas_f32 v7, v7, v8, v10
	v_div_fixup_f32 v4, v7, v6, v4
	global_store_dwordx2 v[2:3], v[4:5], off
	v_mov_b32_e32 v2, 0
.LBB25_568:                             ;   in Loop: Header=BB25_14 Depth=1
	s_or_b64 exec, exec, s[98:99]
	v_cmp_gt_i32_e32 vcc, 50, v2
	s_mov_b64 s[98:99], -1
	s_and_saveexec_b64 s[52:53], vcc
; %bb.569:                              ;   in Loop: Header=BB25_14 Depth=1
	v_cmp_eq_u32_e32 vcc, 0, v2
	s_orn2_b64 s[98:99], vcc, exec
; %bb.570:                              ;   in Loop: Header=BB25_14 Depth=1
	s_or_b64 exec, exec, s[52:53]
	s_mov_b64 s[52:53], s[68:69]
                                        ; implicit-def: $vgpr4_vgpr5
                                        ; implicit-def: $vgpr2
	s_and_saveexec_b64 s[78:79], s[98:99]
	s_cbranch_execz .LBB25_604
; %bb.571:                              ;   in Loop: Header=BB25_14 Depth=1
	v_mov_b32_e32 v2, 50
	s_and_saveexec_b64 s[98:99], s[76:77]
	s_cbranch_execz .LBB25_573
; %bb.572:                              ;   in Loop: Header=BB25_14 Depth=1
	v_add_u32_e32 v2, 0x2a80, v194
	ds_read_b32 v6, v2 offset:260
	v_mad_u64_u32 v[2:3], s[2:3], v111, s25, v[46:47]
	scratch_load_dword v3, off, off offset:52 ; 4-byte Folded Reload
	v_lshl_add_u32 v2, v2, 6, v48
	s_waitcnt vmcnt(0)
	ds_read_b32 v4, v3
	v_ashrrev_i32_e32 v3, 31, v2
	v_lshl_add_u64 v[2:3], v[2:3], 3, v[130:131]
	s_waitcnt lgkmcnt(0)
	v_cvt_f32_f16_sdwa v5, v4 dst_sel:DWORD dst_unused:UNUSED_PAD src0_sel:WORD_1
	v_cvt_f32_f16_e32 v4, v4
	v_pk_add_f32 v[4:5], v[4:5], 0 op_sel_hi:[1,0]
	s_nop 0
	v_div_scale_f32 v7, s[2:3], v6, v6, v5
	v_rcp_f32_e32 v8, v7
	s_nop 0
	v_fma_f32 v9, -v7, v8, 1.0
	v_fmac_f32_e32 v8, v9, v8
	v_div_scale_f32 v9, vcc, v5, v6, v5
	v_mul_f32_e32 v10, v9, v8
	v_fma_f32 v11, -v7, v10, v9
	v_fmac_f32_e32 v10, v11, v8
	v_fma_f32 v7, -v7, v10, v9
	v_div_fmas_f32 v7, v7, v8, v10
	v_div_fixup_f32 v5, v7, v6, v5
	v_div_scale_f32 v7, s[2:3], v6, v6, v4
	v_rcp_f32_e32 v8, v7
	s_nop 0
	v_fma_f32 v9, -v7, v8, 1.0
	v_fmac_f32_e32 v8, v9, v8
	v_div_scale_f32 v9, vcc, v4, v6, v4
	v_mul_f32_e32 v10, v9, v8
	v_fma_f32 v11, -v7, v10, v9
	v_fmac_f32_e32 v10, v11, v8
	v_fma_f32 v7, -v7, v10, v9
	v_div_fmas_f32 v7, v7, v8, v10
	v_div_fixup_f32 v4, v7, v6, v4
	global_store_dwordx2 v[2:3], v[4:5], off
	v_mov_b32_e32 v2, 0
.LBB25_573:                             ;   in Loop: Header=BB25_14 Depth=1
	;; [unrolled: 60-line block ×3, first 2 shown]
	s_or_b64 exec, exec, s[98:99]
	v_cmp_gt_i32_e32 vcc, 50, v2
	s_mov_b64 s[98:99], -1
	s_and_saveexec_b64 s[52:53], vcc
; %bb.579:                              ;   in Loop: Header=BB25_14 Depth=1
	v_cmp_eq_u32_e32 vcc, 0, v2
	s_orn2_b64 s[98:99], vcc, exec
; %bb.580:                              ;   in Loop: Header=BB25_14 Depth=1
	s_or_b64 exec, exec, s[52:53]
	s_mov_b64 s[52:53], s[68:69]
                                        ; implicit-def: $vgpr4_vgpr5
                                        ; implicit-def: $vgpr2
	s_and_saveexec_b64 s[74:75], s[98:99]
	s_cbranch_execz .LBB25_602
; %bb.581:                              ;   in Loop: Header=BB25_14 Depth=1
	v_mov_b32_e32 v2, 50
	s_and_saveexec_b64 s[98:99], s[72:73]
	s_cbranch_execz .LBB25_583
; %bb.582:                              ;   in Loop: Header=BB25_14 Depth=1
	scratch_load_dword v2, off, off offset:64 ; 4-byte Folded Reload
	s_waitcnt vmcnt(0)
	ds_read_b32 v6, v2 offset:260
	v_mad_u64_u32 v[2:3], s[2:3], v103, s25, v[46:47]
	scratch_load_dword v3, off, off offset:68 ; 4-byte Folded Reload
	v_lshl_add_u32 v2, v2, 6, v48
	s_waitcnt vmcnt(0)
	ds_read_b32 v4, v3
	v_ashrrev_i32_e32 v3, 31, v2
	v_lshl_add_u64 v[2:3], v[2:3], 3, v[130:131]
	s_waitcnt lgkmcnt(0)
	v_cvt_f32_f16_sdwa v5, v4 dst_sel:DWORD dst_unused:UNUSED_PAD src0_sel:WORD_1
	v_cvt_f32_f16_e32 v4, v4
	v_pk_add_f32 v[4:5], v[4:5], 0 op_sel_hi:[1,0]
	s_nop 0
	v_div_scale_f32 v7, s[2:3], v6, v6, v5
	v_rcp_f32_e32 v8, v7
	s_nop 0
	v_fma_f32 v9, -v7, v8, 1.0
	v_fmac_f32_e32 v8, v9, v8
	v_div_scale_f32 v9, vcc, v5, v6, v5
	v_mul_f32_e32 v10, v9, v8
	v_fma_f32 v11, -v7, v10, v9
	v_fmac_f32_e32 v10, v11, v8
	v_fma_f32 v7, -v7, v10, v9
	v_div_fmas_f32 v7, v7, v8, v10
	v_div_fixup_f32 v5, v7, v6, v5
	v_div_scale_f32 v7, s[2:3], v6, v6, v4
	v_rcp_f32_e32 v8, v7
	s_nop 0
	v_fma_f32 v9, -v7, v8, 1.0
	v_fmac_f32_e32 v8, v9, v8
	v_div_scale_f32 v9, vcc, v4, v6, v4
	v_mul_f32_e32 v10, v9, v8
	v_fma_f32 v11, -v7, v10, v9
	v_fmac_f32_e32 v10, v11, v8
	v_fma_f32 v7, -v7, v10, v9
	v_div_fmas_f32 v7, v7, v8, v10
	v_div_fixup_f32 v4, v7, v6, v4
	global_store_dwordx2 v[2:3], v[4:5], off
	v_mov_b32_e32 v2, 0
.LBB25_583:                             ;   in Loop: Header=BB25_14 Depth=1
	s_or_b64 exec, exec, s[98:99]
	v_cmp_gt_i32_e32 vcc, 50, v2
	s_mov_b64 s[98:99], -1
	s_and_saveexec_b64 s[52:53], vcc
; %bb.584:                              ;   in Loop: Header=BB25_14 Depth=1
	v_cmp_eq_u32_e32 vcc, 0, v2
	s_orn2_b64 s[98:99], vcc, exec
; %bb.585:                              ;   in Loop: Header=BB25_14 Depth=1
	s_or_b64 exec, exec, s[52:53]
	s_mov_b64 s[52:53], s[68:69]
                                        ; implicit-def: $vgpr4_vgpr5
                                        ; implicit-def: $vgpr2
	s_and_saveexec_b64 s[72:73], s[98:99]
	s_cbranch_execz .LBB25_601
; %bb.586:                              ;   in Loop: Header=BB25_14 Depth=1
	v_mov_b32_e32 v2, 50
	s_and_saveexec_b64 s[98:99], s[70:71]
	s_cbranch_execz .LBB25_588
; %bb.587:                              ;   in Loop: Header=BB25_14 Depth=1
	v_add_u32_e32 v2, 0x3740, v194
	ds_read_b32 v6, v2 offset:260
	v_mad_u64_u32 v[2:3], s[2:3], v99, s25, v[104:105]
	scratch_load_dword v3, off, off offset:72 ; 4-byte Folded Reload
	v_lshl_add_u32 v2, v2, 6, v48
	s_waitcnt vmcnt(0)
	ds_read_b32 v4, v3
	v_ashrrev_i32_e32 v3, 31, v2
	v_lshl_add_u64 v[2:3], v[2:3], 3, v[130:131]
	s_waitcnt lgkmcnt(0)
	v_cvt_f32_f16_sdwa v5, v4 dst_sel:DWORD dst_unused:UNUSED_PAD src0_sel:WORD_1
	v_cvt_f32_f16_e32 v4, v4
	v_pk_add_f32 v[4:5], v[4:5], 0 op_sel_hi:[1,0]
	s_nop 0
	v_div_scale_f32 v7, s[2:3], v6, v6, v5
	v_rcp_f32_e32 v8, v7
	s_nop 0
	v_fma_f32 v9, -v7, v8, 1.0
	v_fmac_f32_e32 v8, v9, v8
	v_div_scale_f32 v9, vcc, v5, v6, v5
	v_mul_f32_e32 v10, v9, v8
	v_fma_f32 v11, -v7, v10, v9
	v_fmac_f32_e32 v10, v11, v8
	v_fma_f32 v7, -v7, v10, v9
	v_div_fmas_f32 v7, v7, v8, v10
	v_div_fixup_f32 v5, v7, v6, v5
	v_div_scale_f32 v7, s[2:3], v6, v6, v4
	v_rcp_f32_e32 v8, v7
	s_nop 0
	v_fma_f32 v9, -v7, v8, 1.0
	v_fmac_f32_e32 v8, v9, v8
	v_div_scale_f32 v9, vcc, v4, v6, v4
	v_mul_f32_e32 v10, v9, v8
	v_fma_f32 v11, -v7, v10, v9
	v_fmac_f32_e32 v10, v11, v8
	v_fma_f32 v7, -v7, v10, v9
	v_div_fmas_f32 v7, v7, v8, v10
	v_div_fixup_f32 v4, v7, v6, v4
	global_store_dwordx2 v[2:3], v[4:5], off
	v_mov_b32_e32 v2, 0
.LBB25_588:                             ;   in Loop: Header=BB25_14 Depth=1
	s_or_b64 exec, exec, s[98:99]
	v_cmp_gt_i32_e32 vcc, 50, v2
	s_mov_b64 s[98:99], -1
	s_and_saveexec_b64 s[52:53], vcc
; %bb.589:                              ;   in Loop: Header=BB25_14 Depth=1
	v_cmp_eq_u32_e32 vcc, 0, v2
	s_orn2_b64 s[98:99], vcc, exec
; %bb.590:                              ;   in Loop: Header=BB25_14 Depth=1
	s_or_b64 exec, exec, s[52:53]
	s_mov_b64 s[52:53], s[68:69]
                                        ; implicit-def: $vgpr4_vgpr5
                                        ; implicit-def: $vgpr2
	s_and_saveexec_b64 s[70:71], s[98:99]
	s_cbranch_execz .LBB25_600
; %bb.591:                              ;   in Loop: Header=BB25_14 Depth=1
	v_mov_b32_e32 v2, 50
	s_and_saveexec_b64 s[98:99], s[6:7]
	s_cbranch_execz .LBB25_593
; %bb.592:                              ;   in Loop: Header=BB25_14 Depth=1
	v_add_u32_e32 v2, 0x3b80, v194
	ds_read_b32 v6, v2 offset:260
	v_mad_u64_u32 v[2:3], s[2:3], v87, s25, v[46:47]
	scratch_load_dword v3, off, off offset:76 ; 4-byte Folded Reload
	v_lshl_add_u32 v2, v2, 6, v48
	s_waitcnt vmcnt(0)
	ds_read_b32 v4, v3
	v_ashrrev_i32_e32 v3, 31, v2
	v_lshl_add_u64 v[2:3], v[2:3], 3, v[130:131]
	s_waitcnt lgkmcnt(0)
	v_cvt_f32_f16_sdwa v5, v4 dst_sel:DWORD dst_unused:UNUSED_PAD src0_sel:WORD_1
	v_cvt_f32_f16_e32 v4, v4
	v_pk_add_f32 v[4:5], v[4:5], 0 op_sel_hi:[1,0]
	s_nop 0
	v_div_scale_f32 v7, s[2:3], v6, v6, v5
	v_rcp_f32_e32 v8, v7
	s_nop 0
	v_fma_f32 v9, -v7, v8, 1.0
	v_fmac_f32_e32 v8, v9, v8
	v_div_scale_f32 v9, vcc, v5, v6, v5
	v_mul_f32_e32 v10, v9, v8
	v_fma_f32 v11, -v7, v10, v9
	v_fmac_f32_e32 v10, v11, v8
	v_fma_f32 v7, -v7, v10, v9
	v_div_fmas_f32 v7, v7, v8, v10
	v_div_fixup_f32 v5, v7, v6, v5
	v_div_scale_f32 v7, s[2:3], v6, v6, v4
	v_rcp_f32_e32 v8, v7
	s_nop 0
	v_fma_f32 v9, -v7, v8, 1.0
	v_fmac_f32_e32 v8, v9, v8
	v_div_scale_f32 v9, vcc, v4, v6, v4
	v_mul_f32_e32 v10, v9, v8
	v_fma_f32 v11, -v7, v10, v9
	v_fmac_f32_e32 v10, v11, v8
	v_fma_f32 v7, -v7, v10, v9
	v_div_fmas_f32 v7, v7, v8, v10
	v_div_fixup_f32 v4, v7, v6, v4
	global_store_dwordx2 v[2:3], v[4:5], off
	v_mov_b32_e32 v2, 0
.LBB25_593:                             ;   in Loop: Header=BB25_14 Depth=1
	s_or_b64 exec, exec, s[98:99]
	v_cmp_gt_i32_e32 vcc, 50, v2
	s_mov_b64 s[98:99], -1
	s_and_saveexec_b64 s[6:7], vcc
; %bb.594:                              ;   in Loop: Header=BB25_14 Depth=1
	v_cmp_eq_u32_e32 vcc, 0, v2
	s_orn2_b64 s[98:99], vcc, exec
; %bb.595:                              ;   in Loop: Header=BB25_14 Depth=1
	s_or_b64 exec, exec, s[6:7]
	s_mov_b64 s[52:53], s[68:69]
                                        ; implicit-def: $vgpr4_vgpr5
                                        ; implicit-def: $vgpr2
	s_and_saveexec_b64 s[6:7], s[98:99]
	s_cbranch_execz .LBB25_599
; %bb.596:                              ;   in Loop: Header=BB25_14 Depth=1
	s_mov_b64 s[52:53], s[68:69]
                                        ; implicit-def: $vgpr4_vgpr5
                                        ; implicit-def: $vgpr2
	s_and_saveexec_b64 s[98:99], s[4:5]
	s_cbranch_execz .LBB25_598
; %bb.597:                              ;   in Loop: Header=BB25_14 Depth=1
	v_add_u32_e32 v2, 0x3fc0, v194
	ds_read_b32 v6, v2 offset:260
	v_mad_u64_u32 v[2:3], s[2:3], v83, s25, v[108:109]
	scratch_load_dword v3, off, off offset:80 ; 4-byte Folded Reload
	s_or_b64 s[52:53], s[68:69], exec
	s_waitcnt vmcnt(0)
	ds_read_b32 v3, v3
	s_waitcnt lgkmcnt(0)
	v_cvt_f32_f16_sdwa v5, v3 dst_sel:DWORD dst_unused:UNUSED_PAD src0_sel:WORD_1
	v_cvt_f32_f16_e32 v4, v3
	v_pk_add_f32 v[4:5], v[4:5], 0 op_sel_hi:[1,0]
	s_nop 0
	v_div_scale_f32 v3, s[2:3], v6, v6, v5
	v_rcp_f32_e32 v7, v3
	s_nop 0
	v_fma_f32 v8, -v3, v7, 1.0
	v_fmac_f32_e32 v7, v8, v7
	v_div_scale_f32 v8, vcc, v5, v6, v5
	v_mul_f32_e32 v9, v8, v7
	v_fma_f32 v10, -v3, v9, v8
	v_fmac_f32_e32 v9, v10, v7
	v_fma_f32 v3, -v3, v9, v8
	v_div_fmas_f32 v3, v3, v7, v9
	v_div_fixup_f32 v5, v3, v6, v5
	v_div_scale_f32 v3, s[2:3], v6, v6, v4
	v_rcp_f32_e32 v7, v3
	s_nop 0
	v_fma_f32 v8, -v3, v7, 1.0
	v_fmac_f32_e32 v7, v8, v7
	v_div_scale_f32 v8, vcc, v4, v6, v4
	v_mul_f32_e32 v9, v8, v7
	v_fma_f32 v10, -v3, v9, v8
	v_fmac_f32_e32 v9, v10, v7
	v_fma_f32 v3, -v3, v9, v8
	v_div_fmas_f32 v3, v3, v7, v9
	v_div_fixup_f32 v4, v3, v6, v4
.LBB25_598:                             ;   in Loop: Header=BB25_14 Depth=1
	s_or_b64 exec, exec, s[98:99]
	s_andn2_b64 s[2:3], s[68:69], exec
	s_and_b64 s[4:5], s[52:53], exec
	s_or_b64 s[52:53], s[2:3], s[4:5]
.LBB25_599:                             ;   in Loop: Header=BB25_14 Depth=1
	s_or_b64 exec, exec, s[6:7]
	s_andn2_b64 s[2:3], s[68:69], exec
	s_and_b64 s[4:5], s[52:53], exec
	s_or_b64 s[52:53], s[2:3], s[4:5]
.LBB25_600:                             ;   in Loop: Header=BB25_14 Depth=1
	s_or_b64 exec, exec, s[70:71]
	s_andn2_b64 s[2:3], s[68:69], exec
	s_and_b64 s[4:5], s[52:53], exec
	s_or_b64 s[52:53], s[2:3], s[4:5]
.LBB25_601:                             ;   in Loop: Header=BB25_14 Depth=1
	s_or_b64 exec, exec, s[72:73]
	s_andn2_b64 s[2:3], s[68:69], exec
	s_and_b64 s[4:5], s[52:53], exec
	s_or_b64 s[52:53], s[2:3], s[4:5]
.LBB25_602:                             ;   in Loop: Header=BB25_14 Depth=1
	s_or_b64 exec, exec, s[74:75]
	s_andn2_b64 s[2:3], s[68:69], exec
	s_and_b64 s[4:5], s[52:53], exec
	s_or_b64 s[52:53], s[2:3], s[4:5]
.LBB25_603:                             ;   in Loop: Header=BB25_14 Depth=1
	s_or_b64 exec, exec, s[76:77]
	s_andn2_b64 s[2:3], s[68:69], exec
	s_and_b64 s[4:5], s[52:53], exec
	s_or_b64 s[52:53], s[2:3], s[4:5]
.LBB25_604:                             ;   in Loop: Header=BB25_14 Depth=1
	s_or_b64 exec, exec, s[78:79]
	s_andn2_b64 s[2:3], s[68:69], exec
	s_and_b64 s[4:5], s[52:53], exec
	s_or_b64 s[52:53], s[2:3], s[4:5]
.LBB25_605:                             ;   in Loop: Header=BB25_14 Depth=1
	s_or_b64 exec, exec, s[80:81]
	s_andn2_b64 s[2:3], s[68:69], exec
	s_and_b64 s[4:5], s[52:53], exec
	s_or_b64 s[52:53], s[2:3], s[4:5]
.LBB25_606:                             ;   in Loop: Header=BB25_14 Depth=1
	s_or_b64 exec, exec, s[82:83]
	s_andn2_b64 s[2:3], s[68:69], exec
	s_and_b64 s[4:5], s[52:53], exec
	s_or_b64 s[52:53], s[2:3], s[4:5]
.LBB25_607:                             ;   in Loop: Header=BB25_14 Depth=1
	s_or_b64 exec, exec, s[84:85]
	s_andn2_b64 s[2:3], s[68:69], exec
	s_and_b64 s[4:5], s[52:53], exec
	s_or_b64 s[52:53], s[2:3], s[4:5]
.LBB25_608:                             ;   in Loop: Header=BB25_14 Depth=1
	s_or_b64 exec, exec, s[86:87]
	s_andn2_b64 s[2:3], s[68:69], exec
	s_and_b64 s[4:5], s[52:53], exec
	s_or_b64 s[52:53], s[2:3], s[4:5]
.LBB25_609:                             ;   in Loop: Header=BB25_14 Depth=1
	s_or_b64 exec, exec, s[88:89]
	s_andn2_b64 s[2:3], s[68:69], exec
	s_and_b64 s[4:5], s[52:53], exec
	s_or_b64 s[52:53], s[2:3], s[4:5]
.LBB25_610:                             ;   in Loop: Header=BB25_14 Depth=1
	s_or_b64 exec, exec, s[90:91]
	s_andn2_b64 s[2:3], s[68:69], exec
	s_and_b64 s[4:5], s[52:53], exec
	s_or_b64 s[52:53], s[2:3], s[4:5]
.LBB25_611:                             ;   in Loop: Header=BB25_14 Depth=1
	s_or_b64 exec, exec, s[92:93]
	s_andn2_b64 s[2:3], s[68:69], exec
	s_and_b64 s[4:5], s[52:53], exec
	s_or_b64 s[52:53], s[2:3], s[4:5]
.LBB25_612:                             ;   in Loop: Header=BB25_14 Depth=1
	s_or_b64 exec, exec, s[94:95]
	s_andn2_b64 s[2:3], s[68:69], exec
	s_and_b64 s[4:5], s[52:53], exec
	s_or_b64 s[68:69], s[2:3], s[4:5]
.LBB25_613:                             ;   in Loop: Header=BB25_14 Depth=1
	s_or_b64 exec, exec, s[96:97]
.LBB25_614:                             ;   in Loop: Header=BB25_14 Depth=1
	s_and_saveexec_b64 s[4:5], s[68:69]
	s_cbranch_execz .LBB25_13
; %bb.615:                              ;   in Loop: Header=BB25_14 Depth=1
	v_lshl_add_u32 v2, v2, 6, v48
	v_ashrrev_i32_e32 v3, 31, v2
	v_lshl_add_u64 v[2:3], v[2:3], 3, v[130:131]
	global_store_dwordx2 v[2:3], v[4:5], off
	s_branch .LBB25_13
.LBB25_616:
	scratch_load_dword v4, off, off offset:4 ; 4-byte Folded Reload
	s_andn2_b64 vcc, exec, s[4:5]
	s_cbranch_vccnz .LBB25_11
.LBB25_617:
	v_readlane_b32 s7, v255, 3
	s_abs_i32 s0, s7
	v_cvt_f32_u32_e32 v2, s0
	s_sub_i32 s4, 0, s0
	s_abs_i32 s2, s50
	s_xor_b32 s1, s50, s7
	v_rcp_iflag_f32_e32 v2, v2
	s_ashr_i32 s1, s1, 31
	v_readlane_b32 s17, v255, 2
	v_readlane_b32 s20, v255, 1
	v_mul_f32_e32 v2, 0x4f7ffffe, v2
	v_cvt_u32_f32_e32 v2, v2
	v_mov_b32_e32 v16, s3
	v_readfirstlane_b32 s5, v2
	s_mul_i32 s4, s4, s5
	s_mul_hi_u32 s4, s5, s4
	s_add_i32 s5, s5, s4
	s_mul_hi_u32 s4, s2, s5
	s_mul_i32 s5, s4, s0
	s_sub_i32 s2, s2, s5
	s_add_i32 s6, s4, 1
	s_sub_i32 s5, s2, s0
	s_cmp_ge_u32 s2, s0
	s_cselect_b32 s4, s6, s4
	s_cselect_b32 s2, s5, s2
	s_add_i32 s5, s4, 1
	s_cmp_ge_u32 s2, s0
	s_cselect_b32 s0, s5, s4
	s_abs_i32 s4, s17
	v_cvt_f32_u32_e32 v2, s4
	s_xor_b32 s0, s0, s1
	s_sub_i32 s2, s0, s1
	s_sub_i32 s5, 0, s4
	v_rcp_iflag_f32_e32 v2, v2
	s_mul_i32 s0, s2, s7
	s_sub_i32 s0, s50, s0
	s_abs_i32 s6, s0
	v_mul_f32_e32 v2, 0x4f7ffffe, v2
	v_cvt_u32_f32_e32 v2, v2
	s_xor_b32 s1, s0, s17
	s_ashr_i32 s1, s1, 31
	v_readfirstlane_b32 s7, v2
	s_mul_i32 s5, s5, s7
	s_mul_hi_u32 s5, s7, s5
	s_add_i32 s7, s7, s5
	s_mul_hi_u32 s5, s6, s7
	s_mul_i32 s7, s5, s4
	s_sub_i32 s6, s6, s7
	s_add_i32 s16, s5, 1
	s_sub_i32 s7, s6, s4
	s_cmp_ge_u32 s6, s4
	s_cselect_b32 s5, s16, s5
	s_cselect_b32 s6, s7, s6
	s_add_i32 s7, s5, 1
	s_cmp_ge_u32 s6, s4
	s_cselect_b32 s4, s7, s5
	s_abs_i32 s5, s20
	v_cvt_f32_u32_e32 v2, s5
	s_xor_b32 s4, s4, s1
	s_sub_i32 s6, 0, s5
	s_sub_i32 s16, s4, s1
	v_rcp_iflag_f32_e32 v2, v2
	s_mul_i32 s1, s16, s17
	s_sub_i32 s1, s0, s1
	s_abs_i32 s4, s1
	v_mul_f32_e32 v2, 0x4f7ffffe, v2
	v_cvt_u32_f32_e32 v2, v2
	s_xor_b32 s0, s1, s20
	s_ashr_i32 s0, s0, 31
	v_readfirstlane_b32 s7, v2
	s_mul_i32 s6, s6, s7
	s_mul_hi_u32 s6, s7, s6
	s_add_i32 s7, s7, s6
	s_mul_hi_u32 s6, s4, s7
	s_mul_i32 s7, s6, s5
	s_sub_i32 s4, s4, s7
	s_add_i32 s17, s6, 1
	s_sub_i32 s7, s4, s5
	s_cmp_ge_u32 s4, s5
	s_cselect_b32 s6, s17, s6
	s_cselect_b32 s4, s7, s4
	s_add_i32 s7, s6, 1
	s_cmp_ge_u32 s4, s5
	s_cselect_b32 s4, s7, s6
	s_xor_b32 s4, s4, s0
	s_sub_i32 s0, s4, s0
	s_mul_i32 s4, s0, s20
	s_sub_i32 s1, s1, s4
	s_ashr_i32 s4, s1, 31
	s_abs_i32 s1, s1
	s_mul_hi_u32 s5, s1, s46
	s_mul_i32 s6, s5, s55
	s_sub_i32 s1, s1, s6
	s_xor_b32 s4, s4, s59
	s_add_i32 s6, s5, 1
	s_sub_i32 s7, s1, s55
	s_cmp_ge_u32 s1, s55
	s_cselect_b32 s5, s6, s5
	s_cselect_b32 s1, s7, s1
	s_add_i32 s6, s5, 1
	s_cmp_ge_u32 s1, s55
	s_cselect_b32 s1, s6, s5
	s_abs_i32 s17, s58
	v_cvt_f32_u32_e32 v2, s17
	s_xor_b32 s1, s1, s4
	s_sub_i32 s1, s1, s4
	s_cmp_eq_u64 s[18:19], 0
	v_rcp_iflag_f32_e32 v2, v2
	s_nop 0
	v_mul_f32_e32 v2, 0x4f7ffffe, v2
	v_cvt_u32_f32_e32 v2, v2
	s_nop 0
	v_readfirstlane_b32 s20, v2
	s_cbranch_scc1 .LBB25_619
; %bb.618:
	v_readlane_b32 s4, v255, 0
	s_mul_i32 s4, s2, s4
	s_add_i32 s4, s1, s4
	s_ashr_i32 s5, s4, 31
	s_lshl_b64 s[4:5], s[4:5], 2
	s_add_u32 s4, s18, s4
	s_addc_u32 s5, s19, s5
	v_mov_b32_e32 v2, 0
	global_load_dword v2, v2, s[4:5]
	s_waitcnt vmcnt(0)
	v_ashrrev_i32_e32 v3, 31, v2
	v_lshrrev_b32_e32 v3, 26, v3
	v_add_u32_e32 v2, v2, v3
	v_ashrrev_i32_e32 v2, 6, v2
	v_min_i32_e32 v16, s3, v2
.LBB25_619:
	s_mul_i32 s4, s16, s34
	s_lshl_b32 s3, s0, 3
	s_add_i32 s0, s3, s4
	s_mul_i32 s4, s2, s49
	s_ashr_i32 s5, s4, 31
	s_add_u32 s4, s8, s4
	s_mul_i32 s0, s0, s48
	s_addc_u32 s5, s9, s5
	s_ashr_i32 s7, s0, 31
	s_add_u32 s6, s4, s0
	s_addc_u32 s7, s5, s7
	v_and_b32_e32 v78, 0x3ff, v0
	s_lshl_b32 s8, s1, 3
	v_bfe_u32 v0, v47, 3, 7
	v_add_u32_e32 v2, s8, v0
	v_or_b32_e32 v0, s3, v46
	v_cmp_le_i32_e64 s[0:1], s24, v2
	v_cmp_le_i32_e64 s[4:5], s34, v0
	s_mov_b32 s9, 0x10001
	v_lshl_add_u32 v79, v78, 2, 0
	v_cmp_gt_i32_e32 vcc, s34, v0
	s_or_b64 s[0:1], s[0:1], s[4:5]
	s_and_saveexec_b64 s[4:5], s[0:1]
	s_xor_b64 s[0:1], exec, s[4:5]
; %bb.620:
	s_movk_i32 s4, 0x110
	v_mad_u32_u24 v0, v170, s4, v79
	v_mov_b32_e32 v2, 0
	ds_write_b32 v0, v2
                                        ; implicit-def: $vgpr2
; %bb.621:
	s_or_saveexec_b64 s[0:1], s[0:1]
	s_waitcnt vmcnt(0)
	v_mul_lo_u32 v0, v4, s9
	v_readlane_b32 s25, v255, 10
	s_xor_b64 exec, exec, s[0:1]
	s_cbranch_execz .LBB25_623
; %bb.622:
	v_mul_lo_u32 v1, v2, s35
	v_mul_lo_u32 v2, v46, s25
	v_add3_u32 v2, v2, v78, v1
	v_ashrrev_i32_e32 v3, 31, v2
	v_lshl_add_u64 v[2:3], v[2:3], 3, s[6:7]
	global_load_dwordx2 v[2:3], v[2:3], off
	s_movk_i32 s4, 0x110
	s_waitcnt vmcnt(0)
	v_cvt_pk_f16_f32 v1, v2, v3
	v_pk_mul_f16 v1, v1, v0
	v_mad_u32_u24 v2, v170, s4, v79
	ds_write_b32 v2, v1
.LBB25_623:
	s_or_b64 exec, exec, s[0:1]
	v_lshrrev_b32_e32 v2, 3, v192
	v_and_b32_e32 v1, 7, v192
	v_add_u32_e32 v2, s8, v2
	v_or_b32_e32 v3, s3, v1
	v_cmp_le_i32_e64 s[0:1], s24, v2
	v_cmp_le_i32_e64 s[4:5], s34, v3
	s_or_b64 s[0:1], s[0:1], s[4:5]
	s_and_saveexec_b64 s[4:5], s[0:1]
	s_xor_b64 s[0:1], exec, s[4:5]
; %bb.624:
	s_movk_i32 s4, 0x110
	v_mad_u32_u24 v1, v192, s4, v79
	v_mov_b32_e32 v2, 0
	ds_write_b32 v1, v2
                                        ; implicit-def: $vgpr2
                                        ; implicit-def: $vgpr1
; %bb.625:
	s_andn2_saveexec_b64 s[0:1], s[0:1]
	s_cbranch_execz .LBB25_627
; %bb.626:
	v_mul_lo_u32 v2, v2, s35
	v_mul_lo_u32 v1, v1, s25
	v_add3_u32 v2, v1, v78, v2
	v_ashrrev_i32_e32 v3, 31, v2
	v_lshl_add_u64 v[2:3], v[2:3], 3, s[6:7]
	global_load_dwordx2 v[2:3], v[2:3], off
	s_movk_i32 s4, 0x110
	s_waitcnt vmcnt(0)
	v_cvt_pk_f16_f32 v1, v2, v3
	v_pk_mul_f16 v1, v1, v0
	v_mad_u32_u24 v2, v192, s4, v79
	ds_write_b32 v2, v1
.LBB25_627:
	s_or_b64 exec, exec, s[0:1]
	v_lshrrev_b32_e32 v1, 3, v191
	v_add_u32_e32 v1, s8, v1
	v_cmp_le_i32_e64 s[0:1], s24, v1
	s_xor_b64 s[4:5], vcc, -1
	s_or_b64 s[0:1], s[0:1], s[4:5]
	s_and_saveexec_b64 s[18:19], s[0:1]
	s_xor_b64 s[0:1], exec, s[18:19]
; %bb.628:
	s_movk_i32 s9, 0x110
	v_mad_u32_u24 v1, v191, s9, v79
	v_mov_b32_e32 v2, 0
	ds_write_b32 v1, v2
                                        ; implicit-def: $vgpr1
; %bb.629:
	s_andn2_saveexec_b64 s[0:1], s[0:1]
	s_cbranch_execz .LBB25_631
; %bb.630:
	v_mul_lo_u32 v1, v1, s35
	v_mul_lo_u32 v2, v46, s25
	v_add3_u32 v2, v2, v78, v1
	v_ashrrev_i32_e32 v3, 31, v2
	v_lshl_add_u64 v[2:3], v[2:3], 3, s[6:7]
	global_load_dwordx2 v[2:3], v[2:3], off
	s_movk_i32 s9, 0x110
	s_waitcnt vmcnt(0)
	v_cvt_pk_f16_f32 v1, v2, v3
	v_pk_mul_f16 v1, v1, v0
	v_mad_u32_u24 v2, v191, s9, v79
	ds_write_b32 v2, v1
.LBB25_631:
	s_or_b64 exec, exec, s[0:1]
	v_lshrrev_b32_e32 v2, 3, v190
	v_and_b32_e32 v1, 7, v190
	v_add_u32_e32 v2, s8, v2
	v_or_b32_e32 v3, s3, v1
	v_cmp_le_i32_e32 vcc, s24, v2
	v_cmp_le_i32_e64 s[0:1], s34, v3
	s_or_b64 s[0:1], vcc, s[0:1]
	s_and_saveexec_b64 s[18:19], s[0:1]
	s_xor_b64 s[0:1], exec, s[18:19]
; %bb.632:
	s_movk_i32 s9, 0x110
	v_mad_u32_u24 v1, v190, s9, v79
	v_mov_b32_e32 v2, 0
	ds_write_b32 v1, v2
                                        ; implicit-def: $vgpr2
                                        ; implicit-def: $vgpr1
; %bb.633:
	s_andn2_saveexec_b64 s[0:1], s[0:1]
	s_cbranch_execz .LBB25_635
; %bb.634:
	v_mul_lo_u32 v2, v2, s35
	v_mul_lo_u32 v1, v1, s25
	v_add3_u32 v2, v1, v78, v2
	v_ashrrev_i32_e32 v3, 31, v2
	v_lshl_add_u64 v[2:3], v[2:3], 3, s[6:7]
	global_load_dwordx2 v[2:3], v[2:3], off
	s_movk_i32 s9, 0x110
	s_waitcnt vmcnt(0)
	v_cvt_pk_f16_f32 v1, v2, v3
	v_pk_mul_f16 v1, v1, v0
	v_mad_u32_u24 v2, v190, s9, v79
	ds_write_b32 v2, v1
.LBB25_635:
	s_or_b64 exec, exec, s[0:1]
	v_lshrrev_b32_e32 v1, 3, v169
	v_add_u32_e32 v1, s8, v1
	v_cmp_le_i32_e32 vcc, s24, v1
	s_or_b64 s[0:1], vcc, s[4:5]
	s_and_saveexec_b64 s[18:19], s[0:1]
	s_xor_b64 s[0:1], exec, s[18:19]
; %bb.636:
	s_movk_i32 s9, 0x110
	v_mad_u32_u24 v1, v169, s9, v79
	v_mov_b32_e32 v2, 0
	ds_write_b32 v1, v2
                                        ; implicit-def: $vgpr1
; %bb.637:
	s_andn2_saveexec_b64 s[0:1], s[0:1]
	s_cbranch_execz .LBB25_639
; %bb.638:
	v_mul_lo_u32 v1, v1, s35
	v_mul_lo_u32 v2, v46, s25
	v_add3_u32 v2, v2, v78, v1
	v_ashrrev_i32_e32 v3, 31, v2
	v_lshl_add_u64 v[2:3], v[2:3], 3, s[6:7]
	global_load_dwordx2 v[2:3], v[2:3], off
	s_movk_i32 s9, 0x110
	s_waitcnt vmcnt(0)
	v_cvt_pk_f16_f32 v1, v2, v3
	v_pk_mul_f16 v1, v1, v0
	v_mad_u32_u24 v2, v169, s9, v79
	ds_write_b32 v2, v1
.LBB25_639:
	s_or_b64 exec, exec, s[0:1]
	v_lshrrev_b32_e32 v2, 3, v168
	v_and_b32_e32 v1, 7, v168
	v_add_u32_e32 v2, s8, v2
	v_or_b32_e32 v3, s3, v1
	v_cmp_le_i32_e32 vcc, s24, v2
	v_cmp_le_i32_e64 s[0:1], s34, v3
	s_or_b64 s[0:1], vcc, s[0:1]
	s_and_saveexec_b64 s[18:19], s[0:1]
	s_xor_b64 s[0:1], exec, s[18:19]
; %bb.640:
	s_movk_i32 s9, 0x110
	v_mad_u32_u24 v1, v168, s9, v79
	v_mov_b32_e32 v2, 0
	ds_write_b32 v1, v2
                                        ; implicit-def: $vgpr2
                                        ; implicit-def: $vgpr1
; %bb.641:
	s_andn2_saveexec_b64 s[0:1], s[0:1]
	s_cbranch_execz .LBB25_643
; %bb.642:
	v_mul_lo_u32 v2, v2, s35
	v_mul_lo_u32 v1, v1, s25
	v_add3_u32 v2, v1, v78, v2
	v_ashrrev_i32_e32 v3, 31, v2
	v_lshl_add_u64 v[2:3], v[2:3], 3, s[6:7]
	global_load_dwordx2 v[2:3], v[2:3], off
	s_movk_i32 s9, 0x110
	s_waitcnt vmcnt(0)
	v_cvt_pk_f16_f32 v1, v2, v3
	v_pk_mul_f16 v1, v1, v0
	v_mad_u32_u24 v2, v168, s9, v79
	ds_write_b32 v2, v1
.LBB25_643:
	s_or_b64 exec, exec, s[0:1]
	v_lshrrev_b32_e32 v1, 3, v167
	v_add_u32_e32 v1, s8, v1
	v_cmp_le_i32_e32 vcc, s24, v1
	s_or_b64 s[0:1], vcc, s[4:5]
	;; [unrolled: 64-line block ×5, first 2 shown]
	s_and_saveexec_b64 s[18:19], s[0:1]
	s_xor_b64 s[0:1], exec, s[18:19]
; %bb.668:
	s_movk_i32 s9, 0x110
	v_mad_u32_u24 v1, v93, s9, v79
	v_mov_b32_e32 v2, 0
	ds_write_b32 v1, v2
                                        ; implicit-def: $vgpr1
; %bb.669:
	s_andn2_saveexec_b64 s[0:1], s[0:1]
	s_cbranch_execz .LBB25_671
; %bb.670:
	v_mul_lo_u32 v1, v1, s35
	v_mul_lo_u32 v2, v46, s25
	v_add3_u32 v2, v2, v78, v1
	v_ashrrev_i32_e32 v3, 31, v2
	v_lshl_add_u64 v[2:3], v[2:3], 3, s[6:7]
	global_load_dwordx2 v[2:3], v[2:3], off
	s_movk_i32 s9, 0x110
	s_waitcnt vmcnt(0)
	v_cvt_pk_f16_f32 v1, v2, v3
	v_pk_mul_f16 v1, v1, v0
	v_mad_u32_u24 v2, v93, s9, v79
	ds_write_b32 v2, v1
.LBB25_671:
	s_or_b64 exec, exec, s[0:1]
	v_lshrrev_b32_e32 v2, 3, v89
	v_and_b32_e32 v1, 7, v89
	v_add_u32_e32 v2, s8, v2
	v_or_b32_e32 v3, s3, v1
	v_cmp_le_i32_e32 vcc, s24, v2
	v_cmp_le_i32_e64 s[0:1], s34, v3
	s_sub_i32 s9, 0, s17
	s_or_b64 s[0:1], vcc, s[0:1]
	s_and_saveexec_b64 s[18:19], s[0:1]
	s_xor_b64 s[0:1], exec, s[18:19]
; %bb.672:
	s_movk_i32 s18, 0x110
	v_mad_u32_u24 v1, v89, s18, v79
	v_mov_b32_e32 v2, 0
	ds_write_b32 v1, v2
                                        ; implicit-def: $vgpr2
                                        ; implicit-def: $vgpr1
; %bb.673:
	s_or_saveexec_b64 s[0:1], s[0:1]
	s_mul_i32 s9, s9, s20
	s_xor_b64 exec, exec, s[0:1]
	s_cbranch_execz .LBB25_675
; %bb.674:
	v_mul_lo_u32 v2, v2, s35
	v_mul_lo_u32 v1, v1, s25
	v_add3_u32 v2, v1, v78, v2
	v_ashrrev_i32_e32 v3, 31, v2
	v_lshl_add_u64 v[2:3], v[2:3], 3, s[6:7]
	global_load_dwordx2 v[2:3], v[2:3], off
	s_movk_i32 s18, 0x110
	s_waitcnt vmcnt(0)
	v_cvt_pk_f16_f32 v1, v2, v3
	v_pk_mul_f16 v1, v1, v0
	v_mad_u32_u24 v2, v89, s18, v79
	ds_write_b32 v2, v1
.LBB25_675:
	s_or_b64 exec, exec, s[0:1]
	v_lshrrev_b32_e32 v1, 3, v85
	v_add_u32_e32 v1, s8, v1
	v_cmp_le_i32_e32 vcc, s24, v1
	s_mul_hi_u32 s18, s20, s9
	s_or_b64 s[0:1], vcc, s[4:5]
	s_and_saveexec_b64 s[4:5], s[0:1]
	s_xor_b64 s[0:1], exec, s[4:5]
; %bb.676:
	s_movk_i32 s4, 0x110
	v_mad_u32_u24 v1, v85, s4, v79
	v_mov_b32_e32 v2, 0
	ds_write_b32 v1, v2
                                        ; implicit-def: $vgpr1
                                        ; implicit-def: $vgpr46
; %bb.677:
	s_or_saveexec_b64 s[0:1], s[0:1]
	s_abs_i32 s9, s2
	s_add_i32 s20, s20, s18
	s_xor_b64 exec, exec, s[0:1]
	s_cbranch_execz .LBB25_679
; %bb.678:
	v_mul_lo_u32 v1, v1, s35
	v_mul_lo_u32 v2, v46, s25
	v_add3_u32 v2, v2, v78, v1
	v_ashrrev_i32_e32 v3, 31, v2
	v_lshl_add_u64 v[2:3], v[2:3], 3, s[6:7]
	global_load_dwordx2 v[2:3], v[2:3], off
	s_movk_i32 s4, 0x110
	s_waitcnt vmcnt(0)
	v_cvt_pk_f16_f32 v1, v2, v3
	v_pk_mul_f16 v1, v1, v0
	v_mad_u32_u24 v2, v85, s4, v79
	ds_write_b32 v2, v1
.LBB25_679:
	s_or_b64 exec, exec, s[0:1]
	v_lshrrev_b32_e32 v2, 3, v81
	v_and_b32_e32 v1, 7, v81
	v_add_u32_e32 v2, s8, v2
	v_or_b32_e32 v3, s3, v1
	v_cmp_le_i32_e32 vcc, s24, v2
	v_cmp_le_i32_e64 s[0:1], s34, v3
	s_mul_hi_u32 s18, s9, s20
	s_or_b64 s[0:1], vcc, s[0:1]
	s_and_saveexec_b64 s[4:5], s[0:1]
	s_xor_b64 s[0:1], exec, s[4:5]
; %bb.680:
	s_movk_i32 s3, 0x110
	v_mad_u32_u24 v0, v81, s3, v79
	v_mov_b32_e32 v1, 0
	ds_write_b32 v0, v1
                                        ; implicit-def: $vgpr2
                                        ; implicit-def: $vgpr1
                                        ; implicit-def: $vgpr0
; %bb.681:
	s_or_saveexec_b64 s[0:1], s[0:1]
	s_ashr_i32 s3, s2, 31
	s_xor_b64 exec, exec, s[0:1]
	s_cbranch_execz .LBB25_683
; %bb.682:
	v_mul_lo_u32 v2, v2, s35
	v_mul_lo_u32 v1, v1, s25
	v_add3_u32 v2, v1, v78, v2
	v_ashrrev_i32_e32 v3, 31, v2
	v_lshl_add_u64 v[2:3], v[2:3], 3, s[6:7]
	global_load_dwordx2 v[2:3], v[2:3], off
	s_movk_i32 s4, 0x110
	s_waitcnt vmcnt(0)
	v_cvt_pk_f16_f32 v1, v2, v3
	v_pk_mul_f16 v0, v1, v0
	v_mad_u32_u24 v1, v81, s4, v79
	ds_write_b32 v1, v0
.LBB25_683:
	s_or_b64 exec, exec, s[0:1]
	s_mul_hi_u32 s0, s28, s2
	s_mul_i32 s1, s28, s3
	s_add_i32 s0, s0, s1
	s_mul_i32 s1, s29, s2
	v_readlane_b32 s4, v255, 8
	s_add_i32 s0, s0, s1
	s_mul_i32 s1, s28, s2
	v_readlane_b32 s5, v255, 9
	s_add_u32 s1, s10, s1
	s_mul_i32 s4, s16, s5
	s_addc_u32 s0, s11, s0
	s_ashr_i32 s5, s4, 31
	s_add_u32 s4, s1, s4
	s_mul_i32 s18, s18, s17
	s_addc_u32 s5, s0, s5
	s_sub_i32 s0, s9, s18
	s_sub_i32 s1, s0, s17
	s_cmp_ge_u32 s0, s17
	s_cselect_b32 s0, s1, s0
	s_sub_i32 s1, s0, s17
	s_cmp_ge_u32 s0, s17
	s_cselect_b32 s0, s1, s0
	s_xor_b32 s0, s0, s3
	s_sub_i32 s0, s0, s3
	s_ashr_i32 s1, s0, 31
	s_mul_i32 s1, s44, s1
	s_mul_hi_u32 s6, s44, s0
	s_add_i32 s1, s6, s1
	s_mul_i32 s6, s45, s0
	s_add_i32 s1, s1, s6
	s_mul_i32 s0, s44, s0
	s_add_u32 s6, s14, s0
	s_addc_u32 s7, s15, s1
	s_mul_hi_u32 s0, s42, s2
	s_mul_i32 s1, s42, s3
	s_add_i32 s0, s0, s1
	s_mul_i32 s1, s43, s2
	s_add_i32 s0, s0, s1
	s_mul_i32 s1, s42, s2
	s_add_u32 s1, s12, s1
	s_mul_i32 s16, s16, s31
	s_addc_u32 s0, s13, s0
	s_ashr_i32 s3, s16, 31
	s_add_u32 s2, s1, s16
	v_lshrrev_b32_e32 v18, 3, v78
	s_addc_u32 s3, s0, s3
	s_movk_i32 s0, 0x1100
	v_and_b32_e32 v80, 15, v78
	v_and_b32_e32 v1, 0x7e, v18
	v_mad_u32_u24 v0, v170, s0, 0
	v_mul_u32_u24_e32 v99, 0x110, v80
	v_lshlrev_b32_e32 v82, 2, v1
	v_add3_u32 v0, v0, v99, v82
	v_add_u32_e32 v107, -1, v16
	v_lshrrev_b32_e32 v16, 5, v78
	s_waitcnt lgkmcnt(0)
	s_barrier
	ds_read2_b64 v[12:15], v0 offset1:4
	ds_read2_b64 v[8:11], v0 offset0:8 offset1:12
	ds_read2_b64 v[4:7], v0 offset0:16 offset1:20
	;; [unrolled: 1-line block ×3, first 2 shown]
	v_lshl_add_u32 v20, v170, 1, v16
	v_add_u32_e32 v16, s8, v20
	v_mul_hi_u32 v17, s40, v16
	v_add_u32_e32 v17, v16, v17
	v_lshrrev_b32_e32 v17, s41, v17
	v_cmp_lt_i32_e32 vcc, s52, v107
	v_mul_lo_u32 v17, v17, s24
	s_movk_i32 s0, 0x110
	v_sub_u32_e32 v19, v16, v17
	s_waitcnt lgkmcnt(0)
	s_barrier
	s_cbranch_vccnz .LBB25_685
; %bb.684:
	v_lshlrev_b32_e32 v16, 1, v78
	v_and_b32_e32 v44, 62, v16
	v_lshrrev_b32_e32 v16, 4, v78
	v_lshl_add_u32 v86, v170, 2, v16
	v_lshlrev_b32_e32 v16, 2, v78
	v_mul_lo_u32 v50, s36, v86
	s_lshl_b32 s1, s36, 4
	v_and_b32_e32 v46, 60, v16
	v_mov_b32_e32 v16, 0x1100
	v_add_u32_e32 v52, s1, v50
	v_mad_u32_u24 v102, v86, s0, v16
	v_mov_b32_e32 v16, 0x2200
	v_add_u32_e32 v54, s1, v52
	v_mov_b32_e32 v45, 0
	s_ashr_i32 s37, s36, 31
	v_mad_u32_u24 v103, v86, s0, v16
	v_mov_b32_e32 v16, 0x3300
	v_add_u32_e32 v56, s1, v54
	v_mad_i64_i32 v[48:49], s[8:9], v19, s38, 0
	v_mul_u32_u24_e32 v100, 0x110, v86
	v_mov_b32_e32 v47, v45
	v_ashrrev_i32_e32 v51, 31, v50
	v_add_u32_e32 v87, 16, v86
	v_ashrrev_i32_e32 v53, 31, v52
	v_add_u32_e32 v88, 32, v86
	;; [unrolled: 2-line block ×3, first 2 shown]
	v_mad_u32_u24 v104, v86, s0, v16
	v_ashrrev_i32_e32 v57, 31, v56
	s_mov_b64 s[0:1], 0
	v_mov_b64_e32 v[16:17], s[36:37]
	s_branch .LBB25_686
.LBB25_685:
	s_mov_b64 s[0:1], -1
                                        ; implicit-def: $vgpr44
                                        ; implicit-def: $vgpr48_vgpr49
                                        ; implicit-def: $vgpr16_vgpr17
                                        ; implicit-def: $vgpr86
                                        ; implicit-def: $vgpr100
                                        ; implicit-def: $vgpr46
                                        ; implicit-def: $vgpr50_vgpr51
                                        ; implicit-def: $vgpr87
                                        ; implicit-def: $vgpr102
                                        ; implicit-def: $vgpr52_vgpr53
                                        ; implicit-def: $vgpr88
                                        ; implicit-def: $vgpr103
                                        ; implicit-def: $vgpr54_vgpr55
                                        ; implicit-def: $vgpr90
                                        ; implicit-def: $vgpr104
                                        ; implicit-def: $vgpr56_vgpr57
.LBB25_686:
	v_mul_u32_u24_e32 v106, 0x90, v20
	s_andn2_b64 vcc, exec, s[0:1]
	v_lshrrev_b32_e32 v84, 2, v78
	v_lshl_or_b32 v95, v18, 2, 4
	v_mbcnt_lo_u32_b32 v94, -1, 0
	v_lshlrev_b32_e32 v83, 1, v80
	s_cbranch_vccnz .LBB25_754
; %bb.687:
	v_lshlrev_b32_e32 v16, 1, v78
	v_and_b32_e32 v44, 62, v16
	v_mad_i64_i32 v[48:49], s[0:1], v19, s38, 0
	v_mov_b32_e32 v59, 0
	v_lshlrev_b32_e32 v58, 1, v44
	v_lshl_add_u64 v[16:17], v[48:49], 1, s[6:7]
	v_lshl_add_u64 v[60:61], v[16:17], 0, v[58:59]
	v_lshrrev_b32_e32 v16, 4, v78
	v_lshl_add_u32 v86, v170, 2, v16
	v_lshlrev_b32_e32 v16, 2, v78
	v_and_b32_e32 v46, 60, v16
	v_mbcnt_hi_u32_b32 v20, -1, v94
	v_mul_u32_u24_e32 v100, 0x110, v86
	v_lshlrev_b32_e32 v16, 2, v46
	v_and_b32_e32 v21, 64, v20
	s_movk_i32 s0, 0x110
	v_add3_u32 v112, 0, v100, v16
	v_mov_b32_e32 v16, 0x1100
	v_add_u32_e32 v21, 64, v21
	v_xor_b32_e32 v22, 32, v20
	v_mad_u32_u24 v102, v86, s0, v16
	v_mov_b32_e32 v16, 0x2200
	v_and_b32_e32 v17, 8, v78
	v_cmp_lt_i32_e32 vcc, v22, v21
	v_mad_u32_u24 v103, v86, s0, v16
	v_mov_b32_e32 v16, 0x3300
	v_lshl_or_b32 v17, v170, 4, v17
	v_cndmask_b32_e32 v22, v20, v22, vcc
	v_mad_u32_u24 v104, v86, s0, v16
	v_lshrrev_b32_e32 v17, 3, v17
	s_movk_i32 s0, 0x90
	v_lshlrev_b32_e32 v119, 2, v22
	v_xor_b32_e32 v22, 16, v20
	v_mul_lo_u32 v50, s36, v86
	s_lshl_b32 s1, s36, 4
	v_mad_u32_u24 v17, v17, s0, 0
	v_cmp_lt_i32_e32 vcc, v22, v21
	v_mul_lo_u32 v62, s26, v86
	s_lshl_b32 s0, s26, 4
	v_add_u32_e32 v52, s1, v50
	v_and_b32_e32 v16, 0xfc, v84
	v_cndmask_b32_e32 v20, v20, v22, vcc
	v_add_u32_e32 v64, s0, v62
	v_add_u32_e32 v54, s1, v52
	v_lshl_add_u32 v117, v16, 1, v17
	v_lshlrev_b32_e32 v120, 2, v20
	v_add_u32_e32 v66, s0, v64
	v_or_b32_e32 v20, 3, v84
	v_add_u32_e32 v56, s1, v54
	v_add_u32_e32 v118, v17, v95
	;; [unrolled: 1-line block ×6, first 2 shown]
	v_mul_u32_u24_e32 v16, 0x110, v16
	v_mul_u32_u24_e32 v20, 0x110, v20
	v_readlane_b32 s24, v255, 4
	v_mov_b32_e32 v45, v59
	v_add3_u32 v111, 0, v106, v58
	s_ashr_i32 s37, s36, 31
	v_mov_b32_e32 v47, v59
	v_ashrrev_i32_e32 v51, 31, v50
	v_add_u32_e32 v87, 16, v86
	v_add_u32_e32 v113, 0x1100, v112
	v_ashrrev_i32_e32 v53, 31, v52
	v_add_u32_e32 v88, 32, v86
	v_add_u32_e32 v114, 0x2200, v112
	;; [unrolled: 3-line block ×3, first 2 shown]
	v_ashrrev_i32_e32 v57, 31, v56
	v_add3_u32 v116, 0, v99, v82
	v_ashrrev_i32_e32 v63, 31, v62
	v_ashrrev_i32_e32 v65, 31, v64
	;; [unrolled: 1-line block ×4, first 2 shown]
	v_add3_u32 v121, 0, v16, v83
	v_add3_u32 v122, 0, v20, v83
	s_lshl_b32 s8, s52, 6
	v_mov_b32_e32 v32, 0xfeffffff
	v_lshlrev_b32_e32 v58, 2, v46
	s_mov_b32 s10, 0x3f200000
	s_mov_b32 s11, 0x3fb8aa3b
	;; [unrolled: 1-line block ×4, first 2 shown]
	v_mov_b32_e32 v123, 0x3ca908c9
	s_brev_b32 s14, -2
	v_add_u32_e32 v124, 0x4400, v17
	v_add_u32_e32 v125, 0x4400, v18
	;; [unrolled: 1-line block ×3, first 2 shown]
	s_mov_b32 s15, 0xc1a00000
	s_mov_b32 s16, 0x5040100
	v_mov_b32_e32 v127, 0x7f800000
	v_mov_b32_e32 v128, v59
	;; [unrolled: 1-line block ×18, first 2 shown]
	v_readlane_b32 s17, v255, 6
	v_readlane_b32 s25, v255, 5
	;; [unrolled: 1-line block ×3, first 2 shown]
                                        ; implicit-def: $vgpr16
                                        ; implicit-def: $vgpr16
	;; [unrolled: 1-line block ×3, first 2 shown]
.LBB25_688:                             ; =>This Inner Loop Header: Depth=1
	s_mul_hi_i32 s1, s8, s36
	s_mul_i32 s0, s8, s36
	s_ashr_i32 s9, s8, 31
	s_lshl_b64 s[0:1], s[0:1], 2
	s_add_u32 s0, s4, s0
	s_addc_u32 s1, s5, s1
	v_lshl_add_u64 v[18:19], v[52:53], 2, s[0:1]
	v_lshl_add_u64 v[16:17], s[8:9], 1, v[60:61]
	;; [unrolled: 1-line block ×4, first 2 shown]
	global_load_dword v70, v[16:17], off
	v_lshl_add_u64 v[16:17], v[50:51], 2, s[0:1]
	v_lshl_add_u64 v[24:25], v[18:19], 0, v[58:59]
	;; [unrolled: 1-line block ×5, first 2 shown]
	global_load_dwordx4 v[16:19], v[16:17], off
	s_nop 0
	global_load_dwordx4 v[20:23], v[20:21], off
	s_nop 0
	;; [unrolled: 2-line block ×3, first 2 shown]
	global_load_dwordx4 v[28:31], v[28:29], off
	v_add_u32_e32 v96, 0x1000, v116
	v_add_u32_e32 v129, 0x2000, v116
	;; [unrolled: 1-line block ×3, first 2 shown]
	s_waitcnt vmcnt(4)
	ds_write_b32 v111, v70 offset:17408
	s_waitcnt vmcnt(3)
	ds_write_b128 v112, v[16:19]
	s_waitcnt vmcnt(2)
	ds_write_b128 v113, v[20:23]
	;; [unrolled: 2-line block ×4, first 2 shown]
	s_waitcnt lgkmcnt(0)
	s_barrier
	ds_read2_b64 v[16:19], v116 offset1:4
	ds_read2_b64 v[24:27], v96 offset0:32 offset1:36
	ds_read2_b64 v[70:73], v129 offset0:64 offset1:68
	;; [unrolled: 1-line block ×3, first 2 shown]
	s_waitcnt lgkmcnt(3)
	v_mfma_f32_16x16x16_f16 v[20:23], v[16:17], v[12:13], 0
	s_waitcnt lgkmcnt(2)
	v_mfma_f32_16x16x16_f16 v[28:31], v[24:25], v[12:13], 0
	;; [unrolled: 2-line block ×4, first 2 shown]
	v_mfma_f32_16x16x16_f16 v[16:19], v[18:19], v[14:15], v[20:23]
	v_mfma_f32_16x16x16_f16 v[20:23], v[26:27], v[14:15], v[28:31]
	;; [unrolled: 1-line block ×3, first 2 shown]
	ds_read2_b64 v[70:73], v116 offset0:8 offset1:12
	v_mfma_f32_16x16x16_f16 v[28:31], v[132:133], v[14:15], v[134:137]
	s_nop 0
	ds_read2_b64 v[74:77], v96 offset0:40 offset1:44
	ds_read2_b64 v[130:133], v129 offset0:72 offset1:76
	;; [unrolled: 1-line block ×3, first 2 shown]
	s_waitcnt lgkmcnt(3)
	v_mfma_f32_16x16x16_f16 v[16:19], v[70:71], v[8:9], v[16:19]
	s_waitcnt lgkmcnt(2)
	v_mfma_f32_16x16x16_f16 v[20:23], v[74:75], v[8:9], v[20:23]
	;; [unrolled: 2-line block ×3, first 2 shown]
	v_mfma_f32_16x16x16_f16 v[16:19], v[72:73], v[10:11], v[16:19]
	ds_read2_b64 v[70:73], v116 offset0:16 offset1:20
	v_mfma_f32_16x16x16_f16 v[20:23], v[76:77], v[10:11], v[20:23]
	ds_read2_b64 v[74:77], v96 offset0:48 offset1:52
	v_mfma_f32_16x16x16_f16 v[28:31], v[136:137], v[10:11], v[28:31]
	ds_read2_b64 v[134:137], v142 offset0:112 offset1:116
	ds_read2_b64 v[142:145], v142 offset0:120 offset1:124
	v_mfma_f32_16x16x16_f16 v[24:27], v[130:131], v[8:9], v[24:27]
	v_mfma_f32_16x16x16_f16 v[24:27], v[132:133], v[10:11], v[24:27]
	ds_read2_b64 v[130:133], v129 offset0:80 offset1:84
	s_waitcnt lgkmcnt(4)
	v_mfma_f32_16x16x16_f16 v[16:19], v[70:71], v[4:5], v[16:19]
	s_waitcnt lgkmcnt(3)
	v_mfma_f32_16x16x16_f16 v[20:23], v[74:75], v[4:5], v[20:23]
	;; [unrolled: 2-line block ×3, first 2 shown]
	v_mfma_f32_16x16x16_f16 v[16:19], v[72:73], v[6:7], v[16:19]
	ds_read2_b64 v[70:73], v116 offset0:24 offset1:28
	v_mfma_f32_16x16x16_f16 v[20:23], v[76:77], v[6:7], v[20:23]
	ds_read2_b64 v[74:77], v96 offset0:56 offset1:60
	;; [unrolled: 2-line block ×3, first 2 shown]
	s_waitcnt lgkmcnt(0)
	s_barrier
	v_mfma_f32_16x16x16_f16 v[24:27], v[130:131], v[4:5], v[24:27]
	v_mfma_f32_16x16x16_f16 v[24:27], v[132:133], v[6:7], v[24:27]
	;; [unrolled: 1-line block ×3, first 2 shown]
                                        ; implicit-def: $vgpr70
	v_mfma_f32_16x16x16_f16 v[130:133], v[74:75], v[0:1], v[20:23]
	v_mfma_f32_16x16x16_f16 v[138:141], v[134:135], v[0:1], v[24:27]
	;; [unrolled: 1-line block ×6, first 2 shown]
	s_nop 5
	v_cmp_nlt_f32_e64 s[0:1], |v20|, s10
	v_mfma_f32_16x16x16_f16 v[16:19], v[144:145], v[2:3], v[146:149]
	s_and_saveexec_b64 s[18:19], s[0:1]
	s_xor_b64 s[0:1], exec, s[18:19]
	s_cbranch_execz .LBB25_690
; %bb.689:                              ;   in Loop: Header=BB25_688 Depth=1
	v_add_f32_e64 v70, |v20|, |v20|
	v_mul_f32_e32 v71, 0x3fb8aa3b, v70
	v_rndne_f32_e32 v72, v71
	v_sub_f32_e32 v73, v71, v72
	v_fma_f32 v71, v70, s11, -v71
	v_fmac_f32_e32 v71, 0x32a5705f, v70
	v_add_f32_e32 v71, v73, v71
	v_cvt_i32_f32_e32 v72, v72
	v_exp_f32_e32 v71, v71
	v_cmp_ngt_f32_e32 vcc, s12, v70
	v_ldexp_f32 v71, v71, v72
	s_nop 0
	v_cndmask_b32_e32 v71, 0, v71, vcc
	v_cmp_nlt_f32_e32 vcc, s13, v70
	s_nop 1
	v_cndmask_b32_e32 v70, v127, v71, vcc
	v_add_f32_e32 v70, 1.0, v70
	v_rcp_f32_e32 v70, v70
	s_nop 0
	v_fma_f32 v70, v70, -2.0, 1.0
.LBB25_690:                             ;   in Loop: Header=BB25_688 Depth=1
	s_andn2_saveexec_b64 s[0:1], s[0:1]
; %bb.691:                              ;   in Loop: Header=BB25_688 Depth=1
	v_mul_f32_e32 v70, v20, v20
	v_fmamk_f32 v71, v70, 0xbbbac73d, v123
	v_fmaak_f32 v71, v70, v71, 0xbd5c1c4e
	v_fmaak_f32 v71, v70, v71, 0x3e088382
	;; [unrolled: 1-line block ×3, first 2 shown]
	v_mul_f32_e64 v71, |v20|, v71
	v_fma_f32 v70, v70, v71, |v20|
; %bb.692:                              ;   in Loop: Header=BB25_688 Depth=1
	s_or_b64 exec, exec, s[0:1]
	v_cmp_nlt_f32_e64 s[0:1], |v21|, s10
                                        ; implicit-def: $vgpr71
	s_and_saveexec_b64 s[18:19], s[0:1]
	s_xor_b64 s[0:1], exec, s[18:19]
	s_cbranch_execz .LBB25_694
; %bb.693:                              ;   in Loop: Header=BB25_688 Depth=1
	v_add_f32_e64 v71, |v21|, |v21|
	v_mul_f32_e32 v72, 0x3fb8aa3b, v71
	v_rndne_f32_e32 v73, v72
	v_sub_f32_e32 v74, v72, v73
	v_fma_f32 v72, v71, s11, -v72
	v_fmac_f32_e32 v72, 0x32a5705f, v71
	v_add_f32_e32 v72, v74, v72
	v_cvt_i32_f32_e32 v73, v73
	v_exp_f32_e32 v72, v72
	v_cmp_ngt_f32_e32 vcc, s12, v71
	v_ldexp_f32 v72, v72, v73
	s_nop 0
	v_cndmask_b32_e32 v72, 0, v72, vcc
	v_cmp_nlt_f32_e32 vcc, s13, v71
	s_nop 1
	v_cndmask_b32_e32 v71, v127, v72, vcc
	v_add_f32_e32 v71, 1.0, v71
	v_rcp_f32_e32 v71, v71
	s_nop 0
	v_fma_f32 v71, v71, -2.0, 1.0
.LBB25_694:                             ;   in Loop: Header=BB25_688 Depth=1
	s_andn2_saveexec_b64 s[0:1], s[0:1]
; %bb.695:                              ;   in Loop: Header=BB25_688 Depth=1
	v_mul_f32_e32 v71, v21, v21
	v_fmamk_f32 v72, v71, 0xbbbac73d, v123
	v_fmaak_f32 v72, v71, v72, 0xbd5c1c4e
	v_fmaak_f32 v72, v71, v72, 0x3e088382
	;; [unrolled: 1-line block ×3, first 2 shown]
	v_mul_f32_e64 v72, |v21|, v72
	v_fma_f32 v71, v71, v72, |v21|
; %bb.696:                              ;   in Loop: Header=BB25_688 Depth=1
	s_or_b64 exec, exec, s[0:1]
	v_cmp_nlt_f32_e64 s[0:1], |v22|, s10
                                        ; implicit-def: $vgpr72
	s_and_saveexec_b64 s[18:19], s[0:1]
	s_xor_b64 s[0:1], exec, s[18:19]
	s_cbranch_execz .LBB25_698
; %bb.697:                              ;   in Loop: Header=BB25_688 Depth=1
	v_add_f32_e64 v72, |v22|, |v22|
	v_mul_f32_e32 v73, 0x3fb8aa3b, v72
	v_rndne_f32_e32 v74, v73
	v_sub_f32_e32 v75, v73, v74
	v_fma_f32 v73, v72, s11, -v73
	v_fmac_f32_e32 v73, 0x32a5705f, v72
	v_add_f32_e32 v73, v75, v73
	v_cvt_i32_f32_e32 v74, v74
	v_exp_f32_e32 v73, v73
	v_cmp_ngt_f32_e32 vcc, s12, v72
	v_ldexp_f32 v73, v73, v74
	s_nop 0
	v_cndmask_b32_e32 v73, 0, v73, vcc
	v_cmp_nlt_f32_e32 vcc, s13, v72
	s_nop 1
	v_cndmask_b32_e32 v72, v127, v73, vcc
	v_add_f32_e32 v72, 1.0, v72
	v_rcp_f32_e32 v72, v72
	s_nop 0
	v_fma_f32 v72, v72, -2.0, 1.0
.LBB25_698:                             ;   in Loop: Header=BB25_688 Depth=1
	s_andn2_saveexec_b64 s[0:1], s[0:1]
; %bb.699:                              ;   in Loop: Header=BB25_688 Depth=1
	v_mul_f32_e32 v72, v22, v22
	v_fmamk_f32 v73, v72, 0xbbbac73d, v123
	v_fmaak_f32 v73, v72, v73, 0xbd5c1c4e
	v_fmaak_f32 v73, v72, v73, 0x3e088382
	;; [unrolled: 1-line block ×3, first 2 shown]
	v_mul_f32_e64 v73, |v22|, v73
	v_fma_f32 v72, v72, v73, |v22|
; %bb.700:                              ;   in Loop: Header=BB25_688 Depth=1
	s_or_b64 exec, exec, s[0:1]
	v_cmp_nlt_f32_e64 s[0:1], |v23|, s10
                                        ; implicit-def: $vgpr73
	s_and_saveexec_b64 s[18:19], s[0:1]
	s_xor_b64 s[0:1], exec, s[18:19]
	s_cbranch_execz .LBB25_702
; %bb.701:                              ;   in Loop: Header=BB25_688 Depth=1
	v_add_f32_e64 v73, |v23|, |v23|
	v_mul_f32_e32 v74, 0x3fb8aa3b, v73
	v_rndne_f32_e32 v75, v74
	v_sub_f32_e32 v76, v74, v75
	v_fma_f32 v74, v73, s11, -v74
	v_fmac_f32_e32 v74, 0x32a5705f, v73
	v_add_f32_e32 v74, v76, v74
	v_cvt_i32_f32_e32 v75, v75
	v_exp_f32_e32 v74, v74
	v_cmp_ngt_f32_e32 vcc, s12, v73
	v_ldexp_f32 v74, v74, v75
	s_nop 0
	v_cndmask_b32_e32 v74, 0, v74, vcc
	v_cmp_nlt_f32_e32 vcc, s13, v73
	s_nop 1
	v_cndmask_b32_e32 v73, v127, v74, vcc
	v_add_f32_e32 v73, 1.0, v73
	v_rcp_f32_e32 v73, v73
	s_nop 0
	v_fma_f32 v73, v73, -2.0, 1.0
.LBB25_702:                             ;   in Loop: Header=BB25_688 Depth=1
	s_andn2_saveexec_b64 s[0:1], s[0:1]
; %bb.703:                              ;   in Loop: Header=BB25_688 Depth=1
	v_mul_f32_e32 v73, v23, v23
	v_fmamk_f32 v74, v73, 0xbbbac73d, v123
	v_fmaak_f32 v74, v73, v74, 0xbd5c1c4e
	v_fmaak_f32 v74, v73, v74, 0x3e088382
	v_fmaak_f32 v74, v73, v74, 0xbeaaaa99
	v_mul_f32_e64 v74, |v23|, v74
	v_fma_f32 v73, v73, v74, |v23|
; %bb.704:                              ;   in Loop: Header=BB25_688 Depth=1
	s_or_b64 exec, exec, s[0:1]
	v_cmp_nlt_f32_e64 s[0:1], |v24|, s10
                                        ; implicit-def: $vgpr74
	s_and_saveexec_b64 s[18:19], s[0:1]
	s_xor_b64 s[0:1], exec, s[18:19]
	s_cbranch_execz .LBB25_706
; %bb.705:                              ;   in Loop: Header=BB25_688 Depth=1
	v_add_f32_e64 v74, |v24|, |v24|
	v_mul_f32_e32 v75, 0x3fb8aa3b, v74
	v_rndne_f32_e32 v76, v75
	v_sub_f32_e32 v77, v75, v76
	v_fma_f32 v75, v74, s11, -v75
	v_fmac_f32_e32 v75, 0x32a5705f, v74
	v_add_f32_e32 v75, v77, v75
	v_cvt_i32_f32_e32 v76, v76
	v_exp_f32_e32 v75, v75
	v_cmp_ngt_f32_e32 vcc, s12, v74
	v_ldexp_f32 v75, v75, v76
	s_nop 0
	v_cndmask_b32_e32 v75, 0, v75, vcc
	v_cmp_nlt_f32_e32 vcc, s13, v74
	s_nop 1
	v_cndmask_b32_e32 v74, v127, v75, vcc
	v_add_f32_e32 v74, 1.0, v74
	v_rcp_f32_e32 v74, v74
	s_nop 0
	v_fma_f32 v74, v74, -2.0, 1.0
.LBB25_706:                             ;   in Loop: Header=BB25_688 Depth=1
	s_andn2_saveexec_b64 s[0:1], s[0:1]
; %bb.707:                              ;   in Loop: Header=BB25_688 Depth=1
	v_mul_f32_e32 v74, v24, v24
	v_fmamk_f32 v75, v74, 0xbbbac73d, v123
	v_fmaak_f32 v75, v74, v75, 0xbd5c1c4e
	v_fmaak_f32 v75, v74, v75, 0x3e088382
	;; [unrolled: 1-line block ×3, first 2 shown]
	v_mul_f32_e64 v75, |v24|, v75
	v_fma_f32 v74, v74, v75, |v24|
; %bb.708:                              ;   in Loop: Header=BB25_688 Depth=1
	s_or_b64 exec, exec, s[0:1]
	v_cmp_nlt_f32_e64 s[0:1], |v25|, s10
                                        ; implicit-def: $vgpr75
	s_and_saveexec_b64 s[18:19], s[0:1]
	s_xor_b64 s[0:1], exec, s[18:19]
	s_cbranch_execz .LBB25_710
; %bb.709:                              ;   in Loop: Header=BB25_688 Depth=1
	v_add_f32_e64 v75, |v25|, |v25|
	v_mul_f32_e32 v76, 0x3fb8aa3b, v75
	v_rndne_f32_e32 v77, v76
	v_sub_f32_e32 v96, v76, v77
	v_fma_f32 v76, v75, s11, -v76
	v_fmac_f32_e32 v76, 0x32a5705f, v75
	v_add_f32_e32 v76, v96, v76
	v_cvt_i32_f32_e32 v77, v77
	v_exp_f32_e32 v76, v76
	v_cmp_ngt_f32_e32 vcc, s12, v75
	v_ldexp_f32 v76, v76, v77
	s_nop 0
	v_cndmask_b32_e32 v76, 0, v76, vcc
	v_cmp_nlt_f32_e32 vcc, s13, v75
	s_nop 1
	v_cndmask_b32_e32 v75, v127, v76, vcc
	v_add_f32_e32 v75, 1.0, v75
	v_rcp_f32_e32 v75, v75
	s_nop 0
	v_fma_f32 v75, v75, -2.0, 1.0
.LBB25_710:                             ;   in Loop: Header=BB25_688 Depth=1
	s_andn2_saveexec_b64 s[0:1], s[0:1]
; %bb.711:                              ;   in Loop: Header=BB25_688 Depth=1
	v_mul_f32_e32 v75, v25, v25
	v_fmamk_f32 v76, v75, 0xbbbac73d, v123
	v_fmaak_f32 v76, v75, v76, 0xbd5c1c4e
	v_fmaak_f32 v76, v75, v76, 0x3e088382
	;; [unrolled: 1-line block ×3, first 2 shown]
	v_mul_f32_e64 v76, |v25|, v76
	v_fma_f32 v75, v75, v76, |v25|
; %bb.712:                              ;   in Loop: Header=BB25_688 Depth=1
	s_or_b64 exec, exec, s[0:1]
	v_cmp_nlt_f32_e64 s[0:1], |v26|, s10
                                        ; implicit-def: $vgpr76
	s_and_saveexec_b64 s[18:19], s[0:1]
	s_xor_b64 s[0:1], exec, s[18:19]
	s_cbranch_execz .LBB25_714
; %bb.713:                              ;   in Loop: Header=BB25_688 Depth=1
	v_add_f32_e64 v76, |v26|, |v26|
	v_mul_f32_e32 v77, 0x3fb8aa3b, v76
	v_rndne_f32_e32 v96, v77
	v_sub_f32_e32 v129, v77, v96
	v_fma_f32 v77, v76, s11, -v77
	v_fmac_f32_e32 v77, 0x32a5705f, v76
	v_add_f32_e32 v77, v129, v77
	v_cvt_i32_f32_e32 v96, v96
	v_exp_f32_e32 v77, v77
	v_cmp_ngt_f32_e32 vcc, s12, v76
	v_ldexp_f32 v77, v77, v96
	s_nop 0
	v_cndmask_b32_e32 v77, 0, v77, vcc
	v_cmp_nlt_f32_e32 vcc, s13, v76
	s_nop 1
	v_cndmask_b32_e32 v76, v127, v77, vcc
	v_add_f32_e32 v76, 1.0, v76
	v_rcp_f32_e32 v76, v76
	s_nop 0
	v_fma_f32 v76, v76, -2.0, 1.0
.LBB25_714:                             ;   in Loop: Header=BB25_688 Depth=1
	s_andn2_saveexec_b64 s[0:1], s[0:1]
; %bb.715:                              ;   in Loop: Header=BB25_688 Depth=1
	v_mul_f32_e32 v76, v26, v26
	v_fmamk_f32 v77, v76, 0xbbbac73d, v123
	v_fmaak_f32 v77, v76, v77, 0xbd5c1c4e
	v_fmaak_f32 v77, v76, v77, 0x3e088382
	v_fmaak_f32 v77, v76, v77, 0xbeaaaa99
	v_mul_f32_e64 v77, |v26|, v77
	v_fma_f32 v76, v76, v77, |v26|
; %bb.716:                              ;   in Loop: Header=BB25_688 Depth=1
	s_or_b64 exec, exec, s[0:1]
	v_cmp_nlt_f32_e64 s[0:1], |v27|, s10
                                        ; implicit-def: $vgpr77
	s_and_saveexec_b64 s[18:19], s[0:1]
	s_xor_b64 s[0:1], exec, s[18:19]
	s_cbranch_execz .LBB25_718
; %bb.717:                              ;   in Loop: Header=BB25_688 Depth=1
	v_add_f32_e64 v77, |v27|, |v27|
	v_mul_f32_e32 v96, 0x3fb8aa3b, v77
	v_rndne_f32_e32 v129, v96
	v_sub_f32_e32 v130, v96, v129
	v_fma_f32 v96, v77, s11, -v96
	v_fmac_f32_e32 v96, 0x32a5705f, v77
	v_add_f32_e32 v96, v130, v96
	v_cvt_i32_f32_e32 v129, v129
	v_exp_f32_e32 v96, v96
	v_cmp_ngt_f32_e32 vcc, s12, v77
	v_ldexp_f32 v96, v96, v129
	s_nop 0
	v_cndmask_b32_e32 v96, 0, v96, vcc
	v_cmp_nlt_f32_e32 vcc, s13, v77
	s_nop 1
	v_cndmask_b32_e32 v77, v127, v96, vcc
	v_add_f32_e32 v77, 1.0, v77
	v_rcp_f32_e32 v77, v77
	s_nop 0
	v_fma_f32 v77, v77, -2.0, 1.0
.LBB25_718:                             ;   in Loop: Header=BB25_688 Depth=1
	s_andn2_saveexec_b64 s[0:1], s[0:1]
; %bb.719:                              ;   in Loop: Header=BB25_688 Depth=1
	v_mul_f32_e32 v77, v27, v27
	v_fmamk_f32 v96, v77, 0xbbbac73d, v123
	v_fmaak_f32 v96, v77, v96, 0xbd5c1c4e
	v_fmaak_f32 v96, v77, v96, 0x3e088382
	v_fmaak_f32 v96, v77, v96, 0xbeaaaa99
	v_mul_f32_e64 v96, |v27|, v96
	v_fma_f32 v77, v77, v96, |v27|
; %bb.720:                              ;   in Loop: Header=BB25_688 Depth=1
	s_or_b64 exec, exec, s[0:1]
	v_cmp_nlt_f32_e64 s[0:1], |v28|, s10
                                        ; implicit-def: $vgpr96
	s_and_saveexec_b64 s[18:19], s[0:1]
	s_xor_b64 s[0:1], exec, s[18:19]
	s_cbranch_execz .LBB25_722
; %bb.721:                              ;   in Loop: Header=BB25_688 Depth=1
	v_add_f32_e64 v96, |v28|, |v28|
	v_mul_f32_e32 v129, 0x3fb8aa3b, v96
	v_rndne_f32_e32 v130, v129
	v_sub_f32_e32 v131, v129, v130
	v_fma_f32 v129, v96, s11, -v129
	v_fmac_f32_e32 v129, 0x32a5705f, v96
	v_add_f32_e32 v129, v131, v129
	v_cvt_i32_f32_e32 v130, v130
	v_exp_f32_e32 v129, v129
	v_cmp_ngt_f32_e32 vcc, s12, v96
	v_ldexp_f32 v129, v129, v130
	s_nop 0
	v_cndmask_b32_e32 v129, 0, v129, vcc
	v_cmp_nlt_f32_e32 vcc, s13, v96
	s_nop 1
	v_cndmask_b32_e32 v96, v127, v129, vcc
	v_add_f32_e32 v96, 1.0, v96
	v_rcp_f32_e32 v96, v96
	s_nop 0
	v_fma_f32 v96, v96, -2.0, 1.0
.LBB25_722:                             ;   in Loop: Header=BB25_688 Depth=1
	s_andn2_saveexec_b64 s[0:1], s[0:1]
; %bb.723:                              ;   in Loop: Header=BB25_688 Depth=1
	v_mul_f32_e32 v96, v28, v28
	v_fmamk_f32 v129, v96, 0xbbbac73d, v123
	v_fmaak_f32 v129, v96, v129, 0xbd5c1c4e
	v_fmaak_f32 v129, v96, v129, 0x3e088382
	;; [unrolled: 1-line block ×3, first 2 shown]
	v_mul_f32_e64 v129, |v28|, v129
	v_fma_f32 v96, v96, v129, |v28|
; %bb.724:                              ;   in Loop: Header=BB25_688 Depth=1
	s_or_b64 exec, exec, s[0:1]
	v_cmp_nlt_f32_e64 s[0:1], |v29|, s10
                                        ; implicit-def: $vgpr129
	s_and_saveexec_b64 s[18:19], s[0:1]
	s_xor_b64 s[0:1], exec, s[18:19]
	s_cbranch_execz .LBB25_726
; %bb.725:                              ;   in Loop: Header=BB25_688 Depth=1
	v_add_f32_e64 v129, |v29|, |v29|
	v_mul_f32_e32 v130, 0x3fb8aa3b, v129
	v_rndne_f32_e32 v131, v130
	v_sub_f32_e32 v132, v130, v131
	v_fma_f32 v130, v129, s11, -v130
	v_fmac_f32_e32 v130, 0x32a5705f, v129
	v_add_f32_e32 v130, v132, v130
	v_cvt_i32_f32_e32 v131, v131
	v_exp_f32_e32 v130, v130
	v_cmp_ngt_f32_e32 vcc, s12, v129
	v_ldexp_f32 v130, v130, v131
	s_nop 0
	v_cndmask_b32_e32 v130, 0, v130, vcc
	v_cmp_nlt_f32_e32 vcc, s13, v129
	s_nop 1
	v_cndmask_b32_e32 v129, v127, v130, vcc
	v_add_f32_e32 v129, 1.0, v129
	v_rcp_f32_e32 v129, v129
	s_nop 0
	v_fma_f32 v129, v129, -2.0, 1.0
.LBB25_726:                             ;   in Loop: Header=BB25_688 Depth=1
	s_andn2_saveexec_b64 s[0:1], s[0:1]
; %bb.727:                              ;   in Loop: Header=BB25_688 Depth=1
	v_mul_f32_e32 v129, v29, v29
	v_fmamk_f32 v130, v129, 0xbbbac73d, v123
	v_fmaak_f32 v130, v129, v130, 0xbd5c1c4e
	v_fmaak_f32 v130, v129, v130, 0x3e088382
	;; [unrolled: 1-line block ×3, first 2 shown]
	v_mul_f32_e64 v130, |v29|, v130
	v_fma_f32 v129, v129, v130, |v29|
; %bb.728:                              ;   in Loop: Header=BB25_688 Depth=1
	s_or_b64 exec, exec, s[0:1]
	v_cmp_nlt_f32_e64 s[0:1], |v30|, s10
                                        ; implicit-def: $vgpr130
	s_and_saveexec_b64 s[18:19], s[0:1]
	s_xor_b64 s[0:1], exec, s[18:19]
	s_cbranch_execz .LBB25_730
; %bb.729:                              ;   in Loop: Header=BB25_688 Depth=1
	v_add_f32_e64 v130, |v30|, |v30|
	v_mul_f32_e32 v131, 0x3fb8aa3b, v130
	v_rndne_f32_e32 v132, v131
	v_sub_f32_e32 v133, v131, v132
	v_fma_f32 v131, v130, s11, -v131
	v_fmac_f32_e32 v131, 0x32a5705f, v130
	v_add_f32_e32 v131, v133, v131
	v_cvt_i32_f32_e32 v132, v132
	v_exp_f32_e32 v131, v131
	v_cmp_ngt_f32_e32 vcc, s12, v130
	v_ldexp_f32 v131, v131, v132
	s_nop 0
	v_cndmask_b32_e32 v131, 0, v131, vcc
	v_cmp_nlt_f32_e32 vcc, s13, v130
	s_nop 1
	v_cndmask_b32_e32 v130, v127, v131, vcc
	v_add_f32_e32 v130, 1.0, v130
	v_rcp_f32_e32 v130, v130
	s_nop 0
	v_fma_f32 v130, v130, -2.0, 1.0
.LBB25_730:                             ;   in Loop: Header=BB25_688 Depth=1
	s_andn2_saveexec_b64 s[0:1], s[0:1]
; %bb.731:                              ;   in Loop: Header=BB25_688 Depth=1
	v_mul_f32_e32 v130, v30, v30
	v_fmamk_f32 v131, v130, 0xbbbac73d, v123
	v_fmaak_f32 v131, v130, v131, 0xbd5c1c4e
	v_fmaak_f32 v131, v130, v131, 0x3e088382
	;; [unrolled: 1-line block ×3, first 2 shown]
	v_mul_f32_e64 v131, |v30|, v131
	v_fma_f32 v130, v130, v131, |v30|
; %bb.732:                              ;   in Loop: Header=BB25_688 Depth=1
	s_or_b64 exec, exec, s[0:1]
	v_cmp_nlt_f32_e64 s[0:1], |v31|, s10
                                        ; implicit-def: $vgpr131
	s_and_saveexec_b64 s[18:19], s[0:1]
	s_xor_b64 s[0:1], exec, s[18:19]
	s_cbranch_execz .LBB25_734
; %bb.733:                              ;   in Loop: Header=BB25_688 Depth=1
	v_add_f32_e64 v131, |v31|, |v31|
	v_mul_f32_e32 v132, 0x3fb8aa3b, v131
	v_rndne_f32_e32 v133, v132
	v_sub_f32_e32 v134, v132, v133
	v_fma_f32 v132, v131, s11, -v132
	v_fmac_f32_e32 v132, 0x32a5705f, v131
	v_add_f32_e32 v132, v134, v132
	v_cvt_i32_f32_e32 v133, v133
	v_exp_f32_e32 v132, v132
	v_cmp_ngt_f32_e32 vcc, s12, v131
	v_ldexp_f32 v132, v132, v133
	s_nop 0
	v_cndmask_b32_e32 v132, 0, v132, vcc
	v_cmp_nlt_f32_e32 vcc, s13, v131
	s_nop 1
	v_cndmask_b32_e32 v131, v127, v132, vcc
	v_add_f32_e32 v131, 1.0, v131
	v_rcp_f32_e32 v131, v131
	s_nop 0
	v_fma_f32 v131, v131, -2.0, 1.0
.LBB25_734:                             ;   in Loop: Header=BB25_688 Depth=1
	s_andn2_saveexec_b64 s[0:1], s[0:1]
; %bb.735:                              ;   in Loop: Header=BB25_688 Depth=1
	v_mul_f32_e32 v131, v31, v31
	v_fmamk_f32 v132, v131, 0xbbbac73d, v123
	v_fmaak_f32 v132, v131, v132, 0xbd5c1c4e
	v_fmaak_f32 v132, v131, v132, 0x3e088382
	;; [unrolled: 1-line block ×3, first 2 shown]
	v_mul_f32_e64 v132, |v31|, v132
	v_fma_f32 v131, v131, v132, |v31|
; %bb.736:                              ;   in Loop: Header=BB25_688 Depth=1
	s_or_b64 exec, exec, s[0:1]
	v_cmp_nlt_f32_e64 s[0:1], |v16|, s10
                                        ; implicit-def: $vgpr132
	s_and_saveexec_b64 s[18:19], s[0:1]
	s_xor_b64 s[0:1], exec, s[18:19]
	s_cbranch_execz .LBB25_738
; %bb.737:                              ;   in Loop: Header=BB25_688 Depth=1
	v_add_f32_e64 v132, |v16|, |v16|
	v_mul_f32_e32 v133, 0x3fb8aa3b, v132
	v_rndne_f32_e32 v134, v133
	v_sub_f32_e32 v135, v133, v134
	v_fma_f32 v133, v132, s11, -v133
	v_fmac_f32_e32 v133, 0x32a5705f, v132
	v_add_f32_e32 v133, v135, v133
	v_cvt_i32_f32_e32 v134, v134
	v_exp_f32_e32 v133, v133
	v_cmp_ngt_f32_e32 vcc, s12, v132
	v_ldexp_f32 v133, v133, v134
	s_nop 0
	v_cndmask_b32_e32 v133, 0, v133, vcc
	v_cmp_nlt_f32_e32 vcc, s13, v132
	s_nop 1
	v_cndmask_b32_e32 v132, v127, v133, vcc
	v_add_f32_e32 v132, 1.0, v132
	v_rcp_f32_e32 v132, v132
	s_nop 0
	v_fma_f32 v132, v132, -2.0, 1.0
.LBB25_738:                             ;   in Loop: Header=BB25_688 Depth=1
	s_andn2_saveexec_b64 s[0:1], s[0:1]
; %bb.739:                              ;   in Loop: Header=BB25_688 Depth=1
	v_mul_f32_e32 v132, v16, v16
	v_fmamk_f32 v133, v132, 0xbbbac73d, v123
	v_fmaak_f32 v133, v132, v133, 0xbd5c1c4e
	v_fmaak_f32 v133, v132, v133, 0x3e088382
	;; [unrolled: 1-line block ×3, first 2 shown]
	v_mul_f32_e64 v133, |v16|, v133
	v_fma_f32 v132, v132, v133, |v16|
; %bb.740:                              ;   in Loop: Header=BB25_688 Depth=1
	s_or_b64 exec, exec, s[0:1]
	v_cmp_nlt_f32_e64 s[0:1], |v17|, s10
                                        ; implicit-def: $vgpr133
	s_and_saveexec_b64 s[18:19], s[0:1]
	s_xor_b64 s[0:1], exec, s[18:19]
	s_cbranch_execz .LBB25_742
; %bb.741:                              ;   in Loop: Header=BB25_688 Depth=1
	v_add_f32_e64 v133, |v17|, |v17|
	v_mul_f32_e32 v134, 0x3fb8aa3b, v133
	v_rndne_f32_e32 v135, v134
	v_sub_f32_e32 v136, v134, v135
	v_fma_f32 v134, v133, s11, -v134
	v_fmac_f32_e32 v134, 0x32a5705f, v133
	v_add_f32_e32 v134, v136, v134
	v_cvt_i32_f32_e32 v135, v135
	v_exp_f32_e32 v134, v134
	v_cmp_ngt_f32_e32 vcc, s12, v133
	v_ldexp_f32 v134, v134, v135
	s_nop 0
	v_cndmask_b32_e32 v134, 0, v134, vcc
	v_cmp_nlt_f32_e32 vcc, s13, v133
	s_nop 1
	v_cndmask_b32_e32 v133, v127, v134, vcc
	v_add_f32_e32 v133, 1.0, v133
	v_rcp_f32_e32 v133, v133
	s_nop 0
	v_fma_f32 v133, v133, -2.0, 1.0
.LBB25_742:                             ;   in Loop: Header=BB25_688 Depth=1
	s_andn2_saveexec_b64 s[0:1], s[0:1]
; %bb.743:                              ;   in Loop: Header=BB25_688 Depth=1
	v_mul_f32_e32 v133, v17, v17
	v_fmamk_f32 v134, v133, 0xbbbac73d, v123
	v_fmaak_f32 v134, v133, v134, 0xbd5c1c4e
	v_fmaak_f32 v134, v133, v134, 0x3e088382
	;; [unrolled: 1-line block ×3, first 2 shown]
	v_mul_f32_e64 v134, |v17|, v134
	v_fma_f32 v133, v133, v134, |v17|
; %bb.744:                              ;   in Loop: Header=BB25_688 Depth=1
	s_or_b64 exec, exec, s[0:1]
	v_cmp_nlt_f32_e64 s[0:1], |v18|, s10
                                        ; implicit-def: $vgpr134
	s_and_saveexec_b64 s[18:19], s[0:1]
	s_xor_b64 s[0:1], exec, s[18:19]
	s_cbranch_execz .LBB25_746
; %bb.745:                              ;   in Loop: Header=BB25_688 Depth=1
	v_add_f32_e64 v134, |v18|, |v18|
	v_mul_f32_e32 v135, 0x3fb8aa3b, v134
	v_rndne_f32_e32 v136, v135
	v_sub_f32_e32 v137, v135, v136
	v_fma_f32 v135, v134, s11, -v135
	v_fmac_f32_e32 v135, 0x32a5705f, v134
	v_add_f32_e32 v135, v137, v135
	v_cvt_i32_f32_e32 v136, v136
	v_exp_f32_e32 v135, v135
	v_cmp_ngt_f32_e32 vcc, s12, v134
	v_ldexp_f32 v135, v135, v136
	s_nop 0
	v_cndmask_b32_e32 v135, 0, v135, vcc
	v_cmp_nlt_f32_e32 vcc, s13, v134
	s_nop 1
	v_cndmask_b32_e32 v134, v127, v135, vcc
	v_add_f32_e32 v134, 1.0, v134
	v_rcp_f32_e32 v134, v134
	s_nop 0
	v_fma_f32 v134, v134, -2.0, 1.0
.LBB25_746:                             ;   in Loop: Header=BB25_688 Depth=1
	s_andn2_saveexec_b64 s[0:1], s[0:1]
; %bb.747:                              ;   in Loop: Header=BB25_688 Depth=1
	v_mul_f32_e32 v134, v18, v18
	v_fmamk_f32 v135, v134, 0xbbbac73d, v123
	v_fmaak_f32 v135, v134, v135, 0xbd5c1c4e
	v_fmaak_f32 v135, v134, v135, 0x3e088382
	;; [unrolled: 1-line block ×3, first 2 shown]
	v_mul_f32_e64 v135, |v18|, v135
	v_fma_f32 v134, v134, v135, |v18|
; %bb.748:                              ;   in Loop: Header=BB25_688 Depth=1
	s_or_b64 exec, exec, s[0:1]
	v_cmp_nlt_f32_e64 s[0:1], |v19|, s10
                                        ; implicit-def: $vgpr135
	s_and_saveexec_b64 s[18:19], s[0:1]
	s_xor_b64 s[0:1], exec, s[18:19]
	s_cbranch_execz .LBB25_750
; %bb.749:                              ;   in Loop: Header=BB25_688 Depth=1
	v_add_f32_e64 v135, |v19|, |v19|
	v_mul_f32_e32 v136, 0x3fb8aa3b, v135
	v_rndne_f32_e32 v137, v136
	v_sub_f32_e32 v138, v136, v137
	v_fma_f32 v136, v135, s11, -v136
	v_fmac_f32_e32 v136, 0x32a5705f, v135
	v_add_f32_e32 v136, v138, v136
	v_cvt_i32_f32_e32 v137, v137
	v_exp_f32_e32 v136, v136
	v_cmp_ngt_f32_e32 vcc, s12, v135
	v_ldexp_f32 v136, v136, v137
	s_nop 0
	v_cndmask_b32_e32 v136, 0, v136, vcc
	v_cmp_nlt_f32_e32 vcc, s13, v135
	s_nop 1
	v_cndmask_b32_e32 v135, v127, v136, vcc
	v_add_f32_e32 v135, 1.0, v135
	v_rcp_f32_e32 v135, v135
	s_nop 0
	v_fma_f32 v135, v135, -2.0, 1.0
.LBB25_750:                             ;   in Loop: Header=BB25_688 Depth=1
	s_andn2_saveexec_b64 s[0:1], s[0:1]
; %bb.751:                              ;   in Loop: Header=BB25_688 Depth=1
	v_mul_f32_e32 v135, v19, v19
	v_fmamk_f32 v136, v135, 0xbbbac73d, v123
	v_fmaak_f32 v136, v135, v136, 0xbd5c1c4e
	v_fmaak_f32 v136, v135, v136, 0x3e088382
	;; [unrolled: 1-line block ×3, first 2 shown]
	v_mul_f32_e64 v136, |v19|, v136
	v_fma_f32 v135, v135, v136, |v19|
; %bb.752:                              ;   in Loop: Header=BB25_688 Depth=1
	s_or_b64 exec, exec, s[0:1]
	v_bfi_b32 v132, s14, v132, v16
	v_bfi_b32 v133, s14, v133, v17
	;; [unrolled: 1-line block ×7, first 2 shown]
	ds_read_b32 v26, v117 offset:17408
	ds_read_b32 v70, v118 offset:17408
	ds_read2_b32 v[16:17], v124 offset1:1
	v_bfi_b32 v23, s14, v73, v23
	v_bfi_b32 v21, s14, v71, v21
	;; [unrolled: 1-line block ×4, first 2 shown]
	s_waitcnt lgkmcnt(2)
	v_fma_mix_f32 v72, s33, v20, v26 op_sel_hi:[0,0,1]
	v_fma_mix_f32 v26, s33, v21, v26 op_sel:[0,0,1] op_sel_hi:[0,0,1]
	s_waitcnt lgkmcnt(1)
	v_fma_mix_f32 v22, s33, v22, v70 op_sel_hi:[0,0,1]
	v_fma_mix_f32 v23, s33, v23, v70 op_sel:[0,0,1] op_sel_hi:[0,0,1]
	s_waitcnt lgkmcnt(0)
	v_fma_mix_f32 v70, s33, v18, v16 op_sel_hi:[0,0,1]
	ds_read2_b32 v[18:19], v125 offset1:1
	ds_read2_b32 v[20:21], v126 offset1:1
	v_bfi_b32 v31, s14, v131, v31
	v_bfi_b32 v28, s14, v96, v28
	;; [unrolled: 1-line block ×5, first 2 shown]
	v_fma_mix_f32 v24, s33, v24, v16 op_sel:[0,0,1] op_sel_hi:[0,0,1]
	v_fma_mix_f32 v25, s33, v25, v17 op_sel_hi:[0,0,1]
	v_fma_mix_f32 v27, s33, v27, v17 op_sel:[0,0,1] op_sel_hi:[0,0,1]
	s_waitcnt lgkmcnt(1)
	v_fma_mix_f32 v28, s33, v28, v18 op_sel_hi:[0,0,1]
	v_fma_mix_f32 v29, s33, v29, v18 op_sel:[0,0,1] op_sel_hi:[0,0,1]
	v_fma_mix_f32 v30, s33, v30, v19 op_sel_hi:[0,0,1]
	v_fma_mix_f32 v19, s33, v31, v19 op_sel:[0,0,1] op_sel_hi:[0,0,1]
	s_waitcnt lgkmcnt(0)
	v_fma_mix_f32 v31, s33, v132, v20 op_sel_hi:[0,0,1]
	v_fma_mix_f32 v18, s33, v133, v20 op_sel:[0,0,1] op_sel_hi:[0,0,1]
	v_fma_mix_f32 v17, s33, v134, v21 op_sel_hi:[0,0,1]
	v_fma_mix_f32 v16, s33, v71, v21 op_sel:[0,0,1] op_sel_hi:[0,0,1]
	v_add_f32_e32 v20, 0x40051340, v72
	v_add_f32_e32 v21, 0x40051340, v26
	v_max3_f32 v20, v32, v20, v21
	v_add_f32_e32 v21, 0x40051340, v22
	v_add_f32_e32 v71, 0x40051340, v23
	v_max3_f32 v20, v20, v21, v71
	;; [unrolled: 3-line block ×8, first 2 shown]
	ds_bpermute_b32 v21, v119, v20
	s_mul_hi_i32 s1, s8, s26
	s_mul_i32 s0, s8, s26
	s_lshl_b64 s[0:1], s[0:1], 2
	s_add_u32 s0, s2, s0
	s_waitcnt lgkmcnt(0)
	v_max_f32_e32 v21, v21, v21
	v_max_f32_e32 v20, v20, v21
	ds_bpermute_b32 v21, v120, v20
	s_addc_u32 s1, s3, s1
	s_add_i32 s52, s52, 1
	s_add_i32 s8, s8, 64
	s_waitcnt lgkmcnt(0)
	v_max_f32_e32 v21, v21, v21
	v_max_f32_e32 v96, v20, v21
	v_sub_f32_e32 v20, v72, v96
	v_mul_f32_e32 v21, 0x3fb8aa3b, v20
	v_fma_f32 v71, v20, s11, -v21
	v_rndne_f32_e32 v72, v21
	v_fmac_f32_e32 v71, 0x32a5705f, v20
	v_sub_f32_e32 v21, v21, v72
	v_add_f32_e32 v21, v21, v71
	v_exp_f32_e32 v21, v21
	v_cvt_i32_f32_e32 v71, v72
	v_sub_f32_e32 v26, v26, v96
	v_cmp_ngt_f32_e32 vcc, s12, v20
	v_sub_f32_e32 v19, v19, v96
	v_ldexp_f32 v21, v21, v71
	v_mul_f32_e32 v71, 0x3fb8aa3b, v26
	v_fma_f32 v72, v26, s11, -v71
	v_rndne_f32_e32 v73, v71
	v_fmac_f32_e32 v72, 0x32a5705f, v26
	v_sub_f32_e32 v71, v71, v73
	v_add_f32_e32 v71, v71, v72
	v_exp_f32_e32 v71, v71
	v_cvt_i32_f32_e32 v72, v73
	v_cndmask_b32_e32 v21, 0, v21, vcc
	v_cmp_nlt_f32_e32 vcc, s13, v20
	v_sub_f32_e32 v75, v31, v96
	v_ldexp_f32 v20, v71, v72
	v_cndmask_b32_e32 v138, v127, v21, vcc
	v_sub_f32_e32 v21, v22, v96
	v_mul_f32_e32 v22, 0x3fb8aa3b, v21
	v_fma_f32 v71, v21, s11, -v22
	v_rndne_f32_e32 v72, v22
	v_fmac_f32_e32 v71, 0x32a5705f, v21
	v_sub_f32_e32 v22, v22, v72
	v_add_f32_e32 v22, v22, v71
	v_exp_f32_e32 v22, v22
	v_cvt_i32_f32_e32 v71, v72
	v_cmp_ngt_f32_e32 vcc, s12, v26
	v_mul_f32_e32 v76, 0x3fb8aa3b, v75
	v_fma_f32 v77, v75, s11, -v76
	v_cndmask_b32_e32 v20, 0, v20, vcc
	v_cmp_nlt_f32_e32 vcc, s13, v26
	v_rndne_f32_e32 v129, v76
	v_fmac_f32_e32 v77, 0x32a5705f, v75
	v_cndmask_b32_e32 v139, v127, v20, vcc
	v_ldexp_f32 v20, v22, v71
	v_sub_f32_e32 v22, v23, v96
	v_mul_f32_e32 v23, 0x3fb8aa3b, v22
	v_fma_f32 v26, v22, s11, -v23
	v_rndne_f32_e32 v71, v23
	v_fmac_f32_e32 v26, 0x32a5705f, v22
	v_sub_f32_e32 v23, v23, v71
	v_add_f32_e32 v23, v23, v26
	v_exp_f32_e32 v23, v23
	v_cvt_i32_f32_e32 v26, v71
	v_cmp_ngt_f32_e32 vcc, s12, v21
	v_sub_f32_e32 v76, v76, v129
	v_add_f32_e32 v76, v76, v77
	v_cndmask_b32_e32 v20, 0, v20, vcc
	v_cmp_nlt_f32_e32 vcc, s13, v21
	v_sub_f32_e32 v21, v70, v96
	v_exp_f32_e32 v76, v76
	v_cndmask_b32_e32 v140, v127, v20, vcc
	v_ldexp_f32 v20, v23, v26
	v_mul_f32_e32 v23, 0x3fb8aa3b, v21
	v_fma_f32 v26, v21, s11, -v23
	v_rndne_f32_e32 v70, v23
	v_fmac_f32_e32 v26, 0x32a5705f, v21
	v_sub_f32_e32 v23, v23, v70
	v_add_f32_e32 v23, v23, v26
	v_exp_f32_e32 v23, v23
	v_cvt_i32_f32_e32 v26, v70
	v_cmp_ngt_f32_e32 vcc, s12, v22
	v_cvt_i32_f32_e32 v77, v129
	v_sub_f32_e32 v18, v18, v96
	v_cndmask_b32_e32 v20, 0, v20, vcc
	v_cmp_nlt_f32_e32 vcc, s13, v22
	v_sub_f32_e32 v22, v24, v96
	v_sub_f32_e32 v17, v17, v96
	v_cndmask_b32_e32 v143, v127, v20, vcc
	v_ldexp_f32 v20, v23, v26
	v_mul_f32_e32 v23, 0x3fb8aa3b, v22
	v_fma_f32 v24, v22, s11, -v23
	v_rndne_f32_e32 v26, v23
	v_fmac_f32_e32 v24, 0x32a5705f, v22
	v_sub_f32_e32 v23, v23, v26
	v_add_f32_e32 v23, v23, v24
	v_exp_f32_e32 v23, v23
	v_cvt_i32_f32_e32 v24, v26
	v_cmp_ngt_f32_e32 vcc, s12, v21
	v_sub_f32_e32 v16, v16, v96
	v_sub_f32_e32 v32, v32, v96
	v_cndmask_b32_e32 v20, 0, v20, vcc
	v_cmp_nlt_f32_e32 vcc, s13, v21
	v_sub_f32_e32 v21, v25, v96
	s_nop 0
	v_cndmask_b32_e32 v145, v127, v20, vcc
	v_ldexp_f32 v20, v23, v24
	v_mul_f32_e32 v23, 0x3fb8aa3b, v21
	v_fma_f32 v24, v21, s11, -v23
	v_rndne_f32_e32 v25, v23
	v_fmac_f32_e32 v24, 0x32a5705f, v21
	v_sub_f32_e32 v23, v23, v25
	v_add_f32_e32 v23, v23, v24
	v_exp_f32_e32 v23, v23
	v_cvt_i32_f32_e32 v24, v25
	v_cmp_ngt_f32_e32 vcc, s12, v22
	s_nop 1
	v_cndmask_b32_e32 v20, 0, v20, vcc
	v_cmp_nlt_f32_e32 vcc, s13, v22
	v_sub_f32_e32 v22, v27, v96
	s_nop 0
	v_cndmask_b32_e32 v134, v127, v20, vcc
	v_ldexp_f32 v20, v23, v24
	v_mul_f32_e32 v23, 0x3fb8aa3b, v22
	v_fma_f32 v24, v22, s11, -v23
	v_rndne_f32_e32 v25, v23
	v_fmac_f32_e32 v24, 0x32a5705f, v22
	v_sub_f32_e32 v23, v23, v25
	v_add_f32_e32 v23, v23, v24
	v_exp_f32_e32 v23, v23
	v_cvt_i32_f32_e32 v24, v25
	v_cmp_ngt_f32_e32 vcc, s12, v21
	s_nop 1
	v_cndmask_b32_e32 v20, 0, v20, vcc
	v_cmp_nlt_f32_e32 vcc, s13, v21
	v_sub_f32_e32 v21, v28, v96
	s_nop 0
	v_cndmask_b32_e32 v136, v127, v20, vcc
	v_ldexp_f32 v20, v23, v24
	v_mul_f32_e32 v23, 0x3fb8aa3b, v21
	v_fma_f32 v24, v21, s11, -v23
	v_rndne_f32_e32 v25, v23
	v_fmac_f32_e32 v24, 0x32a5705f, v21
	v_sub_f32_e32 v23, v23, v25
	v_add_f32_e32 v23, v23, v24
	v_exp_f32_e32 v23, v23
	v_cvt_i32_f32_e32 v24, v25
	v_cmp_ngt_f32_e32 vcc, s12, v22
	s_nop 1
	v_cndmask_b32_e32 v20, 0, v20, vcc
	v_cmp_nlt_f32_e32 vcc, s13, v22
	v_sub_f32_e32 v22, v29, v96
	s_nop 0
	v_cndmask_b32_e32 v137, v127, v20, vcc
	v_ldexp_f32 v20, v23, v24
	v_mul_f32_e32 v23, 0x3fb8aa3b, v22
	v_fma_f32 v24, v22, s11, -v23
	v_rndne_f32_e32 v25, v23
	v_fmac_f32_e32 v24, 0x32a5705f, v22
	v_sub_f32_e32 v23, v23, v25
	v_add_f32_e32 v23, v23, v24
	v_exp_f32_e32 v23, v23
	v_cvt_i32_f32_e32 v24, v25
	v_cmp_ngt_f32_e32 vcc, s12, v21
	s_nop 1
	v_cndmask_b32_e32 v20, 0, v20, vcc
	v_cmp_nlt_f32_e32 vcc, s13, v21
	v_sub_f32_e32 v21, v30, v96
	s_nop 0
	v_cndmask_b32_e32 v132, v127, v20, vcc
	v_ldexp_f32 v20, v23, v24
	v_mul_f32_e32 v23, 0x3fb8aa3b, v21
	v_fma_f32 v24, v21, s11, -v23
	v_rndne_f32_e32 v25, v23
	v_fmac_f32_e32 v24, 0x32a5705f, v21
	v_sub_f32_e32 v23, v23, v25
	v_add_f32_e32 v23, v23, v24
	v_exp_f32_e32 v23, v23
	v_cvt_i32_f32_e32 v24, v25
	v_cmp_ngt_f32_e32 vcc, s12, v22
	s_nop 1
	v_cndmask_b32_e32 v20, 0, v20, vcc
	v_cmp_nlt_f32_e32 vcc, s13, v22
	v_mul_f32_e32 v22, 0x3fb8aa3b, v19
	s_nop 0
	v_cndmask_b32_e32 v133, v127, v20, vcc
	v_ldexp_f32 v20, v23, v24
	v_fma_f32 v23, v19, s11, -v22
	v_rndne_f32_e32 v24, v22
	v_fmac_f32_e32 v23, 0x32a5705f, v19
	v_sub_f32_e32 v22, v22, v24
	v_add_f32_e32 v22, v22, v23
	v_exp_f32_e32 v22, v22
	v_cvt_i32_f32_e32 v23, v24
	v_cmp_ngt_f32_e32 vcc, s12, v21
	v_ldexp_f32 v74, v22, v23
	v_lshl_add_u64 v[22:23], v[64:65], 2, s[0:1]
	v_cndmask_b32_e32 v20, 0, v20, vcc
	v_cmp_nlt_f32_e32 vcc, s13, v21
	v_lshl_add_u64 v[24:25], v[22:23], 0, v[58:59]
	v_lshl_add_u64 v[22:23], v[66:67], 2, s[0:1]
	v_cndmask_b32_e32 v135, v127, v20, vcc
	v_lshl_add_u64 v[20:21], v[62:63], 2, s[0:1]
	v_lshl_add_u64 v[28:29], v[22:23], 0, v[58:59]
	;; [unrolled: 1-line block ×5, first 2 shown]
	global_load_dwordx4 v[20:23], v[20:21], off
	s_nop 0
	global_load_dwordx4 v[24:27], v[24:25], off
	s_nop 0
	;; [unrolled: 2-line block ×3, first 2 shown]
	global_load_dwordx4 v[70:73], v[70:71], off
	v_cmp_ngt_f32_e32 vcc, s12, v19
	v_cmp_ngt_f32_e64 s[0:1], s12, v32
	s_waitcnt vmcnt(3)
	ds_write_b128 v112, v[20:23]
	s_waitcnt vmcnt(2)
	ds_write_b128 v113, v[24:27]
	;; [unrolled: 2-line block ×4, first 2 shown]
	v_cndmask_b32_e32 v74, 0, v74, vcc
	v_cmp_nlt_f32_e32 vcc, s13, v19
	v_ldexp_f32 v19, v76, v77
	s_waitcnt lgkmcnt(0)
	v_cndmask_b32_e32 v141, v127, v74, vcc
	v_mul_f32_e32 v74, 0x3fb8aa3b, v18
	v_fma_f32 v76, v18, s11, -v74
	v_rndne_f32_e32 v77, v74
	v_fmac_f32_e32 v76, 0x32a5705f, v18
	v_sub_f32_e32 v74, v74, v77
	v_add_f32_e32 v74, v74, v76
	v_exp_f32_e32 v74, v74
	v_cvt_i32_f32_e32 v76, v77
	v_cmp_ngt_f32_e32 vcc, s12, v75
	s_barrier
	s_nop 0
	v_cndmask_b32_e32 v19, 0, v19, vcc
	v_cmp_nlt_f32_e32 vcc, s13, v75
	ds_read_u16 v20, v121 offset:272
	ds_read_u16 v21, v121 offset:544
	ds_read_u16 v22, v122
	ds_read_u16 v23, v121
	v_cndmask_b32_e32 v142, v127, v19, vcc
	v_ldexp_f32 v19, v74, v76
	v_mul_f32_e32 v74, 0x3fb8aa3b, v17
	v_fma_f32 v75, v17, s11, -v74
	v_rndne_f32_e32 v76, v74
	v_fmac_f32_e32 v75, 0x32a5705f, v17
	v_sub_f32_e32 v74, v74, v76
	v_add_f32_e32 v74, v74, v75
	v_exp_f32_e32 v74, v74
	v_cvt_i32_f32_e32 v75, v76
	v_cmp_ngt_f32_e32 vcc, s12, v18
	s_waitcnt lgkmcnt(1)
	v_perm_b32 v21, v22, v21, s16
	s_waitcnt lgkmcnt(0)
	v_perm_b32 v20, v20, v23, s16
	v_cndmask_b32_e32 v19, 0, v19, vcc
	v_cmp_nlt_f32_e32 vcc, s13, v18
	v_ldexp_f32 v18, v74, v75
	v_cvt_pk_f16_f32 v77, v140, v143
	v_cndmask_b32_e32 v144, v127, v19, vcc
	v_cmp_ngt_f32_e32 vcc, s12, v17
	v_cvt_pk_f16_f32 v73, v135, v141
	v_cvt_pk_f16_f32 v72, v132, v133
	v_cndmask_b32_e32 v18, 0, v18, vcc
	v_cmp_nlt_f32_e32 vcc, s13, v17
	v_mul_f32_e32 v17, 0x3fb8aa3b, v16
	v_fma_f32 v19, v16, s11, -v17
	v_rndne_f32_e32 v74, v17
	v_fmac_f32_e32 v19, 0x32a5705f, v16
	v_sub_f32_e32 v17, v17, v74
	v_add_f32_e32 v17, v17, v19
	v_cvt_i32_f32_e32 v19, v74
	v_mul_f32_e32 v74, 0x3fb8aa3b, v32
	v_fma_f32 v75, v32, s11, -v74
	v_rndne_f32_e32 v76, v74
	v_fmac_f32_e32 v75, 0x32a5705f, v32
	v_sub_f32_e32 v74, v74, v76
	v_add_f32_e32 v74, v74, v75
	v_exp_f32_e32 v74, v74
	v_cvt_i32_f32_e32 v75, v76
	v_cndmask_b32_e32 v129, v127, v18, vcc
	v_exp_f32_e32 v17, v17
	v_cmp_ngt_f32_e32 vcc, s12, v16
	v_ldexp_f32 v18, v74, v75
	v_cndmask_b32_e64 v18, 0, v18, s[0:1]
	v_cmp_nlt_f32_e64 s[0:1], s13, v32
	v_ldexp_f32 v17, v17, v19
	v_cndmask_b32_e32 v17, 0, v17, vcc
	v_cndmask_b32_e64 v18, v127, v18, s[0:1]
	v_cmp_le_f32_e64 s[0:1], s15, v32
	v_cmp_nlt_f32_e32 vcc, s13, v16
	v_cvt_pk_f16_f32 v76, v138, v139
	v_cndmask_b32_e64 v130, 0, v18, s[0:1]
	v_cvt_f16_f32_e32 v18, v130
	v_cndmask_b32_e32 v131, v127, v17, vcc
	v_cvt_pk_f16_f32 v75, v136, v137
	v_cvt_pk_f16_f32 v74, v145, v134
	v_mul_u32_u24_e32 v146, 0x10001, v18
	v_pk_mul_f16 v17, v37, v146
	v_pk_mul_f16 v19, v35, v146
	v_cvt_f32_f16_e32 v16, v17
	v_cvt_f32_f16_sdwa v17, v17 dst_sel:DWORD dst_unused:UNUSED_PAD src0_sel:WORD_1
	v_cvt_f32_f16_e32 v18, v19
	v_cvt_f32_f16_sdwa v19, v19 dst_sel:DWORD dst_unused:UNUSED_PAD src0_sel:WORD_1
	v_pk_mul_f16 v22, v34, v146
	v_cvt_pk_f16_f32 v71, v129, v131
	v_mfma_f32_16x16x16_f16 v[16:19], v[20:21], v[76:77], v[16:19]
	ds_read_u16 v20, v121 offset:4352
	ds_read_u16 v21, v121 offset:4896
	;; [unrolled: 1-line block ×4, first 2 shown]
	v_cvt_pk_f16_f32 v70, v142, v144
	v_pk_mul_f16 v41, v41, v146
	s_nop 1
	v_cvt_f16_f32_e32 v16, v16
	v_cvt_f16_f32_e32 v17, v17
	;; [unrolled: 1-line block ×4, first 2 shown]
	s_waitcnt lgkmcnt(1)
	v_perm_b32 v21, v23, v21, s16
	s_waitcnt lgkmcnt(0)
	v_perm_b32 v20, v24, v20, s16
	v_cvt_f32_f16_e32 v16, v16
	v_cvt_f32_f16_e32 v17, v17
	;; [unrolled: 1-line block ×4, first 2 shown]
	v_pk_mul_f16 v23, v36, v146
	v_pk_mul_f16 v92, v92, v146
	v_mfma_f32_16x16x16_f16 v[16:19], v[20:21], v[74:75], v[16:19]
	ds_read_u16 v20, v121 offset:8704
	ds_read_u16 v21, v121 offset:9248
	;; [unrolled: 1-line block ×4, first 2 shown]
	v_pk_mul_f16 v91, v91, v146
	v_cmp_lt_i32_e32 vcc, s52, v107
	s_nop 1
	v_cvt_f16_f32_e32 v16, v16
	v_cvt_f16_f32_e32 v17, v17
	;; [unrolled: 1-line block ×4, first 2 shown]
	s_waitcnt lgkmcnt(1)
	v_perm_b32 v21, v24, v21, s16
	s_waitcnt lgkmcnt(0)
	v_perm_b32 v20, v25, v20, s16
	v_cvt_f32_f16_e32 v16, v16
	v_cvt_f32_f16_e32 v17, v17
	;; [unrolled: 1-line block ×4, first 2 shown]
	ds_read_u16 v24, v122 offset:32
	s_and_b64 vcc, exec, vcc
	v_mfma_f32_16x16x16_f16 v[16:19], v[20:21], v[72:73], v[16:19]
	ds_read_u16 v20, v121 offset:13056
	ds_read_u16 v21, v121 offset:13600
	ds_read_u16 v25, v122 offset:13056
	ds_read_u16 v26, v121 offset:13328
	s_nop 3
	v_cvt_f16_f32_e32 v16, v16
	v_cvt_f16_f32_e32 v17, v17
	v_cvt_f16_f32_e32 v18, v18
	v_cvt_f16_f32_e32 v19, v19
	s_waitcnt lgkmcnt(1)
	v_perm_b32 v21, v25, v21, s16
	s_waitcnt lgkmcnt(0)
	v_perm_b32 v20, v26, v20, s16
	ds_read_u16 v26, v121 offset:32
	ds_read_u16 v25, v121 offset:576
	;; [unrolled: 1-line block ×3, first 2 shown]
	v_cvt_f32_f16_e32 v16, v16
	v_cvt_f32_f16_e32 v17, v17
	;; [unrolled: 1-line block ×4, first 2 shown]
	s_waitcnt lgkmcnt(1)
	v_perm_b32 v25, v24, v25, s16
	s_waitcnt lgkmcnt(0)
	v_perm_b32 v24, v27, v26, s16
	v_mfma_f32_16x16x16_f16 v[16:19], v[20:21], v[70:71], v[16:19]
	v_cvt_f32_f16_e32 v20, v22
	v_cvt_f32_f16_sdwa v21, v22 dst_sel:DWORD dst_unused:UNUSED_PAD src0_sel:WORD_1
	v_cvt_f32_f16_e32 v22, v23
	v_cvt_f32_f16_sdwa v23, v23 dst_sel:DWORD dst_unused:UNUSED_PAD src0_sel:WORD_1
	s_nop 1
	v_mfma_f32_16x16x16_f16 v[20:23], v[24:25], v[76:77], v[20:23]
	ds_read_u16 v24, v121 offset:4384
	ds_read_u16 v25, v121 offset:4928
	;; [unrolled: 1-line block ×4, first 2 shown]
	s_nop 3
	v_cvt_f16_f32_e32 v20, v20
	v_cvt_f16_f32_e32 v21, v21
	;; [unrolled: 1-line block ×4, first 2 shown]
	s_waitcnt lgkmcnt(1)
	v_perm_b32 v25, v26, v25, s16
	s_waitcnt lgkmcnt(0)
	v_perm_b32 v24, v27, v24, s16
	v_cvt_f32_f16_e32 v20, v20
	v_cvt_f32_f16_e32 v21, v21
	;; [unrolled: 1-line block ×4, first 2 shown]
	s_nop 1
	v_mfma_f32_16x16x16_f16 v[20:23], v[24:25], v[74:75], v[20:23]
	ds_read_u16 v24, v121 offset:8736
	ds_read_u16 v25, v121 offset:9280
	;; [unrolled: 1-line block ×4, first 2 shown]
	s_nop 3
	v_cvt_f16_f32_e32 v20, v20
	v_cvt_f16_f32_e32 v21, v21
	;; [unrolled: 1-line block ×4, first 2 shown]
	s_waitcnt lgkmcnt(1)
	v_perm_b32 v25, v26, v25, s16
	s_waitcnt lgkmcnt(0)
	v_perm_b32 v24, v27, v24, s16
	v_cvt_f32_f16_e32 v20, v20
	v_cvt_f32_f16_e32 v21, v21
	;; [unrolled: 1-line block ×4, first 2 shown]
	s_nop 1
	v_mfma_f32_16x16x16_f16 v[20:23], v[24:25], v[72:73], v[20:23]
	ds_read_u16 v24, v121 offset:13088
	ds_read_u16 v25, v121 offset:13632
	;; [unrolled: 1-line block ×8, first 2 shown]
	v_cvt_f16_f32_e32 v20, v20
	v_cvt_f16_f32_e32 v21, v21
	;; [unrolled: 1-line block ×4, first 2 shown]
	s_waitcnt lgkmcnt(5)
	v_perm_b32 v25, v26, v25, s16
	s_waitcnt lgkmcnt(4)
	v_perm_b32 v24, v27, v24, s16
	v_cvt_f32_f16_e32 v20, v20
	v_cvt_f32_f16_e32 v21, v21
	;; [unrolled: 1-line block ×4, first 2 shown]
	v_pk_mul_f16 v26, v110, v146
	v_pk_mul_f16 v27, v108, v146
	s_waitcnt lgkmcnt(1)
	v_perm_b32 v29, v30, v29, s16
	s_waitcnt lgkmcnt(0)
	v_perm_b32 v28, v31, v28, s16
	v_mfma_f32_16x16x16_f16 v[20:23], v[24:25], v[70:71], v[20:23]
	v_cvt_f32_f16_e32 v24, v26
	v_cvt_f32_f16_sdwa v25, v26 dst_sel:DWORD dst_unused:UNUSED_PAD src0_sel:WORD_1
	v_cvt_f32_f16_e32 v26, v27
	v_cvt_f32_f16_sdwa v27, v27 dst_sel:DWORD dst_unused:UNUSED_PAD src0_sel:WORD_1
	s_nop 1
	v_mfma_f32_16x16x16_f16 v[24:27], v[28:29], v[76:77], v[24:27]
	ds_read_u16 v28, v121 offset:4416
	ds_read_u16 v29, v121 offset:4960
	;; [unrolled: 1-line block ×4, first 2 shown]
	s_nop 3
	v_cvt_f16_f32_e32 v24, v24
	v_cvt_f16_f32_e32 v25, v25
	;; [unrolled: 1-line block ×4, first 2 shown]
	s_waitcnt lgkmcnt(1)
	v_perm_b32 v29, v30, v29, s16
	s_waitcnt lgkmcnt(0)
	v_perm_b32 v28, v31, v28, s16
	v_cvt_f32_f16_e32 v24, v24
	v_cvt_f32_f16_e32 v25, v25
	;; [unrolled: 1-line block ×4, first 2 shown]
	s_nop 1
	v_mfma_f32_16x16x16_f16 v[24:27], v[28:29], v[74:75], v[24:27]
	ds_read_u16 v28, v121 offset:8768
	ds_read_u16 v29, v121 offset:9312
	;; [unrolled: 1-line block ×4, first 2 shown]
	s_nop 3
	v_cvt_f16_f32_e32 v24, v24
	v_cvt_f16_f32_e32 v25, v25
	;; [unrolled: 1-line block ×4, first 2 shown]
	s_waitcnt lgkmcnt(1)
	v_perm_b32 v29, v30, v29, s16
	s_waitcnt lgkmcnt(0)
	v_perm_b32 v28, v31, v28, s16
	v_cvt_f32_f16_e32 v24, v24
	v_cvt_f32_f16_e32 v25, v25
	;; [unrolled: 1-line block ×4, first 2 shown]
	s_nop 1
	v_mfma_f32_16x16x16_f16 v[24:27], v[28:29], v[72:73], v[24:27]
	ds_read_u16 v28, v121 offset:13120
	ds_read_u16 v29, v121 offset:13664
	;; [unrolled: 1-line block ×8, first 2 shown]
	v_cvt_f16_f32_e32 v24, v24
	v_cvt_f16_f32_e32 v25, v25
	;; [unrolled: 1-line block ×4, first 2 shown]
	s_waitcnt lgkmcnt(5)
	v_perm_b32 v29, v30, v29, s16
	s_waitcnt lgkmcnt(4)
	v_perm_b32 v28, v31, v28, s16
	v_cvt_f32_f16_e32 v24, v24
	v_cvt_f32_f16_e32 v25, v25
	;; [unrolled: 1-line block ×4, first 2 shown]
	v_pk_mul_f16 v30, v98, v146
	v_pk_mul_f16 v31, v43, v146
	s_waitcnt lgkmcnt(1)
	v_perm_b32 v35, v35, v34, s16
	s_waitcnt lgkmcnt(0)
	v_perm_b32 v34, v36, v32, s16
	v_mfma_f32_16x16x16_f16 v[24:27], v[28:29], v[70:71], v[24:27]
	v_cvt_f32_f16_e32 v28, v30
	v_cvt_f32_f16_sdwa v29, v30 dst_sel:DWORD dst_unused:UNUSED_PAD src0_sel:WORD_1
	v_cvt_f32_f16_e32 v30, v31
	v_cvt_f32_f16_sdwa v31, v31 dst_sel:DWORD dst_unused:UNUSED_PAD src0_sel:WORD_1
	s_nop 1
	v_mfma_f32_16x16x16_f16 v[28:31], v[34:35], v[76:77], v[28:31]
	ds_read_u16 v32, v121 offset:4448
	ds_read_u16 v34, v121 offset:4992
	ds_read_u16 v35, v122 offset:4448
	ds_read_u16 v36, v121 offset:4720
	s_nop 3
	v_cvt_f16_f32_e32 v28, v28
	v_cvt_f16_f32_e32 v29, v29
	v_cvt_f16_f32_e32 v30, v30
	v_cvt_f16_f32_e32 v31, v31
	s_waitcnt lgkmcnt(1)
	v_perm_b32 v35, v35, v34, s16
	s_waitcnt lgkmcnt(0)
	v_perm_b32 v34, v36, v32, s16
	v_cvt_f32_f16_e32 v28, v28
	v_cvt_f32_f16_e32 v29, v29
	v_cvt_f32_f16_e32 v30, v30
	v_cvt_f32_f16_e32 v31, v31
	s_nop 1
	v_mfma_f32_16x16x16_f16 v[28:31], v[34:35], v[74:75], v[28:31]
	ds_read_u16 v32, v121 offset:8800
	ds_read_u16 v34, v121 offset:9344
	ds_read_u16 v35, v122 offset:8800
	ds_read_u16 v36, v121 offset:9072
	s_nop 3
	v_cvt_f16_f32_e32 v28, v28
	v_cvt_f16_f32_e32 v29, v29
	v_cvt_f16_f32_e32 v30, v30
	v_cvt_f16_f32_e32 v31, v31
	s_waitcnt lgkmcnt(1)
	v_perm_b32 v35, v35, v34, s16
	s_waitcnt lgkmcnt(0)
	v_perm_b32 v34, v36, v32, s16
	v_cvt_f32_f16_e32 v28, v28
	v_cvt_f32_f16_e32 v29, v29
	v_cvt_f32_f16_e32 v30, v30
	v_cvt_f32_f16_e32 v31, v31
	;; [unrolled: 19-line block ×3, first 2 shown]
	v_pk_mul_f16 v36, v39, v146
	v_pk_mul_f16 v39, v33, v146
	v_mfma_f32_16x16x16_f16 v[28:31], v[34:35], v[70:71], v[28:31]
	ds_read_u16 v35, v121 offset:128
	ds_read_u16 v37, v121 offset:672
	;; [unrolled: 1-line block ×4, first 2 shown]
	v_cvt_f32_f16_e32 v32, v36
	v_cvt_f32_f16_sdwa v33, v36 dst_sel:DWORD dst_unused:UNUSED_PAD src0_sel:WORD_1
	v_cvt_f32_f16_e32 v34, v39
	s_waitcnt lgkmcnt(1)
	v_perm_b32 v37, v43, v37, s16
	s_waitcnt lgkmcnt(0)
	v_perm_b32 v36, v98, v35, s16
	v_cvt_f32_f16_sdwa v35, v39 dst_sel:DWORD dst_unused:UNUSED_PAD src0_sel:WORD_1
	v_pk_mul_f16 v98, v38, v146
	s_nop 0
	v_mfma_f32_16x16x16_f16 v[32:35], v[36:37], v[76:77], v[32:35]
	ds_read_u16 v36, v121 offset:4480
	ds_read_u16 v37, v121 offset:5024
	;; [unrolled: 1-line block ×4, first 2 shown]
	v_cvt_f32_f16_e32 v38, v98
	s_nop 2
	v_cvt_f16_f32_e32 v32, v32
	v_cvt_f16_f32_e32 v33, v33
	;; [unrolled: 1-line block ×4, first 2 shown]
	s_waitcnt lgkmcnt(1)
	v_perm_b32 v37, v39, v37, s16
	s_waitcnt lgkmcnt(0)
	v_perm_b32 v36, v43, v36, s16
	v_cvt_f32_f16_e32 v32, v32
	v_cvt_f32_f16_e32 v33, v33
	v_cvt_f32_f16_e32 v34, v34
	v_cvt_f32_f16_e32 v35, v35
	s_nop 1
	v_mfma_f32_16x16x16_f16 v[32:35], v[36:37], v[74:75], v[32:35]
	ds_read_u16 v36, v121 offset:8832
	ds_read_u16 v37, v121 offset:9376
	;; [unrolled: 1-line block ×4, first 2 shown]
	s_nop 3
	v_cvt_f16_f32_e32 v32, v32
	v_cvt_f16_f32_e32 v33, v33
	;; [unrolled: 1-line block ×4, first 2 shown]
	s_waitcnt lgkmcnt(1)
	v_perm_b32 v37, v39, v37, s16
	s_waitcnt lgkmcnt(0)
	v_perm_b32 v36, v43, v36, s16
	v_cvt_f32_f16_e32 v32, v32
	v_cvt_f32_f16_e32 v33, v33
	;; [unrolled: 1-line block ×4, first 2 shown]
	s_nop 1
	v_mfma_f32_16x16x16_f16 v[32:35], v[36:37], v[72:73], v[32:35]
	ds_read_u16 v36, v121 offset:13184
	ds_read_u16 v37, v121 offset:13728
	;; [unrolled: 1-line block ×4, first 2 shown]
	s_nop 3
	v_cvt_f16_f32_e32 v32, v32
	v_cvt_f16_f32_e32 v33, v33
	;; [unrolled: 1-line block ×4, first 2 shown]
	s_waitcnt lgkmcnt(1)
	v_perm_b32 v37, v39, v37, s16
	s_waitcnt lgkmcnt(0)
	v_perm_b32 v36, v43, v36, s16
	v_pk_mul_f16 v39, v42, v146
	ds_read_u16 v42, v121 offset:160
	ds_read_u16 v43, v121 offset:704
	;; [unrolled: 1-line block ×4, first 2 shown]
	v_cvt_f32_f16_e32 v32, v32
	v_cvt_f32_f16_e32 v33, v33
	;; [unrolled: 1-line block ×4, first 2 shown]
	s_waitcnt lgkmcnt(1)
	v_perm_b32 v43, v108, v43, s16
	s_waitcnt lgkmcnt(0)
	v_perm_b32 v42, v110, v42, s16
	v_mfma_f32_16x16x16_f16 v[32:35], v[36:37], v[70:71], v[32:35]
	v_cvt_f32_f16_e32 v36, v39
	v_cvt_f32_f16_sdwa v37, v39 dst_sel:DWORD dst_unused:UNUSED_PAD src0_sel:WORD_1
	v_cvt_f32_f16_sdwa v39, v98 dst_sel:DWORD dst_unused:UNUSED_PAD src0_sel:WORD_1
	s_nop 1
	v_mfma_f32_16x16x16_f16 v[36:39], v[42:43], v[76:77], v[36:39]
	ds_read_u16 v42, v121 offset:4512
	ds_read_u16 v43, v121 offset:5056
	ds_read_u16 v98, v122 offset:4512
	ds_read_u16 v108, v121 offset:4784
	s_nop 3
	v_cvt_f16_f32_e32 v36, v36
	v_cvt_f16_f32_e32 v37, v37
	v_cvt_f16_f32_e32 v38, v38
	v_cvt_f16_f32_e32 v39, v39
	s_waitcnt lgkmcnt(1)
	v_perm_b32 v43, v98, v43, s16
	s_waitcnt lgkmcnt(0)
	v_perm_b32 v42, v108, v42, s16
	v_cvt_f32_f16_e32 v36, v36
	v_cvt_f32_f16_e32 v37, v37
	v_cvt_f32_f16_e32 v38, v38
	v_cvt_f32_f16_e32 v39, v39
	s_nop 1
	v_mfma_f32_16x16x16_f16 v[36:39], v[42:43], v[74:75], v[36:39]
	ds_read_u16 v42, v121 offset:8864
	ds_read_u16 v43, v121 offset:9408
	ds_read_u16 v98, v122 offset:8864
	ds_read_u16 v108, v121 offset:9136
	s_nop 3
	v_cvt_f16_f32_e32 v36, v36
	v_cvt_f16_f32_e32 v37, v37
	v_cvt_f16_f32_e32 v38, v38
	v_cvt_f16_f32_e32 v39, v39
	s_waitcnt lgkmcnt(1)
	v_perm_b32 v43, v98, v43, s16
	s_waitcnt lgkmcnt(0)
	v_perm_b32 v42, v108, v42, s16
	v_cvt_f32_f16_e32 v36, v36
	v_cvt_f32_f16_e32 v37, v37
	v_cvt_f32_f16_e32 v38, v38
	v_cvt_f32_f16_e32 v39, v39
	;; [unrolled: 19-line block ×3, first 2 shown]
	v_pk_mul_f16 v98, v40, v146
	v_cvt_f32_f16_e32 v40, v41
	v_mfma_f32_16x16x16_f16 v[36:39], v[42:43], v[70:71], v[36:39]
	ds_read_u16 v43, v121 offset:192
	ds_read_u16 v108, v121 offset:736
	;; [unrolled: 1-line block ×4, first 2 shown]
	v_cvt_f32_f16_sdwa v41, v41 dst_sel:DWORD dst_unused:UNUSED_PAD src0_sel:WORD_1
	v_cvt_f32_f16_e32 v42, v98
	v_cvt_f32_f16_e32 v146, v92
	s_waitcnt lgkmcnt(1)
	v_perm_b32 v149, v110, v108, s16
	s_waitcnt lgkmcnt(0)
	v_perm_b32 v148, v147, v43, s16
	v_cvt_f32_f16_sdwa v43, v98 dst_sel:DWORD dst_unused:UNUSED_PAD src0_sel:WORD_1
	ds_read_u16 v98, v121 offset:4544
	ds_read_u16 v108, v121 offset:5088
	ds_read_u16 v110, v122 offset:4544
	ds_read_u16 v147, v121 offset:4816
	v_mfma_f32_16x16x16_f16 v[40:43], v[148:149], v[76:77], v[40:43]
	s_waitcnt lgkmcnt(1)
	v_perm_b32 v149, v110, v108, s16
	s_waitcnt lgkmcnt(0)
	v_perm_b32 v148, v147, v98, s16
	ds_read_u16 v98, v121 offset:8896
	ds_read_u16 v108, v121 offset:9440
	;; [unrolled: 1-line block ×4, first 2 shown]
	v_cvt_f16_f32_e32 v40, v40
	v_cvt_f16_f32_e32 v41, v41
	;; [unrolled: 1-line block ×4, first 2 shown]
	v_cvt_f32_f16_e32 v40, v40
	v_cvt_f32_f16_e32 v41, v41
	v_cvt_f32_f16_e32 v42, v42
	v_cvt_f32_f16_e32 v43, v43
	v_cvt_pk_f16_f32 v38, v38, v39
	v_cvt_pk_f16_f32 v39, v32, v33
	v_mfma_f32_16x16x16_f16 v[40:43], v[148:149], v[74:75], v[40:43]
	s_waitcnt lgkmcnt(1)
	v_perm_b32 v149, v110, v108, s16
	s_waitcnt lgkmcnt(0)
	v_perm_b32 v148, v147, v98, s16
	v_add_f32_e32 v98, v138, v139
	v_add_f32_e32 v98, v140, v98
	s_nop 1
	v_cvt_f16_f32_e32 v40, v40
	v_cvt_f16_f32_e32 v41, v41
	v_cvt_f16_f32_e32 v42, v42
	v_cvt_f16_f32_e32 v43, v43
	v_cvt_f32_f16_e32 v40, v40
	v_cvt_f32_f16_e32 v41, v41
	;; [unrolled: 1-line block ×4, first 2 shown]
	ds_read_u16 v108, v121 offset:13248
	ds_read_u16 v110, v121 offset:13792
	;; [unrolled: 1-line block ×4, first 2 shown]
	v_mfma_f32_16x16x16_f16 v[40:43], v[148:149], v[72:73], v[40:43]
	s_waitcnt lgkmcnt(1)
	v_perm_b32 v139, v138, v110, s16
	s_waitcnt lgkmcnt(0)
	v_perm_b32 v138, v140, v108, s16
	v_add_f32_e32 v98, v143, v98
	s_nop 2
	v_cvt_f16_f32_e32 v40, v40
	v_cvt_f16_f32_e32 v41, v41
	;; [unrolled: 1-line block ×4, first 2 shown]
	v_cvt_f32_f16_e32 v40, v40
	v_cvt_f32_f16_e32 v41, v41
	v_cvt_f32_f16_e32 v42, v42
	v_cvt_f32_f16_e32 v43, v43
	v_cvt_f32_f16_sdwa v147, v92 dst_sel:DWORD dst_unused:UNUSED_PAD src0_sel:WORD_1
	v_cvt_f32_f16_e32 v148, v91
	v_mfma_f32_16x16x16_f16 v[40:43], v[138:139], v[70:71], v[40:43]
	ds_read_u16 v108, v121 offset:224
	ds_read_u16 v110, v121 offset:768
	;; [unrolled: 1-line block ×4, first 2 shown]
	v_cvt_f32_f16_sdwa v149, v91 dst_sel:DWORD dst_unused:UNUSED_PAD src0_sel:WORD_1
	v_add_f32_e32 v98, v145, v98
	v_add_f32_e32 v91, v134, v98
	s_waitcnt lgkmcnt(1)
	v_perm_b32 v139, v138, v110, s16
	s_waitcnt lgkmcnt(0)
	v_perm_b32 v138, v140, v108, s16
	v_add_f32_e32 v91, v136, v91
	v_add_f32_e32 v91, v137, v91
	v_mfma_f32_16x16x16_f16 v[136:139], v[138:139], v[76:77], v[146:149]
	v_add_f32_e32 v91, v132, v91
	v_add_f32_e32 v91, v133, v91
	;; [unrolled: 1-line block ×3, first 2 shown]
	s_nop 4
	v_cvt_f16_f32_e32 v98, v139
	ds_read_u16 v108, v121 offset:4576
	ds_read_u16 v110, v121 offset:5120
	;; [unrolled: 1-line block ×4, first 2 shown]
	v_cvt_f16_f32_e32 v76, v136
	v_cvt_f16_f32_e32 v77, v137
	;; [unrolled: 1-line block ×3, first 2 shown]
	v_cvt_pk_f16_f32 v41, v40, v41
	v_cvt_f32_f16_e32 v136, v76
	v_cvt_f32_f16_e32 v137, v77
	s_waitcnt lgkmcnt(1)
	v_perm_b32 v77, v134, v110, s16
	s_waitcnt lgkmcnt(0)
	v_perm_b32 v76, v139, v108, s16
	v_cvt_f32_f16_e32 v138, v92
	v_cvt_f32_f16_e32 v139, v98
	v_cvt_pk_f16_f32 v40, v42, v43
	v_cvt_pk_f16_f32 v42, v36, v37
	v_mfma_f32_16x16x16_f16 v[74:77], v[76:77], v[74:75], v[136:139]
	v_cvt_pk_f16_f32 v33, v34, v35
	v_cvt_pk_f16_f32 v43, v30, v31
	;; [unrolled: 1-line block ×4, first 2 shown]
	s_nop 3
	v_cvt_f16_f32_e32 v92, v77
	ds_read_u16 v98, v121 offset:8928
	ds_read_u16 v77, v121 offset:9472
	;; [unrolled: 1-line block ×4, first 2 shown]
	v_cvt_f16_f32_e32 v76, v76
	v_cvt_f16_f32_e32 v74, v74
	;; [unrolled: 1-line block ×3, first 2 shown]
	s_waitcnt lgkmcnt(1)
	v_perm_b32 v77, v108, v77, s16
	v_cvt_f32_f16_e32 v134, v76
	s_waitcnt lgkmcnt(0)
	v_perm_b32 v76, v110, v98, s16
	v_cvt_f32_f16_e32 v132, v74
	v_cvt_f32_f16_e32 v133, v75
	;; [unrolled: 1-line block ×3, first 2 shown]
	v_add_f32_e32 v74, v141, v91
	v_add_f32_e32 v74, v142, v74
	v_mfma_f32_16x16x16_f16 v[132:135], v[76:77], v[72:73], v[132:135]
	ds_read_u16 v73, v121 offset:13280
	ds_read_u16 v91, v121 offset:13824
	;; [unrolled: 1-line block ×4, first 2 shown]
	v_add_f32_e32 v74, v144, v74
	v_cvt_pk_f16_f32 v110, v24, v25
	s_nop 1
	v_cvt_f16_f32_e32 v76, v133
	v_cvt_f16_f32_e32 v77, v134
	;; [unrolled: 1-line block ×4, first 2 shown]
	v_cvt_f32_f16_e32 v133, v76
	v_cvt_f32_f16_e32 v134, v77
	s_waitcnt lgkmcnt(1)
	v_perm_b32 v77, v92, v91, s16
	s_waitcnt lgkmcnt(0)
	v_perm_b32 v76, v98, v73, s16
	v_cvt_f32_f16_e32 v132, v75
	v_cvt_f32_f16_e32 v135, v72
	v_add_f32_e32 v72, v129, v74
	v_add_f32_e32 v72, v131, v72
	v_mfma_f32_16x16x16_f16 v[74:77], v[76:77], v[70:71], v[132:135]
	v_fmac_f32_e32 v72, v128, v130
	v_cvt_pk_f16_f32 v98, v28, v29
	v_cvt_pk_f16_f32 v108, v26, v27
	v_cvt_pk_f16_f32 v37, v16, v17
	s_nop 3
	v_cvt_pk_f16_f32 v92, v74, v75
	v_cvt_pk_f16_f32 v91, v76, v77
	;; [unrolled: 1-line block ×3, first 2 shown]
	s_barrier
	s_cbranch_vccz .LBB25_755
; %bb.753:                              ;   in Loop: Header=BB25_688 Depth=1
	v_mov_b32_e32 v128, v72
	v_mov_b32_e32 v32, v96
	s_branch .LBB25_688
.LBB25_754:
	v_readlane_b32 s24, v255, 4
	v_mov_b32_e32 v96, 0xfeffffff
	v_mov_b32_e32 v72, 0
	;; [unrolled: 1-line block ×18, first 2 shown]
	v_readlane_b32 s17, v255, 6
	v_readlane_b32 s25, v255, 5
	v_readlane_b32 s27, v255, 7
	s_branch .LBB25_756
.LBB25_755:
	v_mov_b64_e32 v[16:17], s[36:37]
.LBB25_756:
	s_lshl_b32 s0, s52, 6
	s_ashr_i32 s1, s0, 31
	s_lshl_b64 s[8:9], s[0:1], 1
	s_add_u32 s6, s6, s8
	s_addc_u32 s7, s7, s9
	v_lshl_add_u64 v[18:19], v[48:49], 1, s[6:7]
	v_lshl_add_u64 v[18:19], v[44:45], 1, v[18:19]
	global_load_dword v32, v[18:19], off
	v_mul_lo_u32 v18, v16, s1
	v_mul_hi_u32 v19, v16, s0
	v_add_u32_e32 v18, v19, v18
	v_mul_lo_u32 v17, v17, s0
	v_add_u32_e32 v17, v18, v17
	v_mul_lo_u32 v16, v16, s0
	v_lshlrev_b64 v[16:17], 2, v[16:17]
	v_lshl_add_u64 v[18:19], s[4:5], 0, v[16:17]
	v_lshl_add_u64 v[20:21], v[50:51], 2, v[18:19]
	v_lshlrev_b64 v[16:17], 2, v[46:47]
	v_lshl_add_u64 v[22:23], v[52:53], 2, v[18:19]
	v_lshl_add_u64 v[20:21], v[20:21], 0, v[16:17]
	;; [unrolled: 1-line block ×7, first 2 shown]
	global_load_dwordx4 v[22:25], v[20:21], off
	global_load_dwordx4 v[26:29], v[30:31], off
	;; [unrolled: 1-line block ×4, first 2 shown]
	v_lshlrev_b32_e32 v18, 1, v44
	v_lshlrev_b32_e32 v21, 2, v46
	v_add3_u32 v30, 0, v99, v82
	v_add3_u32 v31, 0, v106, v18
	;; [unrolled: 1-line block ×6, first 2 shown]
	v_add_u32_e32 v68, 0x3000, v30
	s_mov_b32 s1, 0x3f200000
	s_waitcnt vmcnt(4)
	ds_write_b32 v31, v32 offset:17408
	s_waitcnt vmcnt(3)
	ds_write_b128 v18, v[22:25]
	s_waitcnt vmcnt(2)
	ds_write_b128 v19, v[26:29]
	;; [unrolled: 2-line block ×4, first 2 shown]
	v_add_u32_e32 v31, 0x1000, v30
	v_add_u32_e32 v32, 0x2000, v30
	s_waitcnt lgkmcnt(0)
	s_barrier
	ds_read2_b64 v[22:25], v30 offset1:4
	ds_read2_b64 v[44:47], v31 offset0:32 offset1:36
	ds_read2_b64 v[52:55], v32 offset0:64 offset1:68
	;; [unrolled: 1-line block ×3, first 2 shown]
	s_waitcnt lgkmcnt(3)
	v_mfma_f32_16x16x16_f16 v[26:29], v[22:23], v[12:13], 0
	s_waitcnt lgkmcnt(2)
	v_mfma_f32_16x16x16_f16 v[48:51], v[44:45], v[12:13], 0
	;; [unrolled: 2-line block ×4, first 2 shown]
	v_mfma_f32_16x16x16_f16 v[22:25], v[24:25], v[14:15], v[26:29]
	v_mfma_f32_16x16x16_f16 v[26:29], v[46:47], v[14:15], v[48:51]
	;; [unrolled: 1-line block ×3, first 2 shown]
	s_nop 1
	ds_read2_b64 v[48:51], v30 offset0:8 offset1:12
	ds_read2_b64 v[52:55], v31 offset0:40 offset1:44
	v_mfma_f32_16x16x16_f16 v[12:15], v[62:63], v[14:15], v[64:67]
	ds_read2_b64 v[56:59], v32 offset0:72 offset1:76
	ds_read2_b64 v[60:63], v68 offset0:104 offset1:108
	s_waitcnt lgkmcnt(3)
	v_mfma_f32_16x16x16_f16 v[22:25], v[48:49], v[8:9], v[22:25]
	s_waitcnt lgkmcnt(2)
	v_mfma_f32_16x16x16_f16 v[26:29], v[52:53], v[8:9], v[26:29]
	s_waitcnt lgkmcnt(1)
	v_mfma_f32_16x16x16_f16 v[44:47], v[56:57], v[8:9], v[44:47]
	s_waitcnt lgkmcnt(0)
	v_mfma_f32_16x16x16_f16 v[12:15], v[60:61], v[8:9], v[12:15]
	v_mfma_f32_16x16x16_f16 v[22:25], v[50:51], v[10:11], v[22:25]
	ds_read2_b64 v[48:51], v31 offset0:48 offset1:52
	v_mfma_f32_16x16x16_f16 v[26:29], v[54:55], v[10:11], v[26:29]
	ds_read2_b64 v[52:55], v32 offset0:80 offset1:84
	;; [unrolled: 2-line block ×3, first 2 shown]
	v_mfma_f32_16x16x16_f16 v[8:11], v[62:63], v[10:11], v[12:15]
	s_nop 2
	ds_read2_b64 v[12:15], v30 offset0:16 offset1:20
	s_waitcnt lgkmcnt(0)
	v_mfma_f32_16x16x16_f16 v[22:25], v[12:13], v[4:5], v[22:25]
	v_mfma_f32_16x16x16_f16 v[26:29], v[48:49], v[4:5], v[26:29]
	;; [unrolled: 1-line block ×6, first 2 shown]
	ds_read2_b64 v[48:51], v32 offset0:88 offset1:92
	v_mfma_f32_16x16x16_f16 v[26:29], v[54:55], v[6:7], v[44:47]
	ds_read2_b64 v[52:55], v68 offset0:120 offset1:124
	v_mfma_f32_16x16x16_f16 v[4:7], v[58:59], v[6:7], v[8:11]
	s_nop 0
	ds_read2_b64 v[44:47], v31 offset0:56 offset1:60
	s_nop 0
	ds_read2_b64 v[8:11], v30 offset0:24 offset1:28
	s_waitcnt lgkmcnt(0)
	v_mfma_f32_16x16x16_f16 v[12:15], v[8:9], v[0:1], v[12:15]
	s_barrier
	v_mfma_f32_16x16x16_f16 v[22:25], v[44:45], v[0:1], v[22:25]
	v_mfma_f32_16x16x16_f16 v[26:29], v[48:49], v[0:1], v[26:29]
	;; [unrolled: 1-line block ×5, first 2 shown]
                                        ; implicit-def: $vgpr22
	v_mfma_f32_16x16x16_f16 v[12:15], v[50:51], v[2:3], v[26:29]
	s_nop 5
	v_cmp_nlt_f32_e64 s[4:5], |v4|, s1
	v_mfma_f32_16x16x16_f16 v[0:3], v[54:55], v[2:3], v[56:59]
	s_and_saveexec_b64 s[6:7], s[4:5]
	s_xor_b64 s[4:5], exec, s[6:7]
	s_cbranch_execz .LBB25_758
; %bb.757:
	v_add_f32_e64 v22, |v4|, |v4|
	v_mul_f32_e32 v23, 0x3fb8aa3b, v22
	s_mov_b32 s1, 0x3fb8aa3b
	v_rndne_f32_e32 v24, v23
	v_sub_f32_e32 v25, v23, v24
	v_fma_f32 v23, v22, s1, -v23
	v_fmamk_f32 v23, v22, 0x32a5705f, v23
	v_add_f32_e32 v23, v25, v23
	v_exp_f32_e32 v23, v23
	v_cvt_i32_f32_e32 v24, v24
	s_mov_b32 s1, 0xc2ce8ed0
	v_cmp_ngt_f32_e32 vcc, s1, v22
	s_mov_b32 s1, 0x42b17218
	v_ldexp_f32 v23, v23, v24
	v_cndmask_b32_e32 v23, 0, v23, vcc
	v_mov_b32_e32 v24, 0x7f800000
	v_cmp_nlt_f32_e32 vcc, s1, v22
	s_nop 1
	v_cndmask_b32_e32 v22, v24, v23, vcc
	v_add_f32_e32 v22, 1.0, v22
	v_rcp_f32_e32 v22, v22
	s_nop 0
	v_fma_f32 v22, v22, -2.0, 1.0
.LBB25_758:
	s_andn2_saveexec_b64 s[4:5], s[4:5]
; %bb.759:
	v_mul_f32_e32 v22, v4, v4
	v_mov_b32_e32 v23, 0x3ca908c9
	v_fmac_f32_e32 v23, 0xbbbac73d, v22
	v_fmaak_f32 v23, v22, v23, 0xbd5c1c4e
	v_fmaak_f32 v23, v22, v23, 0x3e088382
	;; [unrolled: 1-line block ×3, first 2 shown]
	v_mul_f32_e64 v23, |v4|, v23
	v_fma_f32 v22, v22, v23, |v4|
; %bb.760:
	s_or_b64 exec, exec, s[4:5]
	s_mov_b32 s1, 0x3f200000
	v_cmp_nlt_f32_e64 s[4:5], |v5|, s1
                                        ; implicit-def: $vgpr23
	s_and_saveexec_b64 s[6:7], s[4:5]
	s_xor_b64 s[4:5], exec, s[6:7]
	s_cbranch_execz .LBB25_762
; %bb.761:
	v_add_f32_e64 v23, |v5|, |v5|
	v_mul_f32_e32 v24, 0x3fb8aa3b, v23
	s_mov_b32 s1, 0x3fb8aa3b
	v_rndne_f32_e32 v25, v24
	v_sub_f32_e32 v26, v24, v25
	v_fma_f32 v24, v23, s1, -v24
	v_fmamk_f32 v24, v23, 0x32a5705f, v24
	v_add_f32_e32 v24, v26, v24
	v_exp_f32_e32 v24, v24
	v_cvt_i32_f32_e32 v25, v25
	s_mov_b32 s1, 0xc2ce8ed0
	v_cmp_ngt_f32_e32 vcc, s1, v23
	s_mov_b32 s1, 0x42b17218
	v_ldexp_f32 v24, v24, v25
	v_cndmask_b32_e32 v24, 0, v24, vcc
	v_mov_b32_e32 v25, 0x7f800000
	v_cmp_nlt_f32_e32 vcc, s1, v23
	s_nop 1
	v_cndmask_b32_e32 v23, v25, v24, vcc
	v_add_f32_e32 v23, 1.0, v23
	v_rcp_f32_e32 v23, v23
	s_nop 0
	v_fma_f32 v23, v23, -2.0, 1.0
.LBB25_762:
	s_andn2_saveexec_b64 s[4:5], s[4:5]
; %bb.763:
	v_mul_f32_e32 v23, v5, v5
	v_mov_b32_e32 v24, 0x3ca908c9
	v_fmac_f32_e32 v24, 0xbbbac73d, v23
	v_fmaak_f32 v24, v23, v24, 0xbd5c1c4e
	v_fmaak_f32 v24, v23, v24, 0x3e088382
	;; [unrolled: 1-line block ×3, first 2 shown]
	v_mul_f32_e64 v24, |v5|, v24
	v_fma_f32 v23, v23, v24, |v5|
; %bb.764:
	s_or_b64 exec, exec, s[4:5]
	s_mov_b32 s1, 0x3f200000
	v_cmp_nlt_f32_e64 s[4:5], |v6|, s1
                                        ; implicit-def: $vgpr24
	s_and_saveexec_b64 s[6:7], s[4:5]
	s_xor_b64 s[4:5], exec, s[6:7]
	s_cbranch_execz .LBB25_766
; %bb.765:
	v_add_f32_e64 v24, |v6|, |v6|
	v_mul_f32_e32 v25, 0x3fb8aa3b, v24
	s_mov_b32 s1, 0x3fb8aa3b
	v_rndne_f32_e32 v26, v25
	v_sub_f32_e32 v27, v25, v26
	v_fma_f32 v25, v24, s1, -v25
	v_fmamk_f32 v25, v24, 0x32a5705f, v25
	v_add_f32_e32 v25, v27, v25
	v_exp_f32_e32 v25, v25
	v_cvt_i32_f32_e32 v26, v26
	s_mov_b32 s1, 0xc2ce8ed0
	v_cmp_ngt_f32_e32 vcc, s1, v24
	s_mov_b32 s1, 0x42b17218
	v_ldexp_f32 v25, v25, v26
	v_cndmask_b32_e32 v25, 0, v25, vcc
	v_mov_b32_e32 v26, 0x7f800000
	v_cmp_nlt_f32_e32 vcc, s1, v24
	s_nop 1
	v_cndmask_b32_e32 v24, v26, v25, vcc
	v_add_f32_e32 v24, 1.0, v24
	v_rcp_f32_e32 v24, v24
	s_nop 0
	v_fma_f32 v24, v24, -2.0, 1.0
.LBB25_766:
	s_andn2_saveexec_b64 s[4:5], s[4:5]
; %bb.767:
	v_mul_f32_e32 v24, v6, v6
	v_mov_b32_e32 v25, 0x3ca908c9
	v_fmac_f32_e32 v25, 0xbbbac73d, v24
	v_fmaak_f32 v25, v24, v25, 0xbd5c1c4e
	v_fmaak_f32 v25, v24, v25, 0x3e088382
	v_fmaak_f32 v25, v24, v25, 0xbeaaaa99
	v_mul_f32_e64 v25, |v6|, v25
	v_fma_f32 v24, v24, v25, |v6|
; %bb.768:
	s_or_b64 exec, exec, s[4:5]
	s_mov_b32 s1, 0x3f200000
	v_cmp_nlt_f32_e64 s[4:5], |v7|, s1
                                        ; implicit-def: $vgpr25
	s_and_saveexec_b64 s[6:7], s[4:5]
	s_xor_b64 s[4:5], exec, s[6:7]
	s_cbranch_execz .LBB25_770
; %bb.769:
	v_add_f32_e64 v25, |v7|, |v7|
	v_mul_f32_e32 v26, 0x3fb8aa3b, v25
	s_mov_b32 s1, 0x3fb8aa3b
	v_rndne_f32_e32 v27, v26
	v_sub_f32_e32 v28, v26, v27
	v_fma_f32 v26, v25, s1, -v26
	v_fmamk_f32 v26, v25, 0x32a5705f, v26
	v_add_f32_e32 v26, v28, v26
	v_exp_f32_e32 v26, v26
	v_cvt_i32_f32_e32 v27, v27
	s_mov_b32 s1, 0xc2ce8ed0
	v_cmp_ngt_f32_e32 vcc, s1, v25
	s_mov_b32 s1, 0x42b17218
	v_ldexp_f32 v26, v26, v27
	v_cndmask_b32_e32 v26, 0, v26, vcc
	v_mov_b32_e32 v27, 0x7f800000
	v_cmp_nlt_f32_e32 vcc, s1, v25
	s_nop 1
	v_cndmask_b32_e32 v25, v27, v26, vcc
	v_add_f32_e32 v25, 1.0, v25
	v_rcp_f32_e32 v25, v25
	s_nop 0
	v_fma_f32 v25, v25, -2.0, 1.0
.LBB25_770:
	s_andn2_saveexec_b64 s[4:5], s[4:5]
; %bb.771:
	v_mul_f32_e32 v25, v7, v7
	v_mov_b32_e32 v26, 0x3ca908c9
	v_fmac_f32_e32 v26, 0xbbbac73d, v25
	v_fmaak_f32 v26, v25, v26, 0xbd5c1c4e
	v_fmaak_f32 v26, v25, v26, 0x3e088382
	;; [unrolled: 1-line block ×3, first 2 shown]
	v_mul_f32_e64 v26, |v7|, v26
	v_fma_f32 v25, v25, v26, |v7|
; %bb.772:
	s_or_b64 exec, exec, s[4:5]
	s_mov_b32 s1, 0x3f200000
	v_cmp_nlt_f32_e64 s[4:5], |v8|, s1
                                        ; implicit-def: $vgpr26
	s_and_saveexec_b64 s[6:7], s[4:5]
	s_xor_b64 s[4:5], exec, s[6:7]
	s_cbranch_execz .LBB25_774
; %bb.773:
	v_add_f32_e64 v26, |v8|, |v8|
	v_mul_f32_e32 v27, 0x3fb8aa3b, v26
	s_mov_b32 s1, 0x3fb8aa3b
	v_rndne_f32_e32 v28, v27
	v_sub_f32_e32 v29, v27, v28
	v_fma_f32 v27, v26, s1, -v27
	v_fmamk_f32 v27, v26, 0x32a5705f, v27
	v_add_f32_e32 v27, v29, v27
	v_exp_f32_e32 v27, v27
	v_cvt_i32_f32_e32 v28, v28
	s_mov_b32 s1, 0xc2ce8ed0
	v_cmp_ngt_f32_e32 vcc, s1, v26
	s_mov_b32 s1, 0x42b17218
	v_ldexp_f32 v27, v27, v28
	v_cndmask_b32_e32 v27, 0, v27, vcc
	v_mov_b32_e32 v28, 0x7f800000
	v_cmp_nlt_f32_e32 vcc, s1, v26
	s_nop 1
	v_cndmask_b32_e32 v26, v28, v27, vcc
	v_add_f32_e32 v26, 1.0, v26
	v_rcp_f32_e32 v26, v26
	s_nop 0
	v_fma_f32 v26, v26, -2.0, 1.0
.LBB25_774:
	s_andn2_saveexec_b64 s[4:5], s[4:5]
; %bb.775:
	v_mul_f32_e32 v26, v8, v8
	v_mov_b32_e32 v27, 0x3ca908c9
	v_fmac_f32_e32 v27, 0xbbbac73d, v26
	v_fmaak_f32 v27, v26, v27, 0xbd5c1c4e
	v_fmaak_f32 v27, v26, v27, 0x3e088382
	;; [unrolled: 1-line block ×3, first 2 shown]
	v_mul_f32_e64 v27, |v8|, v27
	v_fma_f32 v26, v26, v27, |v8|
; %bb.776:
	s_or_b64 exec, exec, s[4:5]
	s_mov_b32 s1, 0x3f200000
	v_cmp_nlt_f32_e64 s[4:5], |v9|, s1
                                        ; implicit-def: $vgpr27
	s_and_saveexec_b64 s[6:7], s[4:5]
	s_xor_b64 s[4:5], exec, s[6:7]
	s_cbranch_execz .LBB25_778
; %bb.777:
	v_add_f32_e64 v27, |v9|, |v9|
	v_mul_f32_e32 v28, 0x3fb8aa3b, v27
	s_mov_b32 s1, 0x3fb8aa3b
	v_rndne_f32_e32 v29, v28
	v_sub_f32_e32 v30, v28, v29
	v_fma_f32 v28, v27, s1, -v28
	v_fmamk_f32 v28, v27, 0x32a5705f, v28
	v_add_f32_e32 v28, v30, v28
	v_exp_f32_e32 v28, v28
	v_cvt_i32_f32_e32 v29, v29
	s_mov_b32 s1, 0xc2ce8ed0
	v_cmp_ngt_f32_e32 vcc, s1, v27
	s_mov_b32 s1, 0x42b17218
	v_ldexp_f32 v28, v28, v29
	v_cndmask_b32_e32 v28, 0, v28, vcc
	v_mov_b32_e32 v29, 0x7f800000
	v_cmp_nlt_f32_e32 vcc, s1, v27
	s_nop 1
	v_cndmask_b32_e32 v27, v29, v28, vcc
	v_add_f32_e32 v27, 1.0, v27
	v_rcp_f32_e32 v27, v27
	s_nop 0
	v_fma_f32 v27, v27, -2.0, 1.0
.LBB25_778:
	s_andn2_saveexec_b64 s[4:5], s[4:5]
; %bb.779:
	v_mul_f32_e32 v27, v9, v9
	v_mov_b32_e32 v28, 0x3ca908c9
	v_fmac_f32_e32 v28, 0xbbbac73d, v27
	v_fmaak_f32 v28, v27, v28, 0xbd5c1c4e
	v_fmaak_f32 v28, v27, v28, 0x3e088382
	;; [unrolled: 1-line block ×3, first 2 shown]
	v_mul_f32_e64 v28, |v9|, v28
	v_fma_f32 v27, v27, v28, |v9|
; %bb.780:
	s_or_b64 exec, exec, s[4:5]
	s_mov_b32 s1, 0x3f200000
	v_cmp_nlt_f32_e64 s[4:5], |v10|, s1
                                        ; implicit-def: $vgpr28
	s_and_saveexec_b64 s[6:7], s[4:5]
	s_xor_b64 s[4:5], exec, s[6:7]
	s_cbranch_execz .LBB25_782
; %bb.781:
	v_add_f32_e64 v28, |v10|, |v10|
	v_mul_f32_e32 v29, 0x3fb8aa3b, v28
	s_mov_b32 s1, 0x3fb8aa3b
	v_rndne_f32_e32 v30, v29
	v_sub_f32_e32 v31, v29, v30
	v_fma_f32 v29, v28, s1, -v29
	v_fmamk_f32 v29, v28, 0x32a5705f, v29
	v_add_f32_e32 v29, v31, v29
	v_exp_f32_e32 v29, v29
	v_cvt_i32_f32_e32 v30, v30
	s_mov_b32 s1, 0xc2ce8ed0
	v_cmp_ngt_f32_e32 vcc, s1, v28
	s_mov_b32 s1, 0x42b17218
	v_ldexp_f32 v29, v29, v30
	v_cndmask_b32_e32 v29, 0, v29, vcc
	v_mov_b32_e32 v30, 0x7f800000
	v_cmp_nlt_f32_e32 vcc, s1, v28
	s_nop 1
	v_cndmask_b32_e32 v28, v30, v29, vcc
	v_add_f32_e32 v28, 1.0, v28
	v_rcp_f32_e32 v28, v28
	s_nop 0
	v_fma_f32 v28, v28, -2.0, 1.0
.LBB25_782:
	s_andn2_saveexec_b64 s[4:5], s[4:5]
; %bb.783:
	v_mul_f32_e32 v28, v10, v10
	v_mov_b32_e32 v29, 0x3ca908c9
	v_fmac_f32_e32 v29, 0xbbbac73d, v28
	v_fmaak_f32 v29, v28, v29, 0xbd5c1c4e
	v_fmaak_f32 v29, v28, v29, 0x3e088382
	;; [unrolled: 1-line block ×3, first 2 shown]
	v_mul_f32_e64 v29, |v10|, v29
	v_fma_f32 v28, v28, v29, |v10|
; %bb.784:
	s_or_b64 exec, exec, s[4:5]
	s_mov_b32 s1, 0x3f200000
	v_cmp_nlt_f32_e64 s[4:5], |v11|, s1
                                        ; implicit-def: $vgpr29
	s_and_saveexec_b64 s[6:7], s[4:5]
	s_xor_b64 s[4:5], exec, s[6:7]
	s_cbranch_execz .LBB25_786
; %bb.785:
	v_add_f32_e64 v29, |v11|, |v11|
	v_mul_f32_e32 v30, 0x3fb8aa3b, v29
	s_mov_b32 s1, 0x3fb8aa3b
	v_rndne_f32_e32 v31, v30
	v_sub_f32_e32 v32, v30, v31
	v_fma_f32 v30, v29, s1, -v30
	v_fmamk_f32 v30, v29, 0x32a5705f, v30
	v_add_f32_e32 v30, v32, v30
	v_exp_f32_e32 v30, v30
	v_cvt_i32_f32_e32 v31, v31
	s_mov_b32 s1, 0xc2ce8ed0
	v_cmp_ngt_f32_e32 vcc, s1, v29
	s_mov_b32 s1, 0x42b17218
	v_ldexp_f32 v30, v30, v31
	v_cndmask_b32_e32 v30, 0, v30, vcc
	v_mov_b32_e32 v31, 0x7f800000
	v_cmp_nlt_f32_e32 vcc, s1, v29
	s_nop 1
	v_cndmask_b32_e32 v29, v31, v30, vcc
	v_add_f32_e32 v29, 1.0, v29
	v_rcp_f32_e32 v29, v29
	s_nop 0
	v_fma_f32 v29, v29, -2.0, 1.0
.LBB25_786:
	s_andn2_saveexec_b64 s[4:5], s[4:5]
; %bb.787:
	v_mul_f32_e32 v29, v11, v11
	v_mov_b32_e32 v30, 0x3ca908c9
	v_fmac_f32_e32 v30, 0xbbbac73d, v29
	v_fmaak_f32 v30, v29, v30, 0xbd5c1c4e
	v_fmaak_f32 v30, v29, v30, 0x3e088382
	;; [unrolled: 1-line block ×3, first 2 shown]
	v_mul_f32_e64 v30, |v11|, v30
	v_fma_f32 v29, v29, v30, |v11|
; %bb.788:
	s_or_b64 exec, exec, s[4:5]
	s_mov_b32 s1, 0x3f200000
	v_cmp_nlt_f32_e64 s[4:5], |v12|, s1
                                        ; implicit-def: $vgpr30
	s_and_saveexec_b64 s[6:7], s[4:5]
	s_xor_b64 s[4:5], exec, s[6:7]
	s_cbranch_execz .LBB25_790
; %bb.789:
	v_add_f32_e64 v30, |v12|, |v12|
	v_mul_f32_e32 v31, 0x3fb8aa3b, v30
	s_mov_b32 s1, 0x3fb8aa3b
	v_rndne_f32_e32 v32, v31
	v_sub_f32_e32 v44, v31, v32
	v_fma_f32 v31, v30, s1, -v31
	v_fmamk_f32 v31, v30, 0x32a5705f, v31
	v_add_f32_e32 v31, v44, v31
	v_exp_f32_e32 v31, v31
	v_cvt_i32_f32_e32 v32, v32
	s_mov_b32 s1, 0xc2ce8ed0
	v_cmp_ngt_f32_e32 vcc, s1, v30
	s_mov_b32 s1, 0x42b17218
	v_ldexp_f32 v31, v31, v32
	v_cndmask_b32_e32 v31, 0, v31, vcc
	v_mov_b32_e32 v32, 0x7f800000
	v_cmp_nlt_f32_e32 vcc, s1, v30
	s_nop 1
	v_cndmask_b32_e32 v30, v32, v31, vcc
	v_add_f32_e32 v30, 1.0, v30
	v_rcp_f32_e32 v30, v30
	s_nop 0
	v_fma_f32 v30, v30, -2.0, 1.0
.LBB25_790:
	s_andn2_saveexec_b64 s[4:5], s[4:5]
; %bb.791:
	v_mul_f32_e32 v30, v12, v12
	v_mov_b32_e32 v31, 0x3ca908c9
	v_fmac_f32_e32 v31, 0xbbbac73d, v30
	v_fmaak_f32 v31, v30, v31, 0xbd5c1c4e
	v_fmaak_f32 v31, v30, v31, 0x3e088382
	;; [unrolled: 1-line block ×3, first 2 shown]
	v_mul_f32_e64 v31, |v12|, v31
	v_fma_f32 v30, v30, v31, |v12|
; %bb.792:
	s_or_b64 exec, exec, s[4:5]
	s_mov_b32 s1, 0x3f200000
	v_cmp_nlt_f32_e64 s[4:5], |v13|, s1
                                        ; implicit-def: $vgpr31
	s_and_saveexec_b64 s[6:7], s[4:5]
	s_xor_b64 s[4:5], exec, s[6:7]
	s_cbranch_execz .LBB25_794
; %bb.793:
	v_add_f32_e64 v31, |v13|, |v13|
	v_mul_f32_e32 v32, 0x3fb8aa3b, v31
	s_mov_b32 s1, 0x3fb8aa3b
	v_rndne_f32_e32 v44, v32
	v_sub_f32_e32 v45, v32, v44
	v_fma_f32 v32, v31, s1, -v32
	v_fmamk_f32 v32, v31, 0x32a5705f, v32
	v_add_f32_e32 v32, v45, v32
	v_exp_f32_e32 v32, v32
	v_cvt_i32_f32_e32 v44, v44
	s_mov_b32 s1, 0xc2ce8ed0
	v_cmp_ngt_f32_e32 vcc, s1, v31
	s_mov_b32 s1, 0x42b17218
	v_ldexp_f32 v32, v32, v44
	v_cndmask_b32_e32 v32, 0, v32, vcc
	v_mov_b32_e32 v44, 0x7f800000
	v_cmp_nlt_f32_e32 vcc, s1, v31
	s_nop 1
	v_cndmask_b32_e32 v31, v44, v32, vcc
	v_add_f32_e32 v31, 1.0, v31
	v_rcp_f32_e32 v31, v31
	s_nop 0
	v_fma_f32 v31, v31, -2.0, 1.0
.LBB25_794:
	s_andn2_saveexec_b64 s[4:5], s[4:5]
; %bb.795:
	v_mul_f32_e32 v31, v13, v13
	v_mov_b32_e32 v32, 0x3ca908c9
	v_fmac_f32_e32 v32, 0xbbbac73d, v31
	v_fmaak_f32 v32, v31, v32, 0xbd5c1c4e
	v_fmaak_f32 v32, v31, v32, 0x3e088382
	;; [unrolled: 1-line block ×3, first 2 shown]
	v_mul_f32_e64 v32, |v13|, v32
	v_fma_f32 v31, v31, v32, |v13|
; %bb.796:
	s_or_b64 exec, exec, s[4:5]
	s_mov_b32 s1, 0x3f200000
	v_cmp_nlt_f32_e64 s[4:5], |v14|, s1
                                        ; implicit-def: $vgpr32
	s_and_saveexec_b64 s[6:7], s[4:5]
	s_xor_b64 s[4:5], exec, s[6:7]
	s_cbranch_execz .LBB25_798
; %bb.797:
	v_add_f32_e64 v32, |v14|, |v14|
	v_mul_f32_e32 v44, 0x3fb8aa3b, v32
	s_mov_b32 s1, 0x3fb8aa3b
	v_rndne_f32_e32 v45, v44
	v_sub_f32_e32 v46, v44, v45
	v_fma_f32 v44, v32, s1, -v44
	v_fmamk_f32 v44, v32, 0x32a5705f, v44
	v_add_f32_e32 v44, v46, v44
	v_exp_f32_e32 v44, v44
	v_cvt_i32_f32_e32 v45, v45
	s_mov_b32 s1, 0xc2ce8ed0
	v_cmp_ngt_f32_e32 vcc, s1, v32
	s_mov_b32 s1, 0x42b17218
	v_ldexp_f32 v44, v44, v45
	v_cndmask_b32_e32 v44, 0, v44, vcc
	v_mov_b32_e32 v45, 0x7f800000
	v_cmp_nlt_f32_e32 vcc, s1, v32
	s_nop 1
	v_cndmask_b32_e32 v32, v45, v44, vcc
	v_add_f32_e32 v32, 1.0, v32
	v_rcp_f32_e32 v32, v32
	s_nop 0
	v_fma_f32 v32, v32, -2.0, 1.0
.LBB25_798:
	s_andn2_saveexec_b64 s[4:5], s[4:5]
; %bb.799:
	v_mul_f32_e32 v32, v14, v14
	v_mov_b32_e32 v44, 0x3ca908c9
	v_fmac_f32_e32 v44, 0xbbbac73d, v32
	v_fmaak_f32 v44, v32, v44, 0xbd5c1c4e
	v_fmaak_f32 v44, v32, v44, 0x3e088382
	;; [unrolled: 1-line block ×3, first 2 shown]
	v_mul_f32_e64 v44, |v14|, v44
	v_fma_f32 v32, v32, v44, |v14|
; %bb.800:
	s_or_b64 exec, exec, s[4:5]
	s_mov_b32 s1, 0x3f200000
	v_cmp_nlt_f32_e64 s[4:5], |v15|, s1
                                        ; implicit-def: $vgpr44
	s_and_saveexec_b64 s[6:7], s[4:5]
	s_xor_b64 s[4:5], exec, s[6:7]
	s_cbranch_execz .LBB25_802
; %bb.801:
	v_add_f32_e64 v44, |v15|, |v15|
	v_mul_f32_e32 v45, 0x3fb8aa3b, v44
	s_mov_b32 s1, 0x3fb8aa3b
	v_rndne_f32_e32 v46, v45
	v_sub_f32_e32 v47, v45, v46
	v_fma_f32 v45, v44, s1, -v45
	v_fmamk_f32 v45, v44, 0x32a5705f, v45
	v_add_f32_e32 v45, v47, v45
	v_exp_f32_e32 v45, v45
	v_cvt_i32_f32_e32 v46, v46
	s_mov_b32 s1, 0xc2ce8ed0
	v_cmp_ngt_f32_e32 vcc, s1, v44
	s_mov_b32 s1, 0x42b17218
	v_ldexp_f32 v45, v45, v46
	v_cndmask_b32_e32 v45, 0, v45, vcc
	v_mov_b32_e32 v46, 0x7f800000
	v_cmp_nlt_f32_e32 vcc, s1, v44
	s_nop 1
	v_cndmask_b32_e32 v44, v46, v45, vcc
	v_add_f32_e32 v44, 1.0, v44
	v_rcp_f32_e32 v44, v44
	s_nop 0
	v_fma_f32 v44, v44, -2.0, 1.0
.LBB25_802:
	s_andn2_saveexec_b64 s[4:5], s[4:5]
; %bb.803:
	v_mul_f32_e32 v44, v15, v15
	v_mov_b32_e32 v45, 0x3ca908c9
	v_fmac_f32_e32 v45, 0xbbbac73d, v44
	v_fmaak_f32 v45, v44, v45, 0xbd5c1c4e
	v_fmaak_f32 v45, v44, v45, 0x3e088382
	;; [unrolled: 1-line block ×3, first 2 shown]
	v_mul_f32_e64 v45, |v15|, v45
	v_fma_f32 v44, v44, v45, |v15|
; %bb.804:
	s_or_b64 exec, exec, s[4:5]
	s_mov_b32 s1, 0x3f200000
	v_cmp_nlt_f32_e64 s[4:5], |v0|, s1
                                        ; implicit-def: $vgpr45
	s_and_saveexec_b64 s[6:7], s[4:5]
	s_xor_b64 s[4:5], exec, s[6:7]
	s_cbranch_execz .LBB25_806
; %bb.805:
	v_add_f32_e64 v45, |v0|, |v0|
	v_mul_f32_e32 v46, 0x3fb8aa3b, v45
	s_mov_b32 s1, 0x3fb8aa3b
	v_rndne_f32_e32 v47, v46
	v_sub_f32_e32 v48, v46, v47
	v_fma_f32 v46, v45, s1, -v46
	v_fmamk_f32 v46, v45, 0x32a5705f, v46
	v_add_f32_e32 v46, v48, v46
	v_exp_f32_e32 v46, v46
	v_cvt_i32_f32_e32 v47, v47
	s_mov_b32 s1, 0xc2ce8ed0
	v_cmp_ngt_f32_e32 vcc, s1, v45
	s_mov_b32 s1, 0x42b17218
	v_ldexp_f32 v46, v46, v47
	v_cndmask_b32_e32 v46, 0, v46, vcc
	v_mov_b32_e32 v47, 0x7f800000
	v_cmp_nlt_f32_e32 vcc, s1, v45
	s_nop 1
	v_cndmask_b32_e32 v45, v47, v46, vcc
	v_add_f32_e32 v45, 1.0, v45
	v_rcp_f32_e32 v45, v45
	s_nop 0
	v_fma_f32 v45, v45, -2.0, 1.0
.LBB25_806:
	s_andn2_saveexec_b64 s[4:5], s[4:5]
; %bb.807:
	v_mul_f32_e32 v45, v0, v0
	v_mov_b32_e32 v46, 0x3ca908c9
	v_fmac_f32_e32 v46, 0xbbbac73d, v45
	v_fmaak_f32 v46, v45, v46, 0xbd5c1c4e
	v_fmaak_f32 v46, v45, v46, 0x3e088382
	;; [unrolled: 1-line block ×3, first 2 shown]
	v_mul_f32_e64 v46, |v0|, v46
	v_fma_f32 v45, v45, v46, |v0|
; %bb.808:
	s_or_b64 exec, exec, s[4:5]
	s_mov_b32 s1, 0x3f200000
	v_cmp_nlt_f32_e64 s[4:5], |v1|, s1
                                        ; implicit-def: $vgpr46
	s_and_saveexec_b64 s[6:7], s[4:5]
	s_xor_b64 s[4:5], exec, s[6:7]
	s_cbranch_execz .LBB25_810
; %bb.809:
	v_add_f32_e64 v46, |v1|, |v1|
	v_mul_f32_e32 v47, 0x3fb8aa3b, v46
	s_mov_b32 s1, 0x3fb8aa3b
	v_rndne_f32_e32 v48, v47
	v_sub_f32_e32 v49, v47, v48
	v_fma_f32 v47, v46, s1, -v47
	v_fmamk_f32 v47, v46, 0x32a5705f, v47
	v_add_f32_e32 v47, v49, v47
	v_exp_f32_e32 v47, v47
	v_cvt_i32_f32_e32 v48, v48
	s_mov_b32 s1, 0xc2ce8ed0
	v_cmp_ngt_f32_e32 vcc, s1, v46
	s_mov_b32 s1, 0x42b17218
	v_ldexp_f32 v47, v47, v48
	v_cndmask_b32_e32 v47, 0, v47, vcc
	v_mov_b32_e32 v48, 0x7f800000
	v_cmp_nlt_f32_e32 vcc, s1, v46
	s_nop 1
	v_cndmask_b32_e32 v46, v48, v47, vcc
	v_add_f32_e32 v46, 1.0, v46
	v_rcp_f32_e32 v46, v46
	s_nop 0
	v_fma_f32 v46, v46, -2.0, 1.0
.LBB25_810:
	s_andn2_saveexec_b64 s[4:5], s[4:5]
; %bb.811:
	v_mul_f32_e32 v46, v1, v1
	v_mov_b32_e32 v47, 0x3ca908c9
	v_fmac_f32_e32 v47, 0xbbbac73d, v46
	v_fmaak_f32 v47, v46, v47, 0xbd5c1c4e
	v_fmaak_f32 v47, v46, v47, 0x3e088382
	;; [unrolled: 1-line block ×3, first 2 shown]
	v_mul_f32_e64 v47, |v1|, v47
	v_fma_f32 v46, v46, v47, |v1|
; %bb.812:
	s_or_b64 exec, exec, s[4:5]
	s_mov_b32 s1, 0x3f200000
	v_cmp_nlt_f32_e64 s[4:5], |v2|, s1
                                        ; implicit-def: $vgpr47
	s_and_saveexec_b64 s[6:7], s[4:5]
	s_xor_b64 s[4:5], exec, s[6:7]
	s_cbranch_execz .LBB25_814
; %bb.813:
	v_add_f32_e64 v47, |v2|, |v2|
	v_mul_f32_e32 v48, 0x3fb8aa3b, v47
	s_mov_b32 s1, 0x3fb8aa3b
	v_rndne_f32_e32 v49, v48
	v_sub_f32_e32 v50, v48, v49
	v_fma_f32 v48, v47, s1, -v48
	v_fmamk_f32 v48, v47, 0x32a5705f, v48
	v_add_f32_e32 v48, v50, v48
	v_exp_f32_e32 v48, v48
	v_cvt_i32_f32_e32 v49, v49
	s_mov_b32 s1, 0xc2ce8ed0
	v_cmp_ngt_f32_e32 vcc, s1, v47
	s_mov_b32 s1, 0x42b17218
	v_ldexp_f32 v48, v48, v49
	v_cndmask_b32_e32 v48, 0, v48, vcc
	v_mov_b32_e32 v49, 0x7f800000
	v_cmp_nlt_f32_e32 vcc, s1, v47
	s_nop 1
	v_cndmask_b32_e32 v47, v49, v48, vcc
	v_add_f32_e32 v47, 1.0, v47
	v_rcp_f32_e32 v47, v47
	s_nop 0
	v_fma_f32 v47, v47, -2.0, 1.0
.LBB25_814:
	s_andn2_saveexec_b64 s[4:5], s[4:5]
; %bb.815:
	v_mul_f32_e32 v47, v2, v2
	v_mov_b32_e32 v48, 0x3ca908c9
	v_fmac_f32_e32 v48, 0xbbbac73d, v47
	v_fmaak_f32 v48, v47, v48, 0xbd5c1c4e
	v_fmaak_f32 v48, v47, v48, 0x3e088382
	;; [unrolled: 1-line block ×3, first 2 shown]
	v_mul_f32_e64 v48, |v2|, v48
	v_fma_f32 v47, v47, v48, |v2|
; %bb.816:
	s_or_b64 exec, exec, s[4:5]
	s_mov_b32 s1, 0x3f200000
	v_cmp_nlt_f32_e64 s[4:5], |v3|, s1
                                        ; implicit-def: $vgpr48
	s_and_saveexec_b64 s[6:7], s[4:5]
	s_xor_b64 s[4:5], exec, s[6:7]
	s_cbranch_execz .LBB25_818
; %bb.817:
	v_add_f32_e64 v48, |v3|, |v3|
	v_mul_f32_e32 v49, 0x3fb8aa3b, v48
	s_mov_b32 s1, 0x3fb8aa3b
	v_rndne_f32_e32 v50, v49
	v_sub_f32_e32 v51, v49, v50
	v_fma_f32 v49, v48, s1, -v49
	v_fmamk_f32 v49, v48, 0x32a5705f, v49
	v_add_f32_e32 v49, v51, v49
	v_exp_f32_e32 v49, v49
	v_cvt_i32_f32_e32 v50, v50
	s_mov_b32 s1, 0xc2ce8ed0
	v_cmp_ngt_f32_e32 vcc, s1, v48
	s_mov_b32 s1, 0x42b17218
	v_ldexp_f32 v49, v49, v50
	v_cndmask_b32_e32 v49, 0, v49, vcc
	v_mov_b32_e32 v50, 0x7f800000
	v_cmp_nlt_f32_e32 vcc, s1, v48
	s_nop 1
	v_cndmask_b32_e32 v48, v50, v49, vcc
	v_add_f32_e32 v48, 1.0, v48
	v_rcp_f32_e32 v48, v48
	s_nop 0
	v_fma_f32 v48, v48, -2.0, 1.0
.LBB25_818:
	s_andn2_saveexec_b64 s[4:5], s[4:5]
; %bb.819:
	v_mul_f32_e32 v48, v3, v3
	v_mov_b32_e32 v49, 0x3ca908c9
	v_fmac_f32_e32 v49, 0xbbbac73d, v48
	v_fmaak_f32 v49, v48, v49, 0xbd5c1c4e
	v_fmaak_f32 v49, v48, v49, 0x3e088382
	;; [unrolled: 1-line block ×3, first 2 shown]
	v_mul_f32_e64 v49, |v3|, v49
	v_fma_f32 v48, v48, v49, |v3|
; %bb.820:
	s_or_b64 exec, exec, s[4:5]
	s_brev_b32 s1, -2
	v_lshlrev_b32_e32 v173, 4, v170
	v_bfi_b32 v1, s1, v46, v1
	v_bfi_b32 v46, s1, v47, v2
	v_and_or_b32 v2, v78, 8, v173
	v_bfi_b32 v45, s1, v45, v0
	v_bfi_b32 v15, s1, v44, v15
	;; [unrolled: 1-line block ×14, first 2 shown]
	v_lshrrev_b32_e32 v2, 3, v2
	s_movk_i32 s1, 0x90
	v_and_b32_e32 v0, 0xfc, v84
	v_mad_u32_u24 v2, v2, s1, 0
	v_lshl_add_u32 v25, v0, 1, v2
	v_add_u32_e32 v2, v2, v95
	v_add_u32_e32 v3, 0x4420, v25
	;; [unrolled: 1-line block ×3, first 2 shown]
	ds_read_b32 v26, v25 offset:17408
	ds_read_b32 v27, v2 offset:17408
	ds_read2_b32 v[2:3], v3 offset1:1
	ds_read2_b32 v[4:5], v4 offset1:1
	s_mov_b32 s5, 0x3fb8aa3b
	s_mov_b32 s4, 0xc2ce8ed0
	s_waitcnt lgkmcnt(2)
	v_fma_mix_f32 v6, s33, v6, v27 op_sel_hi:[0,0,1]
	s_waitcnt lgkmcnt(1)
	v_fma_mix_f32 v8, s33, v8, v2 op_sel_hi:[0,0,1]
	v_fma_mix_f32 v9, s33, v9, v2 op_sel:[0,0,1] op_sel_hi:[0,0,1]
	v_add_u32_e32 v2, 0x4460, v25
	v_fma_mix_f32 v10, s33, v10, v3 op_sel_hi:[0,0,1]
	v_fma_mix_f32 v11, s33, v11, v3 op_sel:[0,0,1] op_sel_hi:[0,0,1]
	ds_read2_b32 v[2:3], v2 offset1:1
	v_fma_mix_f32 v22, s33, v22, v26 op_sel_hi:[0,0,1]
	v_fma_mix_f32 v23, s33, v23, v26 op_sel:[0,0,1] op_sel_hi:[0,0,1]
	v_fma_mix_f32 v7, s33, v7, v27 op_sel:[0,0,1] op_sel_hi:[0,0,1]
	s_waitcnt lgkmcnt(1)
	v_fma_mix_f32 v14, s33, v14, v5 op_sel_hi:[0,0,1]
	v_fma_mix_f32 v5, s33, v15, v5 op_sel:[0,0,1] op_sel_hi:[0,0,1]
	s_waitcnt lgkmcnt(0)
	v_fma_mix_f32 v15, s33, v45, v2 op_sel_hi:[0,0,1]
	v_fma_mix_f32 v1, s33, v1, v2 op_sel:[0,0,1] op_sel_hi:[0,0,1]
	v_fma_mix_f32 v55, s33, v46, v3 op_sel_hi:[0,0,1]
	v_fma_mix_f32 v56, s33, v24, v3 op_sel:[0,0,1] op_sel_hi:[0,0,1]
	v_add_f32_e32 v2, 0x40051340, v22
	v_add_f32_e32 v3, 0x40051340, v23
	v_fma_mix_f32 v12, s33, v12, v4 op_sel_hi:[0,0,1]
	v_fma_mix_f32 v13, s33, v13, v4 op_sel:[0,0,1] op_sel_hi:[0,0,1]
	v_max3_f32 v2, v96, v2, v3
	v_add_f32_e32 v3, 0x40051340, v6
	v_add_f32_e32 v4, 0x40051340, v7
	v_max3_f32 v2, v2, v3, v4
	v_add_f32_e32 v3, 0x40051340, v8
	v_add_f32_e32 v4, 0x40051340, v9
	;; [unrolled: 3-line block ×7, first 2 shown]
	v_max3_f32 v2, v2, v3, v4
	v_mbcnt_hi_u32_b32 v3, -1, v94
	v_and_b32_e32 v4, 64, v3
	v_add_u32_e32 v4, 64, v4
	v_xor_b32_e32 v24, 32, v3
	v_cmp_lt_i32_e32 vcc, v24, v4
	s_mov_b32 s1, 0x42b17218
	s_mul_hi_i32 s7, s0, s26
	v_cndmask_b32_e32 v24, v3, v24, vcc
	v_lshlrev_b32_e32 v44, 2, v24
	ds_bpermute_b32 v24, v44, v2
	s_mul_i32 s6, s0, s26
	s_lshl_b64 s[6:7], s[6:7], 2
	s_add_u32 s2, s2, s6
	s_addc_u32 s3, s3, s7
	s_waitcnt lgkmcnt(0)
	v_max_f32_e32 v24, v24, v24
	v_max_f32_e32 v2, v2, v24
	v_xor_b32_e32 v24, 16, v3
	v_cmp_lt_i32_e32 vcc, v24, v4
	s_mov_b32 s0, 0xc1a00000
	v_mul_u32_u24_e32 v0, 0x110, v0
	v_cndmask_b32_e32 v3, v3, v24, vcc
	v_lshlrev_b32_e32 v45, 2, v3
	ds_bpermute_b32 v3, v45, v2
	s_waitcnt lgkmcnt(0)
	v_max_f32_e32 v3, v3, v3
	v_max_f32_e32 v32, v2, v3
	v_sub_f32_e32 v2, v22, v32
	v_mul_f32_e32 v3, 0x3fb8aa3b, v2
	v_fma_f32 v4, v2, s5, -v3
	v_rndne_f32_e32 v22, v3
	v_fmac_f32_e32 v4, 0x32a5705f, v2
	v_sub_f32_e32 v3, v3, v22
	v_add_f32_e32 v3, v3, v4
	v_exp_f32_e32 v3, v3
	v_cvt_i32_f32_e32 v4, v22
	v_sub_f32_e32 v22, v23, v32
	v_cmp_ngt_f32_e32 vcc, s4, v2
	v_sub_f32_e32 v5, v5, v32
	v_ldexp_f32 v3, v3, v4
	v_mul_f32_e32 v4, 0x3fb8aa3b, v22
	v_fma_f32 v23, v22, s5, -v4
	v_rndne_f32_e32 v24, v4
	v_fmac_f32_e32 v23, 0x32a5705f, v22
	v_sub_f32_e32 v4, v4, v24
	v_add_f32_e32 v4, v4, v23
	v_exp_f32_e32 v23, v4
	v_cvt_i32_f32_e32 v25, v24
	v_cndmask_b32_e32 v3, 0, v3, vcc
	v_mov_b32_e32 v4, 0x7f800000
	v_cmp_nlt_f32_e32 vcc, s1, v2
	v_ldexp_f32 v2, v23, v25
	v_sub_f32_e32 v1, v1, v32
	v_cndmask_b32_e32 v24, v4, v3, vcc
	v_sub_f32_e32 v3, v6, v32
	v_mul_f32_e32 v6, 0x3fb8aa3b, v3
	v_fma_f32 v23, v3, s5, -v6
	v_rndne_f32_e32 v25, v6
	v_fmac_f32_e32 v23, 0x32a5705f, v3
	v_sub_f32_e32 v6, v6, v25
	v_add_f32_e32 v6, v6, v23
	v_exp_f32_e32 v6, v6
	v_cvt_i32_f32_e32 v23, v25
	v_cmp_ngt_f32_e32 vcc, s4, v22
	s_nop 1
	v_cndmask_b32_e32 v2, 0, v2, vcc
	v_cmp_nlt_f32_e32 vcc, s1, v22
	s_nop 1
	v_cndmask_b32_e32 v25, v4, v2, vcc
	v_ldexp_f32 v2, v6, v23
	v_sub_f32_e32 v6, v7, v32
	v_mul_f32_e32 v7, 0x3fb8aa3b, v6
	v_fma_f32 v22, v6, s5, -v7
	v_rndne_f32_e32 v23, v7
	v_fmac_f32_e32 v22, 0x32a5705f, v6
	v_sub_f32_e32 v7, v7, v23
	v_add_f32_e32 v7, v7, v22
	v_exp_f32_e32 v7, v7
	v_cvt_i32_f32_e32 v22, v23
	v_cmp_ngt_f32_e32 vcc, s4, v3
	v_sub_f32_e32 v23, v15, v32
	v_mul_f32_e32 v53, 0x3fb8aa3b, v23
	v_cndmask_b32_e32 v2, 0, v2, vcc
	v_cmp_nlt_f32_e32 vcc, s1, v3
	v_sub_f32_e32 v3, v8, v32
	v_fma_f32 v54, v23, s5, -v53
	v_cndmask_b32_e32 v26, v4, v2, vcc
	v_ldexp_f32 v2, v7, v22
	v_mul_f32_e32 v7, 0x3fb8aa3b, v3
	v_fma_f32 v8, v3, s5, -v7
	v_rndne_f32_e32 v22, v7
	v_fmac_f32_e32 v8, 0x32a5705f, v3
	v_sub_f32_e32 v7, v7, v22
	v_add_f32_e32 v7, v7, v8
	v_exp_f32_e32 v7, v7
	v_cvt_i32_f32_e32 v8, v22
	v_cmp_ngt_f32_e32 vcc, s4, v6
	v_fmac_f32_e32 v54, 0x32a5705f, v23
	s_nop 0
	v_cndmask_b32_e32 v2, 0, v2, vcc
	v_cmp_nlt_f32_e32 vcc, s1, v6
	v_sub_f32_e32 v6, v9, v32
	s_nop 0
	v_cndmask_b32_e32 v27, v4, v2, vcc
	v_ldexp_f32 v2, v7, v8
	v_mul_f32_e32 v7, 0x3fb8aa3b, v6
	v_fma_f32 v8, v6, s5, -v7
	v_rndne_f32_e32 v9, v7
	v_fmac_f32_e32 v8, 0x32a5705f, v6
	v_sub_f32_e32 v7, v7, v9
	v_add_f32_e32 v7, v7, v8
	v_exp_f32_e32 v7, v7
	v_cvt_i32_f32_e32 v8, v9
	v_cmp_ngt_f32_e32 vcc, s4, v3
	s_nop 1
	v_cndmask_b32_e32 v2, 0, v2, vcc
	v_cmp_nlt_f32_e32 vcc, s1, v3
	v_sub_f32_e32 v3, v10, v32
	v_mul_lo_u32 v10, v90, s26
	v_cndmask_b32_e32 v46, v4, v2, vcc
	v_ldexp_f32 v2, v7, v8
	v_mul_f32_e32 v7, 0x3fb8aa3b, v3
	v_fma_f32 v8, v3, s5, -v7
	v_rndne_f32_e32 v9, v7
	v_fmac_f32_e32 v8, 0x32a5705f, v3
	v_sub_f32_e32 v7, v7, v9
	v_add_f32_e32 v7, v7, v8
	v_exp_f32_e32 v7, v7
	v_cvt_i32_f32_e32 v8, v9
	v_cmp_ngt_f32_e32 vcc, s4, v6
	s_nop 1
	v_cndmask_b32_e32 v2, 0, v2, vcc
	v_cmp_nlt_f32_e32 vcc, s1, v6
	v_sub_f32_e32 v6, v11, v32
	v_ashrrev_i32_e32 v11, 31, v10
	v_cndmask_b32_e32 v47, v4, v2, vcc
	v_ldexp_f32 v2, v7, v8
	v_mul_f32_e32 v7, 0x3fb8aa3b, v6
	v_fma_f32 v8, v6, s5, -v7
	v_rndne_f32_e32 v9, v7
	v_fmac_f32_e32 v8, 0x32a5705f, v6
	v_sub_f32_e32 v7, v7, v9
	v_add_f32_e32 v7, v7, v8
	v_exp_f32_e32 v7, v7
	v_cvt_i32_f32_e32 v8, v9
	v_cmp_ngt_f32_e32 vcc, s4, v3
	v_lshl_add_u64 v[10:11], v[10:11], 2, s[2:3]
	v_lshl_add_u64 v[10:11], v[10:11], 0, v[16:17]
	v_cndmask_b32_e32 v2, 0, v2, vcc
	v_cmp_nlt_f32_e32 vcc, s1, v3
	v_sub_f32_e32 v3, v12, v32
	s_nop 0
	v_cndmask_b32_e32 v48, v4, v2, vcc
	v_ldexp_f32 v2, v7, v8
	v_mul_f32_e32 v7, 0x3fb8aa3b, v3
	v_fma_f32 v8, v3, s5, -v7
	v_rndne_f32_e32 v9, v7
	v_fmac_f32_e32 v8, 0x32a5705f, v3
	v_sub_f32_e32 v7, v7, v9
	v_add_f32_e32 v7, v7, v8
	v_exp_f32_e32 v7, v7
	v_cvt_i32_f32_e32 v8, v9
	v_cmp_ngt_f32_e32 vcc, s4, v6
	s_nop 1
	v_cndmask_b32_e32 v2, 0, v2, vcc
	v_cmp_nlt_f32_e32 vcc, s1, v6
	v_sub_f32_e32 v6, v13, v32
	s_nop 0
	v_cndmask_b32_e32 v49, v4, v2, vcc
	v_ldexp_f32 v2, v7, v8
	v_mul_f32_e32 v7, 0x3fb8aa3b, v6
	v_fma_f32 v8, v6, s5, -v7
	v_rndne_f32_e32 v9, v7
	v_fmac_f32_e32 v8, 0x32a5705f, v6
	v_sub_f32_e32 v7, v7, v9
	v_add_f32_e32 v7, v7, v8
	v_exp_f32_e32 v7, v7
	v_cvt_i32_f32_e32 v8, v9
	v_cmp_ngt_f32_e32 vcc, s4, v3
	s_nop 1
	;; [unrolled: 16-line block ×3, first 2 shown]
	v_cndmask_b32_e32 v2, 0, v2, vcc
	v_cmp_nlt_f32_e32 vcc, s1, v6
	v_mul_f32_e32 v6, 0x3fb8aa3b, v5
	s_nop 0
	v_cndmask_b32_e32 v51, v4, v2, vcc
	v_ldexp_f32 v2, v7, v8
	v_fma_f32 v7, v5, s5, -v6
	v_rndne_f32_e32 v8, v6
	v_fmac_f32_e32 v7, 0x32a5705f, v5
	v_sub_f32_e32 v6, v6, v8
	v_add_f32_e32 v6, v6, v7
	v_exp_f32_e32 v6, v6
	v_cvt_i32_f32_e32 v7, v8
	v_cmp_ngt_f32_e32 vcc, s4, v3
	v_mul_lo_u32 v8, v88, s26
	v_ashrrev_i32_e32 v9, 31, v8
	v_cndmask_b32_e32 v2, 0, v2, vcc
	v_cmp_nlt_f32_e32 vcc, s1, v3
	v_ldexp_f32 v22, v6, v7
	v_mul_lo_u32 v6, v87, s26
	v_cndmask_b32_e32 v52, v4, v2, vcc
	v_mul_lo_u32 v2, v86, s26
	v_ashrrev_i32_e32 v3, 31, v2
	v_lshl_add_u64 v[2:3], v[2:3], 2, s[2:3]
	v_ashrrev_i32_e32 v7, 31, v6
	v_lshl_add_u64 v[2:3], v[2:3], 0, v[16:17]
	v_lshl_add_u64 v[6:7], v[6:7], 2, s[2:3]
	;; [unrolled: 1-line block ×5, first 2 shown]
	global_load_dwordx4 v[12:15], v[2:3], off
	global_load_dwordx4 v[28:31], v[6:7], off
	;; [unrolled: 1-line block ×4, first 2 shown]
	v_rndne_f32_e32 v2, v53
	v_sub_f32_e32 v3, v53, v2
	v_add_f32_e32 v3, v3, v54
	v_exp_f32_e32 v3, v3
	v_cvt_i32_f32_e32 v2, v2
	v_cmp_ngt_f32_e32 vcc, s4, v5
	v_sub_f32_e32 v8, v96, v32
	v_mul_f32_e32 v9, 0x3fb8aa3b, v8
	v_cndmask_b32_e32 v6, 0, v22, vcc
	v_cmp_nlt_f32_e32 vcc, s1, v5
	v_ldexp_f32 v2, v3, v2
	v_mul_f32_e32 v3, 0x3fb8aa3b, v1
	v_cndmask_b32_e32 v53, v4, v6, vcc
	v_fma_f32 v5, v1, s5, -v3
	v_rndne_f32_e32 v6, v3
	v_fmac_f32_e32 v5, 0x32a5705f, v1
	v_sub_f32_e32 v3, v3, v6
	v_add_f32_e32 v3, v3, v5
	v_exp_f32_e32 v3, v3
	v_cvt_i32_f32_e32 v5, v6
	v_cmp_ngt_f32_e32 vcc, s4, v23
	v_fma_f32 v10, v8, s5, -v9
	v_rndne_f32_e32 v11, v9
	v_cndmask_b32_e32 v2, 0, v2, vcc
	v_cmp_nlt_f32_e32 vcc, s1, v23
	v_fmac_f32_e32 v10, 0x32a5705f, v8
	v_sub_f32_e32 v9, v9, v11
	v_cndmask_b32_e32 v54, v4, v2, vcc
	v_ldexp_f32 v2, v3, v5
	v_sub_f32_e32 v3, v55, v32
	v_mul_f32_e32 v5, 0x3fb8aa3b, v3
	v_fma_f32 v6, v3, s5, -v5
	v_rndne_f32_e32 v7, v5
	v_fmac_f32_e32 v6, 0x32a5705f, v3
	v_sub_f32_e32 v5, v5, v7
	v_add_f32_e32 v5, v5, v6
	v_exp_f32_e32 v5, v5
	v_cvt_i32_f32_e32 v6, v7
	v_cmp_ngt_f32_e32 vcc, s4, v1
	v_add_f32_e32 v9, v9, v10
	v_sub_f32_e32 v7, v56, v32
	v_cndmask_b32_e32 v2, 0, v2, vcc
	v_cmp_nlt_f32_e32 vcc, s1, v1
	v_exp_f32_e32 v9, v9
	v_cvt_i32_f32_e32 v10, v11
	v_cndmask_b32_e32 v55, v4, v2, vcc
	v_mul_f32_e32 v2, 0x3fb8aa3b, v7
	v_ldexp_f32 v1, v5, v6
	v_fma_f32 v5, v7, s5, -v2
	v_rndne_f32_e32 v6, v2
	v_cmp_ngt_f32_e32 vcc, s4, v3
	v_fmac_f32_e32 v5, 0x32a5705f, v7
	v_sub_f32_e32 v2, v2, v6
	v_cndmask_b32_e32 v1, 0, v1, vcc
	v_add_f32_e32 v2, v2, v5
	v_cvt_i32_f32_e32 v5, v6
	v_ldexp_f32 v6, v9, v10
	v_cmp_ngt_f32_e32 vcc, s4, v8
	v_exp_f32_e32 v2, v2
	s_waitcnt vmcnt(3)
	ds_write_b128 v18, v[12:15]
	s_waitcnt vmcnt(2)
	ds_write_b128 v19, v[28:31]
	;; [unrolled: 2-line block ×4, first 2 shown]
	v_cndmask_b32_e32 v6, 0, v6, vcc
	v_cmp_nlt_f32_e32 vcc, s1, v8
	v_ldexp_f32 v10, v2, v5
	v_or_b32_e32 v2, 3, v84
	v_cndmask_b32_e32 v6, v4, v6, vcc
	v_cmp_le_f32_e32 vcc, s0, v8
	v_mul_u32_u24_e32 v2, 0x110, v2
	v_add3_u32 v5, 0, v0, v83
	v_cndmask_b32_e32 v56, 0, v6, vcc
	v_cvt_f16_f32_e32 v6, v56
	s_waitcnt lgkmcnt(0)
	s_barrier
	v_mul_u32_u24_e32 v58, 0x10001, v6
	v_add3_u32 v6, 0, v2, v83
	s_mov_b32 s0, 0x5040100
	ds_read_u16 v11, v5 offset:544
	ds_read_u16 v8, v5 offset:576
	;; [unrolled: 1-line block ×8, first 2 shown]
	ds_read_u16 v13, v6
	ds_read_u16 v17, v6 offset:32
	ds_read_u16 v18, v6 offset:64
	;; [unrolled: 1-line block ×7, first 2 shown]
	v_cmp_nlt_f32_e32 vcc, s1, v3
	s_waitcnt lgkmcnt(7)
	v_perm_b32 v15, v13, v11, s0
	ds_read_u16 v11, v5
	ds_read_u16 v13, v5 offset:32
	ds_read_u16 v22, v5 offset:64
	ds_read_u16 v23, v5 offset:96
	ds_read_u16 v68, v5 offset:128
	ds_read_u16 v69, v5 offset:160
	ds_read_u16 v70, v5 offset:192
	ds_read_u16 v71, v5 offset:224
	ds_read_u16 v14, v5 offset:272
	ds_read_u16 v60, v5 offset:304
	ds_read_u16 v63, v5 offset:336
	ds_read_u16 v73, v5 offset:368
	ds_read_u16 v74, v5 offset:400
	ds_read_u16 v75, v5 offset:432
	ds_read_u16 v76, v5 offset:464
	ds_read_u16 v77, v5 offset:496
	v_cndmask_b32_e32 v57, v4, v1, vcc
	v_pk_mul_f16 v1, v37, v58
	v_pk_mul_f16 v3, v35, v58
	s_waitcnt lgkmcnt(7)
	v_perm_b32 v14, v14, v11, s0
	v_cvt_f32_f16_e32 v0, v1
	v_cvt_f32_f16_sdwa v1, v1 dst_sel:DWORD dst_unused:UNUSED_PAD src0_sel:WORD_1
	v_cvt_f32_f16_e32 v2, v3
	v_cvt_f32_f16_sdwa v3, v3 dst_sel:DWORD dst_unused:UNUSED_PAD src0_sel:WORD_1
	v_cvt_pk_f16_f32 v29, v26, v27
	v_cvt_pk_f16_f32 v28, v24, v25
	v_cmp_ngt_f32_e32 vcc, s4, v7
	v_pk_mul_f16 v148, v34, v58
	v_mfma_f32_16x16x16_f16 v[0:3], v[14:15], v[28:29], v[0:3]
	v_cndmask_b32_e32 v30, 0, v10, vcc
	ds_read_u16 v10, v5 offset:4896
	ds_read_u16 v14, v5 offset:4928
	;; [unrolled: 1-line block ×16, first 2 shown]
	s_waitcnt lgkmcnt(7)
	v_perm_b32 v11, v11, v10, s0
	v_cvt_f16_f32_e32 v0, v0
	v_cvt_f16_f32_e32 v1, v1
	;; [unrolled: 1-line block ×4, first 2 shown]
	ds_read_u16 v10, v5 offset:4352
	ds_read_u16 v62, v5 offset:4384
	;; [unrolled: 1-line block ×16, first 2 shown]
	s_waitcnt lgkmcnt(7)
	v_perm_b32 v10, v31, v10, s0
	v_cvt_f32_f16_e32 v0, v0
	v_cvt_f32_f16_e32 v1, v1
	;; [unrolled: 1-line block ×4, first 2 shown]
	v_cmp_nlt_f32_e32 vcc, s1, v7
	v_cvt_pk_f16_f32 v31, v48, v49
	v_cvt_pk_f16_f32 v35, v52, v53
	v_cndmask_b32_e32 v119, v4, v30, vcc
	v_cvt_pk_f16_f32 v30, v46, v47
	ds_read_u16 v4, v5 offset:9248
	ds_read_u16 v120, v5 offset:9280
	;; [unrolled: 1-line block ×16, first 2 shown]
	v_mfma_f32_16x16x16_f16 v[0:3], v[10:11], v[30:31], v[0:3]
	s_waitcnt lgkmcnt(7)
	v_perm_b32 v11, v7, v4, s0
	ds_read_u16 v4, v5 offset:8704
	ds_read_u16 v134, v5 offset:8736
	ds_read_u16 v135, v5 offset:8768
	ds_read_u16 v136, v5 offset:8800
	ds_read_u16 v137, v5 offset:8832
	ds_read_u16 v138, v5 offset:8864
	ds_read_u16 v139, v5 offset:8896
	ds_read_u16 v140, v5 offset:8928
	ds_read_u16 v7, v5 offset:8976
	ds_read_u16 v141, v5 offset:9008
	ds_read_u16 v142, v5 offset:9040
	ds_read_u16 v143, v5 offset:9072
	ds_read_u16 v144, v5 offset:9104
	ds_read_u16 v145, v5 offset:9136
	ds_read_u16 v146, v5 offset:9168
	ds_read_u16 v147, v5 offset:9200
	s_waitcnt lgkmcnt(7)
	v_perm_b32 v10, v7, v4, s0
	v_cvt_f16_f32_e32 v0, v0
	v_cvt_f16_f32_e32 v1, v1
	;; [unrolled: 1-line block ×4, first 2 shown]
	v_cvt_f32_f16_e32 v0, v0
	v_cvt_f32_f16_e32 v1, v1
	;; [unrolled: 1-line block ×4, first 2 shown]
	v_cvt_pk_f16_f32 v34, v50, v51
	ds_read_u16 v4, v5 offset:13600
	ds_read_u16 v149, v5 offset:13632
	;; [unrolled: 1-line block ×16, first 2 shown]
	v_mfma_f32_16x16x16_f16 v[0:3], v[10:11], v[34:35], v[0:3]
	s_waitcnt lgkmcnt(7)
	v_perm_b32 v7, v7, v4, s0
	ds_read_u16 v4, v5 offset:13056
	ds_read_u16 v163, v5 offset:13088
	;; [unrolled: 1-line block ×16, first 2 shown]
	s_waitcnt lgkmcnt(7)
	v_perm_b32 v6, v6, v4, s0
	v_cvt_f16_f32_e32 v0, v0
	v_cvt_f16_f32_e32 v1, v1
	;; [unrolled: 1-line block ×4, first 2 shown]
	v_cvt_f32_f16_e32 v0, v0
	v_cvt_f32_f16_e32 v1, v1
	;; [unrolled: 1-line block ×4, first 2 shown]
	v_pk_mul_f16 v184, v36, v58
	v_cvt_pk_f16_f32 v37, v57, v119
	v_cvt_pk_f16_f32 v36, v54, v55
	v_perm_b32 v11, v17, v8, s0
	v_perm_b32 v10, v60, v13, s0
	v_mfma_f32_16x16x16_f16 v[0:3], v[6:7], v[36:37], v[0:3]
	v_cvt_f32_f16_e32 v4, v148
	v_cvt_f32_f16_sdwa v5, v148 dst_sel:DWORD dst_unused:UNUSED_PAD src0_sel:WORD_1
	v_cvt_f32_f16_e32 v6, v184
	v_cvt_f32_f16_sdwa v7, v184 dst_sel:DWORD dst_unused:UNUSED_PAD src0_sel:WORD_1
	v_pk_mul_f16 v8, v110, v58
	v_pk_mul_f16 v13, v108, v58
	v_mfma_f32_16x16x16_f16 v[4:7], v[10:11], v[28:29], v[4:7]
	v_perm_b32 v11, v61, v14, s0
	v_perm_b32 v10, v112, v62, s0
	v_cvt_f32_f16_e32 v60, v8
	v_cvt_f32_f16_sdwa v61, v8 dst_sel:DWORD dst_unused:UNUSED_PAD src0_sel:WORD_1
	s_nop 3
	v_cvt_f16_f32_e32 v4, v4
	v_cvt_f16_f32_e32 v5, v5
	;; [unrolled: 1-line block ×4, first 2 shown]
	v_cvt_f32_f16_e32 v4, v4
	v_cvt_f32_f16_e32 v5, v5
	;; [unrolled: 1-line block ×4, first 2 shown]
	v_perm_b32 v9, v18, v9, s0
	v_perm_b32 v8, v63, v22, s0
	v_mfma_f32_16x16x16_f16 v[4:7], v[10:11], v[30:31], v[4:7]
	v_perm_b32 v11, v127, v120, s0
	v_perm_b32 v10, v141, v134, s0
	v_cvt_f32_f16_e32 v62, v13
	v_cvt_f32_f16_sdwa v63, v13 dst_sel:DWORD dst_unused:UNUSED_PAD src0_sel:WORD_1
	s_nop 3
	v_cvt_f16_f32_e32 v4, v4
	v_cvt_f16_f32_e32 v5, v5
	v_cvt_f16_f32_e32 v6, v6
	v_cvt_f16_f32_e32 v7, v7
	v_cvt_f32_f16_e32 v4, v4
	v_cvt_f32_f16_e32 v5, v5
	;; [unrolled: 1-line block ×4, first 2 shown]
	v_perm_b32 v15, v90, v15, s0
	v_perm_b32 v14, v113, v102, s0
	v_mfma_f32_16x16x16_f16 v[4:7], v[10:11], v[34:35], v[4:7]
	v_perm_b32 v11, v156, v149, s0
	s_waitcnt lgkmcnt(6)
	v_perm_b32 v10, v177, v163, s0
	v_pk_mul_f16 v13, v98, v58
	v_pk_mul_f16 v17, v43, v58
	s_nop 2
	v_cvt_f16_f32_e32 v4, v4
	v_cvt_f16_f32_e32 v5, v5
	v_cvt_f16_f32_e32 v6, v6
	v_cvt_f16_f32_e32 v7, v7
	v_cvt_f32_f16_e32 v4, v4
	v_cvt_f32_f16_e32 v5, v5
	;; [unrolled: 1-line block ×4, first 2 shown]
	v_perm_b32 v18, v114, v103, s0
	v_pk_mul_f16 v22, v33, v58
	v_mfma_f32_16x16x16_f16 v[4:7], v[10:11], v[36:37], v[4:7]
	v_pk_mul_f16 v33, v38, v58
	v_perm_b32 v38, v116, v106, s0
	v_perm_b32 v43, v66, v59, s0
	v_mfma_f32_16x16x16_f16 v[8:11], v[8:9], v[28:29], v[60:63]
	v_add_f32_e32 v24, v24, v25
	v_add_f32_e32 v26, v26, v24
	v_add_f32_e32 v26, v27, v26
	v_cvt_f32_f16_e32 v60, v13
	v_cvt_f32_f16_sdwa v61, v13 dst_sel:DWORD dst_unused:UNUSED_PAD src0_sel:WORD_1
	s_nop 2
	v_cvt_f16_f32_e32 v8, v8
	v_cvt_f16_f32_e32 v9, v9
	;; [unrolled: 1-line block ×4, first 2 shown]
	v_cvt_f32_f16_e32 v8, v8
	v_cvt_f32_f16_e32 v9, v9
	;; [unrolled: 1-line block ×4, first 2 shown]
	v_perm_b32 v13, v19, v12, s0
	v_perm_b32 v12, v73, v23, s0
	v_mfma_f32_16x16x16_f16 v[8:11], v[14:15], v[30:31], v[8:11]
	v_perm_b32 v15, v128, v121, s0
	v_perm_b32 v14, v142, v135, s0
	v_cvt_f32_f16_e32 v62, v17
	v_cvt_f32_f16_sdwa v63, v17 dst_sel:DWORD dst_unused:UNUSED_PAD src0_sel:WORD_1
	s_nop 3
	v_cvt_f16_f32_e32 v8, v8
	v_cvt_f16_f32_e32 v9, v9
	;; [unrolled: 1-line block ×4, first 2 shown]
	v_cvt_f32_f16_e32 v8, v8
	v_cvt_f32_f16_e32 v9, v9
	;; [unrolled: 1-line block ×4, first 2 shown]
	v_perm_b32 v19, v94, v83, s0
	v_pk_mul_f16 v17, v39, v58
	v_mfma_f32_16x16x16_f16 v[8:11], v[14:15], v[34:35], v[8:11]
	v_perm_b32 v15, v157, v150, s0
	s_waitcnt lgkmcnt(5)
	v_perm_b32 v14, v178, v164, s0
	v_perm_b32 v23, v95, v84, s0
	;; [unrolled: 1-line block ×3, first 2 shown]
	s_nop 2
	v_cvt_f16_f32_e32 v8, v8
	v_cvt_f16_f32_e32 v9, v9
	;; [unrolled: 1-line block ×4, first 2 shown]
	v_cvt_f32_f16_e32 v8, v8
	v_cvt_f32_f16_e32 v9, v9
	;; [unrolled: 1-line block ×4, first 2 shown]
	v_add_f32_e32 v26, v46, v26
	s_mov_b32 s1, 0
	v_mfma_f32_16x16x16_f16 v[8:11], v[14:15], v[36:37], v[8:11]
	s_movk_i32 s2, 0x110
	v_cmp_gt_u32_e32 vcc, 16, v78
	s_waitcnt lgkmcnt(0)
	v_mfma_f32_16x16x16_f16 v[12:15], v[12:13], v[28:29], v[60:63]
	s_barrier
	s_nop 1
	v_cvt_f32_f16_e32 v60, v17
	v_cvt_f32_f16_sdwa v61, v17 dst_sel:DWORD dst_unused:UNUSED_PAD src0_sel:WORD_1
	s_nop 2
	v_cvt_f16_f32_e32 v12, v12
	v_cvt_f16_f32_e32 v13, v13
	;; [unrolled: 1-line block ×4, first 2 shown]
	v_cvt_f32_f16_e32 v12, v12
	v_cvt_f32_f16_e32 v13, v13
	;; [unrolled: 1-line block ×4, first 2 shown]
	v_perm_b32 v17, v21, v16, s0
	v_perm_b32 v16, v74, v68, s0
	v_mfma_f32_16x16x16_f16 v[12:15], v[18:19], v[30:31], v[12:15]
	v_perm_b32 v19, v129, v122, s0
	v_perm_b32 v18, v143, v136, s0
	v_cvt_f32_f16_e32 v62, v22
	v_cvt_f32_f16_sdwa v63, v22 dst_sel:DWORD dst_unused:UNUSED_PAD src0_sel:WORD_1
	s_nop 3
	v_cvt_f16_f32_e32 v12, v12
	v_cvt_f16_f32_e32 v13, v13
	;; [unrolled: 1-line block ×4, first 2 shown]
	v_cvt_f32_f16_e32 v12, v12
	v_cvt_f32_f16_e32 v13, v13
	;; [unrolled: 1-line block ×4, first 2 shown]
	v_perm_b32 v22, v115, v104, s0
	v_pk_mul_f16 v21, v42, v58
	v_mfma_f32_16x16x16_f16 v[12:15], v[18:19], v[34:35], v[12:15]
	v_perm_b32 v19, v158, v151, s0
	v_perm_b32 v18, v179, v165, s0
	;; [unrolled: 1-line block ×3, first 2 shown]
	s_barrier
	s_nop 3
	v_cvt_f16_f32_e32 v12, v12
	v_cvt_f16_f32_e32 v13, v13
	;; [unrolled: 1-line block ×4, first 2 shown]
	v_cvt_f32_f16_e32 v12, v12
	v_cvt_f32_f16_e32 v13, v13
	;; [unrolled: 1-line block ×4, first 2 shown]
	s_nop 1
	v_mfma_f32_16x16x16_f16 v[12:15], v[18:19], v[36:37], v[12:15]
	v_mfma_f32_16x16x16_f16 v[16:19], v[16:17], v[28:29], v[60:63]
	s_nop 2
	v_cvt_f32_f16_e32 v60, v21
	v_cvt_f32_f16_sdwa v61, v21 dst_sel:DWORD dst_unused:UNUSED_PAD src0_sel:WORD_1
	s_nop 2
	v_cvt_f16_f32_e32 v16, v16
	v_cvt_f16_f32_e32 v17, v17
	;; [unrolled: 1-line block ×4, first 2 shown]
	v_cvt_f32_f16_e32 v16, v16
	v_cvt_f32_f16_e32 v17, v17
	v_cvt_f32_f16_e32 v18, v18
	v_cvt_f32_f16_e32 v19, v19
	v_perm_b32 v21, v65, v20, s0
	v_perm_b32 v20, v75, v69, s0
	v_mfma_f32_16x16x16_f16 v[16:19], v[22:23], v[30:31], v[16:19]
	v_perm_b32 v23, v130, v123, s0
	v_perm_b32 v22, v144, v137, s0
	v_cvt_f32_f16_e32 v62, v33
	v_cvt_f32_f16_sdwa v63, v33 dst_sel:DWORD dst_unused:UNUSED_PAD src0_sel:WORD_1
	s_nop 3
	v_cvt_f16_f32_e32 v16, v16
	v_cvt_f16_f32_e32 v17, v17
	;; [unrolled: 1-line block ×4, first 2 shown]
	v_cvt_f32_f16_e32 v16, v16
	v_cvt_f32_f16_e32 v17, v17
	;; [unrolled: 1-line block ×4, first 2 shown]
	v_pk_mul_f16 v33, v41, v58
	v_pk_mul_f16 v41, v40, v58
	v_mfma_f32_16x16x16_f16 v[16:19], v[22:23], v[34:35], v[16:19]
	v_perm_b32 v23, v159, v152, s0
	v_perm_b32 v22, v180, v171, s0
	v_cvt_f32_f16_e32 v40, v41
	v_cvt_f32_f16_sdwa v41, v41 dst_sel:DWORD dst_unused:UNUSED_PAD src0_sel:WORD_1
	s_nop 3
	v_cvt_f16_f32_e32 v16, v16
	v_cvt_f16_f32_e32 v17, v17
	;; [unrolled: 1-line block ×4, first 2 shown]
	v_cvt_f32_f16_e32 v16, v16
	v_cvt_f32_f16_e32 v17, v17
	;; [unrolled: 1-line block ×4, first 2 shown]
	s_nop 1
	v_mfma_f32_16x16x16_f16 v[16:19], v[22:23], v[36:37], v[16:19]
	v_mfma_f32_16x16x16_f16 v[20:23], v[20:21], v[28:29], v[60:63]
	s_nop 7
	v_cvt_f16_f32_e32 v20, v20
	v_cvt_f16_f32_e32 v21, v21
	;; [unrolled: 1-line block ×4, first 2 shown]
	v_cvt_f32_f16_e32 v20, v20
	v_cvt_f32_f16_e32 v21, v21
	;; [unrolled: 1-line block ×4, first 2 shown]
	s_nop 1
	v_mfma_f32_16x16x16_f16 v[20:23], v[38:39], v[30:31], v[20:23]
	v_perm_b32 v39, v131, v124, s0
	v_perm_b32 v38, v145, v138, s0
	s_nop 5
	v_cvt_f16_f32_e32 v20, v20
	v_cvt_f16_f32_e32 v21, v21
	;; [unrolled: 1-line block ×4, first 2 shown]
	v_cvt_f32_f16_e32 v20, v20
	v_cvt_f32_f16_e32 v21, v21
	;; [unrolled: 1-line block ×4, first 2 shown]
	s_nop 1
	v_mfma_f32_16x16x16_f16 v[20:23], v[38:39], v[34:35], v[20:23]
	v_perm_b32 v39, v160, v153, s0
	v_perm_b32 v38, v181, v172, s0
	s_nop 5
	v_cvt_f16_f32_e32 v20, v20
	v_cvt_f16_f32_e32 v21, v21
	;; [unrolled: 1-line block ×4, first 2 shown]
	v_cvt_f32_f16_e32 v20, v20
	v_cvt_f32_f16_e32 v21, v21
	;; [unrolled: 1-line block ×4, first 2 shown]
	s_nop 1
	v_mfma_f32_16x16x16_f16 v[20:23], v[38:39], v[36:37], v[20:23]
	v_cvt_f32_f16_e32 v38, v33
	v_cvt_f32_f16_sdwa v39, v33 dst_sel:DWORD dst_unused:UNUSED_PAD src0_sel:WORD_1
	s_nop 1
	v_mfma_f32_16x16x16_f16 v[38:41], v[42:43], v[28:29], v[38:41]
	v_perm_b32 v43, v99, v87, s0
	v_perm_b32 v42, v117, v107, s0
	s_nop 5
	v_cvt_f16_f32_e32 v33, v38
	v_cvt_f16_f32_e32 v39, v39
	v_cvt_f16_f32_e32 v40, v40
	v_cvt_f16_f32_e32 v41, v41
	v_cvt_f32_f16_e32 v38, v33
	v_cvt_f32_f16_e32 v39, v39
	;; [unrolled: 1-line block ×4, first 2 shown]
	s_nop 1
	v_mfma_f32_16x16x16_f16 v[38:41], v[42:43], v[30:31], v[38:41]
	v_perm_b32 v43, v67, v64, s0
	v_perm_b32 v42, v77, v71, s0
	s_nop 5
	v_cvt_f16_f32_e32 v24, v38
	v_cvt_f16_f32_e32 v25, v39
	v_cvt_f16_f32_e32 v33, v40
	v_cvt_f16_f32_e32 v41, v41
	v_cvt_f32_f16_e32 v38, v24
	v_cvt_f32_f16_e32 v39, v25
	v_perm_b32 v25, v132, v125, s0
	v_perm_b32 v24, v146, v139, s0
	v_cvt_f32_f16_e32 v40, v33
	v_cvt_f32_f16_e32 v41, v41
	v_add_f32_e32 v33, v47, v26
	v_add_f32_e32 v33, v48, v33
	v_mfma_f32_16x16x16_f16 v[24:27], v[24:25], v[34:35], v[38:41]
	v_add_f32_e32 v33, v49, v33
	v_add_f32_e32 v33, v50, v33
	s_nop 0
	v_perm_b32 v39, v161, v154, s0
	v_perm_b32 v38, v182, v175, s0
	s_nop 2
	v_cvt_f16_f32_e32 v24, v24
	v_cvt_f16_f32_e32 v25, v25
	;; [unrolled: 1-line block ×4, first 2 shown]
	v_cvt_f32_f16_e32 v24, v24
	v_cvt_f32_f16_e32 v25, v25
	;; [unrolled: 1-line block ×4, first 2 shown]
	v_pk_mul_f16 v40, v92, v58
	v_pk_mul_f16 v41, v91, v58
	v_mfma_f32_16x16x16_f16 v[24:27], v[38:39], v[36:37], v[24:27]
	v_cvt_f32_f16_e32 v38, v40
	v_cvt_f32_f16_sdwa v39, v40 dst_sel:DWORD dst_unused:UNUSED_PAD src0_sel:WORD_1
	v_cvt_f32_f16_e32 v40, v41
	v_cvt_f32_f16_sdwa v41, v41 dst_sel:DWORD dst_unused:UNUSED_PAD src0_sel:WORD_1
	v_add_f32_e32 v33, v51, v33
	v_add_f32_e32 v33, v52, v33
	v_mfma_f32_16x16x16_f16 v[38:41], v[42:43], v[28:29], v[38:41]
	v_add_f32_e32 v33, v53, v33
	v_add_f32_e32 v33, v54, v33
	;; [unrolled: 1-line block ×4, first 2 shown]
	s_nop 3
	v_cvt_f16_f32_e32 v28, v38
	v_cvt_f16_f32_e32 v29, v39
	;; [unrolled: 1-line block ×4, first 2 shown]
	v_cvt_f32_f16_e32 v38, v28
	v_cvt_f32_f16_e32 v39, v29
	v_perm_b32 v29, v100, v88, s0
	v_perm_b32 v28, v118, v111, s0
	v_cvt_f32_f16_e32 v40, v40
	v_cvt_f32_f16_e32 v41, v41
	v_add_f32_e32 v33, v119, v33
	v_fmac_f32_e32 v33, v72, v56
	v_mfma_f32_16x16x16_f16 v[28:31], v[28:29], v[30:31], v[38:41]
	s_nop 2
	v_perm_b32 v39, v133, v126, s0
	v_perm_b32 v38, v147, v140, s0
	s_nop 2
	v_cvt_f16_f32_e32 v28, v28
	v_cvt_f16_f32_e32 v29, v29
	;; [unrolled: 1-line block ×4, first 2 shown]
	v_cvt_f32_f16_e32 v28, v28
	v_cvt_f32_f16_e32 v29, v29
	v_cvt_f32_f16_e32 v30, v30
	v_cvt_f32_f16_e32 v31, v31
	s_nop 1
	v_mfma_f32_16x16x16_f16 v[28:31], v[38:39], v[34:35], v[28:31]
	ds_bpermute_b32 v38, v44, v33
	v_perm_b32 v35, v162, v155, s0
	v_perm_b32 v34, v183, v176, s0
	s_waitcnt lgkmcnt(0)
	v_add_f32_e32 v33, v33, v38
	s_nop 2
	v_cvt_f16_f32_e32 v28, v28
	v_cvt_f16_f32_e32 v29, v29
	;; [unrolled: 1-line block ×4, first 2 shown]
	v_cvt_f32_f16_e32 v28, v28
	v_cvt_f32_f16_e32 v29, v29
	;; [unrolled: 1-line block ×4, first 2 shown]
	s_nop 1
	v_mfma_f32_16x16x16_f16 v[28:31], v[34:35], v[36:37], v[28:31]
	ds_bpermute_b32 v34, v45, v33
	s_and_saveexec_b64 s[4:5], vcc
	s_cbranch_execz .LBB25_822
; %bb.821:
	s_add_i32 s0, s27, s17
	s_lshl_b32 s0, s0, 6
	s_lshl_b64 s[6:7], s[0:1], 3
	s_add_u32 s6, s22, s6
	v_or_b32_e32 v35, v173, v78
	s_addc_u32 s7, s23, s7
	v_lshlrev_b32_e32 v35, 3, v35
	s_waitcnt lgkmcnt(0)
	v_add_f32_e32 v33, v33, v34
	global_store_dwordx2 v35, v[32:33], s[6:7]
.LBB25_822:
	s_or_b64 exec, exec, s[4:5]
	s_load_dword s0, s[24:25], 0x0
	s_load_dword s3, s[24:25], 0x10
	v_cvt_pk_f16_f32 v2, v2, v3
	v_cvt_pk_f16_f32 v3, v4, v5
	;; [unrolled: 1-line block ×4, first 2 shown]
	s_waitcnt lgkmcnt(0)
	s_lshr_b32 s3, s3, 16
	v_or_b32_e32 v16, v173, v80
	s_cmp_lg_u32 s3, 0
	v_mul_u32_u24_e32 v16, 0x110, v16
	s_cselect_b64 s[4:5], -1, 0
	v_cvt_pk_f16_f32 v0, v0, v1
	v_cvt_pk_f16_f32 v8, v18, v19
	v_add3_u32 v16, 0, v82, v16
	s_cmp_lg_u64 s[4:5], 0
	v_cvt_pk_f16_f32 v1, v6, v7
	v_cvt_pk_f16_f32 v4, v10, v11
	;; [unrolled: 1-line block ×10, first 2 shown]
	s_addc_u32 s0, s0, 0
	ds_write2_b32 v16, v0, v2 offset1:1
	ds_write2_b32 v16, v3, v1 offset0:8 offset1:9
	ds_write2_b32 v16, v5, v4 offset0:16 offset1:17
	;; [unrolled: 1-line block ×7, first 2 shown]
	v_mad_u32_u24 v8, v170, s2, v79
	s_lshl_b32 s0, s0, 7
	s_waitcnt lgkmcnt(0)
	s_barrier
	ds_read_b32 v1, v8
	ds_read_b32 v2, v8 offset:1088
	ds_read_b32 v7, v8 offset:2176
	;; [unrolled: 1-line block ×7, first 2 shown]
	s_lshl_b32 s4, s17, 12
	s_mov_b32 s5, s1
	s_lshl_b64 s[0:1], s[0:1], 3
	s_waitcnt lgkmcnt(7)
	v_cvt_f32_f16_e32 v0, v1
	v_cvt_f32_f16_sdwa v1, v1 dst_sel:DWORD dst_unused:UNUSED_PAD src0_sel:WORD_1
	s_add_u32 s3, s22, s0
	s_addc_u32 s6, s23, s1
	s_lshl_b64 s[0:1], s[4:5], 3
	s_add_u32 s0, s3, s0
	v_lshlrev_b32_e32 v3, 6, v170
	s_addc_u32 s1, s6, s1
	v_add_lshl_u32 v3, v3, v78, 3
	v_pk_add_f32 v[0:1], v[0:1], 0 op_sel_hi:[1,0]
	global_store_dwordx2 v3, v[0:1], s[0:1]
	s_waitcnt lgkmcnt(6)
	v_cvt_f32_f16_e32 v0, v2
	v_cvt_f32_f16_sdwa v1, v2 dst_sel:DWORD dst_unused:UNUSED_PAD src0_sel:WORD_1
	s_waitcnt lgkmcnt(5)
	v_cvt_f32_f16_e32 v6, v7
	v_cvt_f32_f16_sdwa v7, v7 dst_sel:DWORD dst_unused:UNUSED_PAD src0_sel:WORD_1
	v_lshl_add_u32 v2, v192, 6, v78
	v_mov_b32_e32 v3, 0
	v_lshl_add_u64 v[4:5], v[2:3], 3, s[0:1]
	v_pk_add_f32 v[0:1], v[0:1], 0 op_sel_hi:[1,0]
	global_store_dwordx2 v[4:5], v[0:1], off
	v_lshlrev_b32_e32 v0, 6, v191
	v_add_lshl_u32 v2, v0, v78, 3
	v_pk_add_f32 v[0:1], v[6:7], 0 op_sel_hi:[1,0]
	global_store_dwordx2 v2, v[0:1], s[0:1]
	v_lshl_add_u32 v2, v190, 6, v78
	s_waitcnt lgkmcnt(4)
	v_cvt_f32_f16_e32 v4, v9
	v_cvt_f32_f16_sdwa v5, v9 dst_sel:DWORD dst_unused:UNUSED_PAD src0_sel:WORD_1
	v_lshl_add_u64 v[0:1], v[2:3], 3, s[0:1]
	v_and_b32_e32 v2, 15, v170
	s_movk_i32 s3, 0x7f0
	v_and_or_b32 v6, v169, s3, v2
	v_and_or_b32 v7, v109, s3, v2
	v_mad_u32_u24 v6, v6, s2, v79
	v_mad_u32_u24 v7, v7, s2, v79
	v_and_or_b32 v2, v93, s3, v2
	v_mad_u32_u24 v2, v2, s2, v79
	ds_read_b32 v9, v6
	ds_read_b32 v14, v7
	ds_read_b32 v15, v8 offset:10880
	ds_read_b32 v16, v8 offset:11968
	ds_read_b32 v17, v2
	ds_read_b32 v18, v8 offset:14144
	ds_read_b32 v19, v8 offset:15232
	;; [unrolled: 1-line block ×3, first 2 shown]
	s_waitcnt lgkmcnt(7)
	v_cvt_f32_f16_e32 v6, v9
	v_cvt_f32_f16_sdwa v7, v9 dst_sel:DWORD dst_unused:UNUSED_PAD src0_sel:WORD_1
	v_pk_add_f32 v[4:5], v[4:5], 0 op_sel_hi:[1,0]
	global_store_dwordx2 v[0:1], v[4:5], off
	v_cvt_f32_f16_e32 v4, v10
	v_cvt_f32_f16_sdwa v5, v10 dst_sel:DWORD dst_unused:UNUSED_PAD src0_sel:WORD_1
	v_lshlrev_b32_e32 v0, 6, v169
	v_add_lshl_u32 v2, v0, v78, 3
	v_pk_add_f32 v[0:1], v[6:7], 0 op_sel_hi:[1,0]
	global_store_dwordx2 v2, v[0:1], s[0:1]
	v_lshl_add_u32 v2, v168, 6, v78
	v_cvt_f32_f16_e32 v6, v11
	v_cvt_f32_f16_sdwa v7, v11 dst_sel:DWORD dst_unused:UNUSED_PAD src0_sel:WORD_1
	v_lshl_add_u64 v[0:1], v[2:3], 3, s[0:1]
	v_pk_add_f32 v[4:5], v[4:5], 0 op_sel_hi:[1,0]
	global_store_dwordx2 v[0:1], v[4:5], off
	v_cvt_f32_f16_e32 v4, v12
	v_cvt_f32_f16_sdwa v5, v12 dst_sel:DWORD dst_unused:UNUSED_PAD src0_sel:WORD_1
	v_lshlrev_b32_e32 v0, 6, v167
	v_add_lshl_u32 v2, v0, v78, 3
	v_pk_add_f32 v[0:1], v[6:7], 0 op_sel_hi:[1,0]
	global_store_dwordx2 v2, v[0:1], s[0:1]
	v_lshl_add_u32 v2, v166, 6, v78
	s_waitcnt lgkmcnt(6)
	v_cvt_f32_f16_e32 v6, v14
	v_cvt_f32_f16_sdwa v7, v14 dst_sel:DWORD dst_unused:UNUSED_PAD src0_sel:WORD_1
	v_lshl_add_u64 v[0:1], v[2:3], 3, s[0:1]
	v_pk_add_f32 v[4:5], v[4:5], 0 op_sel_hi:[1,0]
	global_store_dwordx2 v[0:1], v[4:5], off
	v_cvt_f32_f16_e32 v4, v13
	v_cvt_f32_f16_sdwa v5, v13 dst_sel:DWORD dst_unused:UNUSED_PAD src0_sel:WORD_1
	v_lshlrev_b32_e32 v0, 6, v109
	v_add_lshl_u32 v2, v0, v78, 3
	v_pk_add_f32 v[0:1], v[6:7], 0 op_sel_hi:[1,0]
	global_store_dwordx2 v2, v[0:1], s[0:1]
	v_lshl_add_u32 v2, v105, 6, v78
	s_waitcnt lgkmcnt(5)
	v_cvt_f32_f16_e32 v6, v15
	v_cvt_f32_f16_sdwa v7, v15 dst_sel:DWORD dst_unused:UNUSED_PAD src0_sel:WORD_1
	v_lshl_add_u64 v[0:1], v[2:3], 3, s[0:1]
	v_pk_add_f32 v[4:5], v[4:5], 0 op_sel_hi:[1,0]
	global_store_dwordx2 v[0:1], v[4:5], off
	s_waitcnt lgkmcnt(4)
	v_cvt_f32_f16_e32 v4, v16
	v_cvt_f32_f16_sdwa v5, v16 dst_sel:DWORD dst_unused:UNUSED_PAD src0_sel:WORD_1
	v_lshlrev_b32_e32 v0, 6, v101
	v_add_lshl_u32 v2, v0, v78, 3
	v_pk_add_f32 v[0:1], v[6:7], 0 op_sel_hi:[1,0]
	global_store_dwordx2 v2, v[0:1], s[0:1]
	v_lshl_add_u32 v2, v97, 6, v78
	s_waitcnt lgkmcnt(3)
	v_cvt_f32_f16_e32 v6, v17
	v_cvt_f32_f16_sdwa v7, v17 dst_sel:DWORD dst_unused:UNUSED_PAD src0_sel:WORD_1
	v_lshl_add_u64 v[0:1], v[2:3], 3, s[0:1]
	v_pk_add_f32 v[4:5], v[4:5], 0 op_sel_hi:[1,0]
	global_store_dwordx2 v[0:1], v[4:5], off
	s_waitcnt lgkmcnt(2)
	;; [unrolled: 14-line block ×3, first 2 shown]
	v_cvt_f32_f16_e32 v4, v8
	v_cvt_f32_f16_sdwa v5, v8 dst_sel:DWORD dst_unused:UNUSED_PAD src0_sel:WORD_1
	v_lshlrev_b32_e32 v0, 6, v85
	v_add_lshl_u32 v2, v0, v78, 3
	v_pk_add_f32 v[0:1], v[6:7], 0 op_sel_hi:[1,0]
	global_store_dwordx2 v2, v[0:1], s[0:1]
	v_lshl_add_u32 v2, v81, 6, v78
	v_lshl_add_u64 v[0:1], v[2:3], 3, s[0:1]
	v_pk_add_f32 v[2:3], v[4:5], 0 op_sel_hi:[1,0]
	global_store_dwordx2 v[0:1], v[2:3], off
	s_endpgm
	.section	.rodata,"a",@progbits
	.p2align	6, 0x0
	.amdhsa_kernel _ZL18flash_attn_ext_f16ILi128ELi128ELi8ELi8ELb1ELb0EEvPKcS1_S1_S1_S1_PKiPfP15HIP_vector_typeIfLj2EEffffjfiS5_IjLj3EEiiiiiiiiiiiliiliiiiil
		.amdhsa_group_segment_fixed_size 0
		.amdhsa_private_segment_fixed_size 88
		.amdhsa_kernarg_size 464
		.amdhsa_user_sgpr_count 2
		.amdhsa_user_sgpr_dispatch_ptr 0
		.amdhsa_user_sgpr_queue_ptr 0
		.amdhsa_user_sgpr_kernarg_segment_ptr 1
		.amdhsa_user_sgpr_dispatch_id 0
		.amdhsa_user_sgpr_kernarg_preload_length 0
		.amdhsa_user_sgpr_kernarg_preload_offset 0
		.amdhsa_user_sgpr_private_segment_size 0
		.amdhsa_uses_dynamic_stack 0
		.amdhsa_enable_private_segment 1
		.amdhsa_system_sgpr_workgroup_id_x 1
		.amdhsa_system_sgpr_workgroup_id_y 0
		.amdhsa_system_sgpr_workgroup_id_z 0
		.amdhsa_system_sgpr_workgroup_info 0
		.amdhsa_system_vgpr_workitem_id 1
		.amdhsa_next_free_vgpr 256
		.amdhsa_next_free_sgpr 100
		.amdhsa_accum_offset 256
		.amdhsa_reserve_vcc 1
		.amdhsa_float_round_mode_32 0
		.amdhsa_float_round_mode_16_64 0
		.amdhsa_float_denorm_mode_32 3
		.amdhsa_float_denorm_mode_16_64 3
		.amdhsa_dx10_clamp 1
		.amdhsa_ieee_mode 1
		.amdhsa_fp16_overflow 0
		.amdhsa_tg_split 0
		.amdhsa_exception_fp_ieee_invalid_op 0
		.amdhsa_exception_fp_denorm_src 0
		.amdhsa_exception_fp_ieee_div_zero 0
		.amdhsa_exception_fp_ieee_overflow 0
		.amdhsa_exception_fp_ieee_underflow 0
		.amdhsa_exception_fp_ieee_inexact 0
		.amdhsa_exception_int_div_zero 0
	.end_amdhsa_kernel
	.section	.text._ZL18flash_attn_ext_f16ILi128ELi128ELi8ELi8ELb1ELb0EEvPKcS1_S1_S1_S1_PKiPfP15HIP_vector_typeIfLj2EEffffjfiS5_IjLj3EEiiiiiiiiiiiliiliiiiil,"axG",@progbits,_ZL18flash_attn_ext_f16ILi128ELi128ELi8ELi8ELb1ELb0EEvPKcS1_S1_S1_S1_PKiPfP15HIP_vector_typeIfLj2EEffffjfiS5_IjLj3EEiiiiiiiiiiiliiliiiiil,comdat
.Lfunc_end25:
	.size	_ZL18flash_attn_ext_f16ILi128ELi128ELi8ELi8ELb1ELb0EEvPKcS1_S1_S1_S1_PKiPfP15HIP_vector_typeIfLj2EEffffjfiS5_IjLj3EEiiiiiiiiiiiliiliiiiil, .Lfunc_end25-_ZL18flash_attn_ext_f16ILi128ELi128ELi8ELi8ELb1ELb0EEvPKcS1_S1_S1_S1_PKiPfP15HIP_vector_typeIfLj2EEffffjfiS5_IjLj3EEiiiiiiiiiiiliiliiiiil
                                        ; -- End function
	.set _ZL18flash_attn_ext_f16ILi128ELi128ELi8ELi8ELb1ELb0EEvPKcS1_S1_S1_S1_PKiPfP15HIP_vector_typeIfLj2EEffffjfiS5_IjLj3EEiiiiiiiiiiiliiliiiiil.num_vgpr, 256
	.set _ZL18flash_attn_ext_f16ILi128ELi128ELi8ELi8ELb1ELb0EEvPKcS1_S1_S1_S1_PKiPfP15HIP_vector_typeIfLj2EEffffjfiS5_IjLj3EEiiiiiiiiiiiliiliiiiil.num_agpr, 0
	.set _ZL18flash_attn_ext_f16ILi128ELi128ELi8ELi8ELb1ELb0EEvPKcS1_S1_S1_S1_PKiPfP15HIP_vector_typeIfLj2EEffffjfiS5_IjLj3EEiiiiiiiiiiiliiliiiiil.numbered_sgpr, 100
	.set _ZL18flash_attn_ext_f16ILi128ELi128ELi8ELi8ELb1ELb0EEvPKcS1_S1_S1_S1_PKiPfP15HIP_vector_typeIfLj2EEffffjfiS5_IjLj3EEiiiiiiiiiiiliiliiiiil.num_named_barrier, 0
	.set _ZL18flash_attn_ext_f16ILi128ELi128ELi8ELi8ELb1ELb0EEvPKcS1_S1_S1_S1_PKiPfP15HIP_vector_typeIfLj2EEffffjfiS5_IjLj3EEiiiiiiiiiiiliiliiiiil.private_seg_size, 88
	.set _ZL18flash_attn_ext_f16ILi128ELi128ELi8ELi8ELb1ELb0EEvPKcS1_S1_S1_S1_PKiPfP15HIP_vector_typeIfLj2EEffffjfiS5_IjLj3EEiiiiiiiiiiiliiliiiiil.uses_vcc, 1
	.set _ZL18flash_attn_ext_f16ILi128ELi128ELi8ELi8ELb1ELb0EEvPKcS1_S1_S1_S1_PKiPfP15HIP_vector_typeIfLj2EEffffjfiS5_IjLj3EEiiiiiiiiiiiliiliiiiil.uses_flat_scratch, 0
	.set _ZL18flash_attn_ext_f16ILi128ELi128ELi8ELi8ELb1ELb0EEvPKcS1_S1_S1_S1_PKiPfP15HIP_vector_typeIfLj2EEffffjfiS5_IjLj3EEiiiiiiiiiiiliiliiiiil.has_dyn_sized_stack, 0
	.set _ZL18flash_attn_ext_f16ILi128ELi128ELi8ELi8ELb1ELb0EEvPKcS1_S1_S1_S1_PKiPfP15HIP_vector_typeIfLj2EEffffjfiS5_IjLj3EEiiiiiiiiiiiliiliiiiil.has_recursion, 0
	.set _ZL18flash_attn_ext_f16ILi128ELi128ELi8ELi8ELb1ELb0EEvPKcS1_S1_S1_S1_PKiPfP15HIP_vector_typeIfLj2EEffffjfiS5_IjLj3EEiiiiiiiiiiiliiliiiiil.has_indirect_call, 0
	.section	.AMDGPU.csdata,"",@progbits
; Kernel info:
; codeLenInByte = 80252
; TotalNumSgprs: 106
; NumVgprs: 256
; NumAgprs: 0
; TotalNumVgprs: 256
; ScratchSize: 88
; MemoryBound: 0
; FloatMode: 240
; IeeeMode: 1
; LDSByteSize: 0 bytes/workgroup (compile time only)
; SGPRBlocks: 13
; VGPRBlocks: 31
; NumSGPRsForWavesPerEU: 106
; NumVGPRsForWavesPerEU: 256
; AccumOffset: 256
; Occupancy: 2
; WaveLimiterHint : 0
; COMPUTE_PGM_RSRC2:SCRATCH_EN: 1
; COMPUTE_PGM_RSRC2:USER_SGPR: 2
; COMPUTE_PGM_RSRC2:TRAP_HANDLER: 0
; COMPUTE_PGM_RSRC2:TGID_X_EN: 1
; COMPUTE_PGM_RSRC2:TGID_Y_EN: 0
; COMPUTE_PGM_RSRC2:TGID_Z_EN: 0
; COMPUTE_PGM_RSRC2:TIDIG_COMP_CNT: 1
; COMPUTE_PGM_RSRC3_GFX90A:ACCUM_OFFSET: 63
; COMPUTE_PGM_RSRC3_GFX90A:TG_SPLIT: 0
	.section	.text._ZL33flash_attn_stream_k_fixup_uniformILi128ELi8ELi8EEvPfPK15HIP_vector_typeIfLj2EEiiiiiiS1_IjLj3EES5_S5_,"axG",@progbits,_ZL33flash_attn_stream_k_fixup_uniformILi128ELi8ELi8EEvPfPK15HIP_vector_typeIfLj2EEiiiiiiS1_IjLj3EES5_S5_,comdat
	.globl	_ZL33flash_attn_stream_k_fixup_uniformILi128ELi8ELi8EEvPfPK15HIP_vector_typeIfLj2EEiiiiiiS1_IjLj3EES5_S5_ ; -- Begin function _ZL33flash_attn_stream_k_fixup_uniformILi128ELi8ELi8EEvPfPK15HIP_vector_typeIfLj2EEiiiiiiS1_IjLj3EES5_S5_
	.p2align	8
	.type	_ZL33flash_attn_stream_k_fixup_uniformILi128ELi8ELi8EEvPfPK15HIP_vector_typeIfLj2EEiiiiiiS1_IjLj3EES5_S5_,@function
_ZL33flash_attn_stream_k_fixup_uniformILi128ELi8ELi8EEvPfPK15HIP_vector_typeIfLj2EEiiiiiiS1_IjLj3EES5_S5_: ; @_ZL33flash_attn_stream_k_fixup_uniformILi128ELi8ELi8EEvPfPK15HIP_vector_typeIfLj2EEiiiiiiS1_IjLj3EES5_S5_
; %bb.0:
	s_load_dwordx8 s[8:15], s[0:1], 0x1c
	s_load_dwordx2 s[6:7], s[0:1], 0x10
	s_load_dwordx4 s[20:23], s[0:1], 0x3c
	s_waitcnt lgkmcnt(0)
	s_mul_hi_u32 s5, s11, s2
	s_add_i32 s5, s2, s5
	s_lshr_b32 s5, s5, s12
	s_mul_i32 s11, s5, s13
	s_sub_i32 s11, s2, s11
	s_mul_hi_u32 s12, s11, s14
	s_add_i32 s12, s11, s12
	s_lshr_b32 s16, s12, s15
	s_mul_i32 s12, s16, s20
	s_sub_i32 s11, s11, s12
	;; [unrolled: 5-line block ×3, first 2 shown]
	s_lshl_b32 s11, s12, 3
	s_lshl_b32 s12, s17, 3
	s_add_i32 s12, s12, s3
	s_cmp_lt_i32 s12, s6
	s_cselect_b64 s[12:13], -1, 0
	s_add_i32 s14, s11, s4
	s_cmp_lt_i32 s14, s9
	s_cselect_b64 s[14:15], -1, 0
	s_and_b64 s[12:13], s[12:13], s[14:15]
	s_andn2_b64 vcc, exec, s[12:13]
	s_cbranch_vccnz .LBB26_6
; %bb.1:
	s_load_dwordx4 s[12:15], s[0:1], 0x0
	s_mul_i32 s0, s5, s6
	s_add_i32 s0, s0, s3
	s_mul_i32 s0, s0, s7
	s_mul_i32 s16, s16, s9
	s_add_i32 s0, s0, s4
	s_add_i32 s0, s0, s16
	s_mul_i32 s1, s7, s17
	s_add_i32 s0, s0, s11
	s_lshl_b32 s1, s1, 10
	s_lshl_b32 s0, s0, 7
	s_add_i32 s1, s1, s0
	v_or_b32_e32 v4, s1, v0
	s_waitcnt lgkmcnt(0)
	v_mov_b32_e32 v2, s12
	v_mov_b32_e32 v3, s13
	v_ashrrev_i32_e32 v5, 31, v4
	v_lshl_add_u64 v[2:3], v[4:5], 2, v[2:3]
	global_load_dword v5, v[2:3], off
	s_mul_i32 s5, s10, s2
	s_lshl_b32 s11, s3, 3
	s_add_i32 s9, s5, s10
	s_add_i32 s0, s11, s4
	s_lshl_b32 s1, s9, 6
	s_add_i32 s0, s0, s1
	s_sub_i32 s0, s0, 64
	s_ashr_i32 s1, s0, 31
	s_lshl_b64 s[0:1], s[0:1], 3
	s_add_u32 s0, s14, s0
	s_addc_u32 s1, s15, s1
	s_load_dword s12, s[0:1], 0x4
	s_add_i32 s6, s9, -2
	s_cmp_lt_i32 s6, s5
	s_cbranch_scc1 .LBB26_4
; %bb.2:
	s_lshl_b32 s6, s8, 8
	s_ashr_i32 s7, s6, 31
	s_lshl_b64 s[6:7], s[6:7], 2
	s_add_u32 s6, s14, s6
	s_addc_u32 s7, s15, s7
	s_add_i32 s2, s2, 1
	s_load_dword s0, s[0:1], 0x0
	s_mul_i32 s1, s10, s2
	s_lshl_b32 s3, s3, 10
	s_lshl_b32 s10, s4, 7
	;; [unrolled: 1-line block ×3, first 2 shown]
	s_add_i32 s3, s10, s3
	s_lshl_b32 s1, s1, 6
	s_add_i32 s3, s3, s2
	s_add_i32 s1, s4, s1
	s_lshl_b32 s2, s8, 6
	s_add_i32 s1, s1, s2
	v_or_b32_e32 v0, s3, v0
	s_add_i32 s1, s1, s11
	s_add_i32 s9, s9, -1
	v_add_u32_e32 v0, 0xffffc000, v0
	s_add_i32 s2, s1, 0xffffff80
	s_waitcnt lgkmcnt(0)
	v_mov_b32_e32 v7, s0
	v_mov_b32_e32 v4, s12
	s_mov_b32 s4, 0x3fb8aa3b
	s_mov_b32 s8, 0xc2ce8ed0
	;; [unrolled: 1-line block ×3, first 2 shown]
	v_mov_b32_e32 v6, 0x7f800000
	s_mov_b32 s11, 0xc1a00000
.LBB26_3:                               ; =>This Inner Loop Header: Depth=1
	v_ashrrev_i32_e32 v1, 31, v0
	v_lshl_add_u64 v[8:9], v[0:1], 2, s[6:7]
	global_load_dword v9, v[8:9], off
	s_ashr_i32 s3, s2, 31
	s_lshl_b64 s[0:1], s[2:3], 3
	s_add_u32 s0, s14, s0
	s_addc_u32 s1, s15, s1
	s_load_dwordx2 s[0:1], s[0:1], 0x0
	v_max_f32_e32 v1, v7, v7
	s_add_i32 s9, s9, -1
	s_sub_i32 s2, s2, 64
	v_add_u32_e32 v0, 0xffffe000, v0
	s_waitcnt lgkmcnt(0)
	v_max_f32_e64 v10, s0, s0
	v_max_f32_e32 v1, v1, v10
	v_sub_f32_e32 v11, s0, v1
	v_sub_f32_e32 v10, v7, v1
	v_mul_f32_e32 v12, 0x3fb8aa3b, v11
	v_mov_b32_e32 v7, v1
	v_mul_f32_e32 v1, 0x3fb8aa3b, v10
	v_fma_f32 v15, v11, s4, -v12
	v_rndne_f32_e32 v16, v12
	v_fma_f32 v13, v10, s4, -v1
	v_rndne_f32_e32 v14, v1
	v_fmac_f32_e32 v15, 0x32a5705f, v11
	v_sub_f32_e32 v12, v12, v16
	v_fmac_f32_e32 v13, 0x32a5705f, v10
	v_sub_f32_e32 v1, v1, v14
	v_add_f32_e32 v12, v12, v15
	v_cvt_i32_f32_e32 v16, v16
	v_add_f32_e32 v1, v1, v13
	v_exp_f32_e32 v12, v12
	v_cvt_i32_f32_e32 v14, v14
	v_exp_f32_e32 v1, v1
	v_cmp_ngt_f32_e32 vcc, s8, v11
	v_ldexp_f32 v12, v12, v16
	v_mov_b32_e32 v8, s1
	v_ldexp_f32 v1, v1, v14
	v_cmp_ngt_f32_e64 s[0:1], s8, v10
	v_cndmask_b32_e32 v12, 0, v12, vcc
	v_cmp_nlt_f32_e32 vcc, s10, v11
	v_cndmask_b32_e64 v1, 0, v1, s[0:1]
	v_cmp_nlt_f32_e64 s[0:1], s10, v10
	v_cndmask_b32_e32 v12, v6, v12, vcc
	v_cmp_le_f32_e32 vcc, s11, v11
	v_cndmask_b32_e64 v1, v6, v1, s[0:1]
	v_cmp_le_f32_e64 s[0:1], s11, v10
	v_cndmask_b32_e32 v12, 0, v12, vcc
	s_cmp_le_i32 s9, s5
	v_cndmask_b32_e64 v10, 0, v1, s[0:1]
	s_waitcnt vmcnt(0)
	v_pk_mul_f32 v[8:9], v[8:9], v[12:13] op_sel_hi:[1,0]
	s_nop 0
	v_pk_fma_f32 v[4:5], v[4:5], v[10:11], v[8:9] op_sel_hi:[1,0,1]
	s_cbranch_scc0 .LBB26_3
	s_branch .LBB26_5
.LBB26_4:
	s_waitcnt lgkmcnt(0)
	v_mov_b32_e32 v4, s12
.LBB26_5:
	s_waitcnt vmcnt(0)
	v_div_scale_f32 v0, s[0:1], v4, v4, v5
	v_rcp_f32_e32 v1, v0
	v_div_scale_f32 v6, vcc, v5, v4, v5
	v_fma_f32 v7, -v0, v1, 1.0
	v_fmac_f32_e32 v1, v7, v1
	v_mul_f32_e32 v7, v6, v1
	v_fma_f32 v8, -v0, v7, v6
	v_fmac_f32_e32 v7, v8, v1
	v_fma_f32 v0, -v0, v7, v6
	v_div_fmas_f32 v0, v0, v1, v7
	v_div_fixup_f32 v0, v0, v4, v5
	global_store_dword v[2:3], v0, off
.LBB26_6:
	s_endpgm
	.section	.rodata,"a",@progbits
	.p2align	6, 0x0
	.amdhsa_kernel _ZL33flash_attn_stream_k_fixup_uniformILi128ELi8ELi8EEvPfPK15HIP_vector_typeIfLj2EEiiiiiiS1_IjLj3EES5_S5_
		.amdhsa_group_segment_fixed_size 0
		.amdhsa_private_segment_fixed_size 0
		.amdhsa_kernarg_size 76
		.amdhsa_user_sgpr_count 2
		.amdhsa_user_sgpr_dispatch_ptr 0
		.amdhsa_user_sgpr_queue_ptr 0
		.amdhsa_user_sgpr_kernarg_segment_ptr 1
		.amdhsa_user_sgpr_dispatch_id 0
		.amdhsa_user_sgpr_kernarg_preload_length 0
		.amdhsa_user_sgpr_kernarg_preload_offset 0
		.amdhsa_user_sgpr_private_segment_size 0
		.amdhsa_uses_dynamic_stack 0
		.amdhsa_enable_private_segment 0
		.amdhsa_system_sgpr_workgroup_id_x 1
		.amdhsa_system_sgpr_workgroup_id_y 1
		.amdhsa_system_sgpr_workgroup_id_z 1
		.amdhsa_system_sgpr_workgroup_info 0
		.amdhsa_system_vgpr_workitem_id 0
		.amdhsa_next_free_vgpr 17
		.amdhsa_next_free_sgpr 24
		.amdhsa_accum_offset 20
		.amdhsa_reserve_vcc 1
		.amdhsa_float_round_mode_32 0
		.amdhsa_float_round_mode_16_64 0
		.amdhsa_float_denorm_mode_32 3
		.amdhsa_float_denorm_mode_16_64 3
		.amdhsa_dx10_clamp 1
		.amdhsa_ieee_mode 1
		.amdhsa_fp16_overflow 0
		.amdhsa_tg_split 0
		.amdhsa_exception_fp_ieee_invalid_op 0
		.amdhsa_exception_fp_denorm_src 0
		.amdhsa_exception_fp_ieee_div_zero 0
		.amdhsa_exception_fp_ieee_overflow 0
		.amdhsa_exception_fp_ieee_underflow 0
		.amdhsa_exception_fp_ieee_inexact 0
		.amdhsa_exception_int_div_zero 0
	.end_amdhsa_kernel
	.section	.text._ZL33flash_attn_stream_k_fixup_uniformILi128ELi8ELi8EEvPfPK15HIP_vector_typeIfLj2EEiiiiiiS1_IjLj3EES5_S5_,"axG",@progbits,_ZL33flash_attn_stream_k_fixup_uniformILi128ELi8ELi8EEvPfPK15HIP_vector_typeIfLj2EEiiiiiiS1_IjLj3EES5_S5_,comdat
.Lfunc_end26:
	.size	_ZL33flash_attn_stream_k_fixup_uniformILi128ELi8ELi8EEvPfPK15HIP_vector_typeIfLj2EEiiiiiiS1_IjLj3EES5_S5_, .Lfunc_end26-_ZL33flash_attn_stream_k_fixup_uniformILi128ELi8ELi8EEvPfPK15HIP_vector_typeIfLj2EEiiiiiiS1_IjLj3EES5_S5_
                                        ; -- End function
	.set _ZL33flash_attn_stream_k_fixup_uniformILi128ELi8ELi8EEvPfPK15HIP_vector_typeIfLj2EEiiiiiiS1_IjLj3EES5_S5_.num_vgpr, 17
	.set _ZL33flash_attn_stream_k_fixup_uniformILi128ELi8ELi8EEvPfPK15HIP_vector_typeIfLj2EEiiiiiiS1_IjLj3EES5_S5_.num_agpr, 0
	.set _ZL33flash_attn_stream_k_fixup_uniformILi128ELi8ELi8EEvPfPK15HIP_vector_typeIfLj2EEiiiiiiS1_IjLj3EES5_S5_.numbered_sgpr, 24
	.set _ZL33flash_attn_stream_k_fixup_uniformILi128ELi8ELi8EEvPfPK15HIP_vector_typeIfLj2EEiiiiiiS1_IjLj3EES5_S5_.num_named_barrier, 0
	.set _ZL33flash_attn_stream_k_fixup_uniformILi128ELi8ELi8EEvPfPK15HIP_vector_typeIfLj2EEiiiiiiS1_IjLj3EES5_S5_.private_seg_size, 0
	.set _ZL33flash_attn_stream_k_fixup_uniformILi128ELi8ELi8EEvPfPK15HIP_vector_typeIfLj2EEiiiiiiS1_IjLj3EES5_S5_.uses_vcc, 1
	.set _ZL33flash_attn_stream_k_fixup_uniformILi128ELi8ELi8EEvPfPK15HIP_vector_typeIfLj2EEiiiiiiS1_IjLj3EES5_S5_.uses_flat_scratch, 0
	.set _ZL33flash_attn_stream_k_fixup_uniformILi128ELi8ELi8EEvPfPK15HIP_vector_typeIfLj2EEiiiiiiS1_IjLj3EES5_S5_.has_dyn_sized_stack, 0
	.set _ZL33flash_attn_stream_k_fixup_uniformILi128ELi8ELi8EEvPfPK15HIP_vector_typeIfLj2EEiiiiiiS1_IjLj3EES5_S5_.has_recursion, 0
	.set _ZL33flash_attn_stream_k_fixup_uniformILi128ELi8ELi8EEvPfPK15HIP_vector_typeIfLj2EEiiiiiiS1_IjLj3EES5_S5_.has_indirect_call, 0
	.section	.AMDGPU.csdata,"",@progbits
; Kernel info:
; codeLenInByte = 840
; TotalNumSgprs: 30
; NumVgprs: 17
; NumAgprs: 0
; TotalNumVgprs: 17
; ScratchSize: 0
; MemoryBound: 0
; FloatMode: 240
; IeeeMode: 1
; LDSByteSize: 0 bytes/workgroup (compile time only)
; SGPRBlocks: 3
; VGPRBlocks: 2
; NumSGPRsForWavesPerEU: 30
; NumVGPRsForWavesPerEU: 17
; AccumOffset: 20
; Occupancy: 8
; WaveLimiterHint : 0
; COMPUTE_PGM_RSRC2:SCRATCH_EN: 0
; COMPUTE_PGM_RSRC2:USER_SGPR: 2
; COMPUTE_PGM_RSRC2:TRAP_HANDLER: 0
; COMPUTE_PGM_RSRC2:TGID_X_EN: 1
; COMPUTE_PGM_RSRC2:TGID_Y_EN: 1
; COMPUTE_PGM_RSRC2:TGID_Z_EN: 1
; COMPUTE_PGM_RSRC2:TIDIG_COMP_CNT: 0
; COMPUTE_PGM_RSRC3_GFX90A:ACCUM_OFFSET: 4
; COMPUTE_PGM_RSRC3_GFX90A:TG_SPLIT: 0
	.section	.text._ZL33flash_attn_stream_k_fixup_generalILi128ELi8ELi8EEvPfPK15HIP_vector_typeIfLj2EEiiiiS1_IjLj3EES5_S5_S5_,"axG",@progbits,_ZL33flash_attn_stream_k_fixup_generalILi128ELi8ELi8EEvPfPK15HIP_vector_typeIfLj2EEiiiiS1_IjLj3EES5_S5_S5_,comdat
	.globl	_ZL33flash_attn_stream_k_fixup_generalILi128ELi8ELi8EEvPfPK15HIP_vector_typeIfLj2EEiiiiS1_IjLj3EES5_S5_S5_ ; -- Begin function _ZL33flash_attn_stream_k_fixup_generalILi128ELi8ELi8EEvPfPK15HIP_vector_typeIfLj2EEiiiiS1_IjLj3EES5_S5_S5_
	.p2align	8
	.type	_ZL33flash_attn_stream_k_fixup_generalILi128ELi8ELi8EEvPfPK15HIP_vector_typeIfLj2EEiiiiS1_IjLj3EES5_S5_S5_,@function
_ZL33flash_attn_stream_k_fixup_generalILi128ELi8ELi8EEvPfPK15HIP_vector_typeIfLj2EEiiiiS1_IjLj3EES5_S5_S5_: ; @_ZL33flash_attn_stream_k_fixup_generalILi128ELi8ELi8EEvPfPK15HIP_vector_typeIfLj2EEiiiiS1_IjLj3EES5_S5_S5_
; %bb.0:
	s_load_dwordx4 s[8:11], s[0:1], 0x10
	s_load_dword s22, s[0:1], 0x50
	s_mov_b32 s12, 0
	s_waitcnt lgkmcnt(0)
	s_mul_hi_i32 s13, s11, s2
	s_cmp_lg_u64 s[12:13], 0
	s_mul_i32 s5, s11, s2
	s_cbranch_scc0 .LBB27_20
; %bb.1:
	s_add_u32 s6, s22, 0
	s_addc_u32 s7, 0, 0
	s_xor_b64 s[6:7], s[6:7], 0
	v_cvt_f32_u32_e32 v1, s6
	v_cvt_f32_u32_e32 v2, s7
	s_sub_u32 s12, 0, s6
	s_subb_u32 s18, 0, s7
	v_fmamk_f32 v1, v2, 0x4f800000, v1
	v_rcp_f32_e32 v1, v1
	s_nop 0
	v_mul_f32_e32 v1, 0x5f7ffffc, v1
	v_mul_f32_e32 v2, 0x2f800000, v1
	v_trunc_f32_e32 v2, v2
	v_fmamk_f32 v1, v2, 0xcf800000, v1
	v_cvt_u32_f32_e32 v2, v2
	v_cvt_u32_f32_e32 v1, v1
	v_readfirstlane_b32 s19, v2
	v_readfirstlane_b32 s14, v1
	s_mul_i32 s15, s12, s19
	s_mul_hi_u32 s21, s12, s14
	s_mul_i32 s20, s18, s14
	s_add_i32 s15, s21, s15
	s_add_i32 s15, s15, s20
	s_mul_i32 s23, s12, s14
	s_mul_i32 s21, s14, s15
	s_mul_hi_u32 s24, s14, s23
	s_mul_hi_u32 s20, s14, s15
	s_add_u32 s21, s24, s21
	s_addc_u32 s20, 0, s20
	s_mul_hi_u32 s25, s19, s23
	s_mul_i32 s23, s19, s23
	s_add_u32 s21, s21, s23
	s_mul_hi_u32 s24, s19, s15
	s_addc_u32 s20, s20, s25
	s_addc_u32 s21, s24, 0
	s_mul_i32 s15, s19, s15
	s_add_u32 s15, s20, s15
	s_addc_u32 s20, 0, s21
	s_add_u32 s21, s14, s15
	s_cselect_b64 s[14:15], -1, 0
	s_cmp_lg_u64 s[14:15], 0
	s_addc_u32 s19, s19, s20
	s_mul_i32 s14, s12, s19
	s_mul_hi_u32 s15, s12, s21
	s_add_i32 s14, s15, s14
	s_mul_i32 s18, s18, s21
	s_add_i32 s14, s14, s18
	s_mul_i32 s12, s12, s21
	s_mul_hi_u32 s18, s19, s12
	s_mul_i32 s20, s19, s12
	s_mul_i32 s24, s21, s14
	s_mul_hi_u32 s12, s21, s12
	s_mul_hi_u32 s23, s21, s14
	s_add_u32 s12, s12, s24
	s_addc_u32 s23, 0, s23
	s_add_u32 s12, s12, s20
	s_mul_hi_u32 s15, s19, s14
	s_addc_u32 s12, s23, s18
	s_addc_u32 s15, s15, 0
	s_mul_i32 s14, s19, s14
	s_add_u32 s12, s12, s14
	s_addc_u32 s18, 0, s15
	s_add_u32 s20, s21, s12
	s_cselect_b64 s[14:15], -1, 0
	s_cmp_lg_u64 s[14:15], 0
	s_addc_u32 s18, s19, s18
	s_ashr_i32 s14, s13, 31
	s_add_u32 s12, s5, s14
	s_mov_b32 s15, s14
	s_addc_u32 s13, s13, s14
	s_xor_b64 s[12:13], s[12:13], s[14:15]
	s_mul_i32 s21, s12, s18
	s_mul_hi_u32 s23, s12, s20
	s_mul_hi_u32 s19, s12, s18
	s_add_u32 s21, s23, s21
	s_addc_u32 s19, 0, s19
	s_mul_hi_u32 s24, s13, s20
	s_mul_i32 s20, s13, s20
	s_add_u32 s20, s21, s20
	s_mul_hi_u32 s23, s13, s18
	s_addc_u32 s19, s19, s24
	s_addc_u32 s20, s23, 0
	s_mul_i32 s18, s13, s18
	s_add_u32 s23, s19, s18
	s_addc_u32 s24, 0, s20
	s_mul_i32 s18, s6, s24
	s_mul_hi_u32 s19, s6, s23
	s_add_i32 s18, s19, s18
	s_mul_i32 s19, s7, s23
	s_add_i32 s25, s18, s19
	s_sub_i32 s20, s13, s25
	s_mul_i32 s18, s6, s23
	s_sub_u32 s12, s12, s18
	s_cselect_b64 s[18:19], -1, 0
	s_cmp_lg_u64 s[18:19], 0
	s_subb_u32 s26, s20, s7
	s_sub_u32 s27, s12, s6
	s_cselect_b64 s[20:21], -1, 0
	s_cmp_lg_u64 s[20:21], 0
	s_subb_u32 s20, s26, 0
	s_cmp_ge_u32 s20, s7
	s_cselect_b32 s21, -1, 0
	s_cmp_ge_u32 s27, s6
	s_cselect_b32 s26, -1, 0
	s_cmp_eq_u32 s20, s7
	s_cselect_b32 s20, s26, s21
	s_add_u32 s21, s23, 1
	s_addc_u32 s26, s24, 0
	s_add_u32 s27, s23, 2
	s_addc_u32 s28, s24, 0
	s_cmp_lg_u32 s20, 0
	s_cselect_b32 s20, s27, s21
	s_cselect_b32 s21, s28, s26
	s_cmp_lg_u64 s[18:19], 0
	s_subb_u32 s13, s13, s25
	s_cmp_ge_u32 s13, s7
	s_cselect_b32 s18, -1, 0
	s_cmp_ge_u32 s12, s6
	s_cselect_b32 s6, -1, 0
	s_cmp_eq_u32 s13, s7
	s_cselect_b32 s6, s6, s18
	s_cmp_lg_u32 s6, 0
	s_cselect_b32 s7, s21, s24
	s_cselect_b32 s6, s20, s23
	s_xor_b64 s[12:13], s[14:15], 0
	s_xor_b64 s[6:7], s[6:7], s[12:13]
	s_sub_u32 s6, s6, s12
	s_load_dwordx4 s[12:15], s[0:1], 0x44
	s_cbranch_execnz .LBB27_3
.LBB27_2:
	v_cvt_f32_u32_e32 v1, s22
	s_sub_i32 s6, 0, s22
	v_rcp_iflag_f32_e32 v1, v1
	s_nop 0
	v_mul_f32_e32 v1, 0x4f7ffffe, v1
	v_cvt_u32_f32_e32 v1, v1
	s_nop 0
	v_readfirstlane_b32 s7, v1
	s_mul_i32 s6, s6, s7
	s_mul_hi_u32 s6, s7, s6
	s_add_i32 s7, s7, s6
	s_mul_hi_u32 s6, s5, s7
	s_waitcnt lgkmcnt(0)
	s_mul_i32 s15, s6, s22
	s_sub_i32 s5, s5, s15
	s_add_i32 s7, s6, 1
	s_sub_i32 s15, s5, s22
	s_cmp_ge_u32 s5, s22
	s_cselect_b32 s6, s7, s6
	s_cselect_b32 s5, s15, s5
	s_add_i32 s7, s6, 1
	s_cmp_ge_u32 s5, s22
	s_cselect_b32 s6, s7, s6
.LBB27_3:
	s_add_i32 s5, s2, 1
	s_mul_hi_i32 s21, s11, s5
	s_mov_b32 s20, 0
	s_cmp_lg_u64 s[20:21], 0
	s_mul_i32 s5, s11, s5
	s_cbranch_scc0 .LBB27_21
; %bb.4:
	s_add_u32 s16, s22, 0
	s_addc_u32 s17, 0, 0
	s_xor_b64 s[18:19], s[16:17], 0
	v_cvt_f32_u32_e32 v1, s18
	v_cvt_f32_u32_e32 v2, s19
	s_sub_u32 s7, 0, s18
	s_waitcnt lgkmcnt(0)
	s_subb_u32 s15, 0, s19
	v_fmamk_f32 v1, v2, 0x4f800000, v1
	v_rcp_f32_e32 v1, v1
	s_nop 0
	v_mul_f32_e32 v1, 0x5f7ffffc, v1
	v_mul_f32_e32 v2, 0x2f800000, v1
	v_trunc_f32_e32 v2, v2
	v_fmamk_f32 v1, v2, 0xcf800000, v1
	v_cvt_u32_f32_e32 v2, v2
	v_cvt_u32_f32_e32 v1, v1
	v_readfirstlane_b32 s20, v2
	v_readfirstlane_b32 s23, v1
	s_mul_i32 s24, s7, s20
	s_mul_hi_u32 s26, s7, s23
	s_mul_i32 s25, s15, s23
	s_add_i32 s24, s26, s24
	s_add_i32 s24, s24, s25
	s_mul_i32 s27, s7, s23
	s_mul_i32 s26, s23, s24
	s_mul_hi_u32 s28, s23, s27
	s_mul_hi_u32 s25, s23, s24
	s_add_u32 s26, s28, s26
	s_addc_u32 s25, 0, s25
	s_mul_hi_u32 s29, s20, s27
	s_mul_i32 s27, s20, s27
	s_add_u32 s26, s26, s27
	s_mul_hi_u32 s28, s20, s24
	s_addc_u32 s25, s25, s29
	s_addc_u32 s26, s28, 0
	s_mul_i32 s24, s20, s24
	s_add_u32 s24, s25, s24
	s_addc_u32 s26, 0, s26
	s_add_u32 s23, s23, s24
	s_cselect_b64 s[24:25], -1, 0
	s_cmp_lg_u64 s[24:25], 0
	s_addc_u32 s20, s20, s26
	s_mul_i32 s24, s7, s20
	s_mul_hi_u32 s25, s7, s23
	s_add_i32 s24, s25, s24
	s_mul_i32 s15, s15, s23
	s_add_i32 s24, s24, s15
	s_mul_i32 s7, s7, s23
	s_mul_hi_u32 s25, s20, s7
	s_mul_i32 s26, s20, s7
	s_mul_i32 s28, s23, s24
	s_mul_hi_u32 s7, s23, s7
	s_mul_hi_u32 s27, s23, s24
	s_add_u32 s7, s7, s28
	s_addc_u32 s27, 0, s27
	s_add_u32 s7, s7, s26
	s_mul_hi_u32 s15, s20, s24
	s_addc_u32 s7, s27, s25
	s_addc_u32 s15, s15, 0
	s_mul_i32 s24, s20, s24
	s_add_u32 s7, s7, s24
	s_addc_u32 s15, 0, s15
	s_add_u32 s7, s23, s7
	s_cselect_b64 s[24:25], -1, 0
	s_cmp_lg_u64 s[24:25], 0
	s_addc_u32 s15, s20, s15
	s_ashr_i32 s24, s21, 31
	s_add_u32 s20, s5, s24
	s_mov_b32 s25, s24
	s_addc_u32 s21, s21, s24
	s_xor_b64 s[20:21], s[20:21], s[24:25]
	s_mul_i32 s26, s20, s15
	s_mul_hi_u32 s27, s20, s7
	s_mul_hi_u32 s23, s20, s15
	s_add_u32 s26, s27, s26
	s_addc_u32 s23, 0, s23
	s_mul_hi_u32 s28, s21, s7
	s_mul_i32 s7, s21, s7
	s_add_u32 s7, s26, s7
	s_mul_hi_u32 s27, s21, s15
	s_addc_u32 s7, s23, s28
	s_addc_u32 s23, s27, 0
	s_mul_i32 s15, s21, s15
	s_add_u32 s7, s7, s15
	s_addc_u32 s15, 0, s23
	s_mul_i32 s23, s18, s15
	s_mul_hi_u32 s26, s18, s7
	s_add_i32 s23, s26, s23
	s_mul_i32 s26, s19, s7
	s_add_i32 s23, s23, s26
	s_sub_i32 s28, s21, s23
	s_mul_i32 s26, s18, s7
	s_sub_u32 s20, s20, s26
	s_cselect_b64 s[26:27], -1, 0
	s_cmp_lg_u64 s[26:27], 0
	s_subb_u32 s30, s28, s19
	s_sub_u32 s31, s20, s18
	s_cselect_b64 s[28:29], -1, 0
	s_cmp_lg_u64 s[28:29], 0
	s_subb_u32 s28, s30, 0
	s_cmp_ge_u32 s28, s19
	s_cselect_b32 s29, -1, 0
	s_cmp_ge_u32 s31, s18
	s_cselect_b32 s30, -1, 0
	s_cmp_eq_u32 s28, s19
	s_cselect_b32 s28, s30, s29
	s_add_u32 s29, s7, 1
	s_addc_u32 s30, s15, 0
	s_add_u32 s31, s7, 2
	s_addc_u32 s33, s15, 0
	s_cmp_lg_u32 s28, 0
	s_cselect_b32 s28, s31, s29
	s_cselect_b32 s29, s33, s30
	s_cmp_lg_u64 s[26:27], 0
	s_subb_u32 s21, s21, s23
	s_cmp_ge_u32 s21, s19
	s_cselect_b32 s23, -1, 0
	s_cmp_ge_u32 s20, s18
	s_cselect_b32 s18, -1, 0
	s_cmp_eq_u32 s21, s19
	s_cselect_b32 s18, s18, s23
	s_cmp_lg_u32 s18, 0
	s_cselect_b32 s19, s29, s15
	s_cselect_b32 s18, s28, s7
	s_xor_b64 s[20:21], s[24:25], 0
	s_xor_b64 s[18:19], s[18:19], s[20:21]
	s_sub_u32 s18, s18, s20
	s_cbranch_execnz .LBB27_6
.LBB27_5:
	v_cvt_f32_u32_e32 v1, s22
	s_sub_i32 s7, 0, s22
	v_rcp_iflag_f32_e32 v1, v1
	s_nop 0
	v_mul_f32_e32 v1, 0x4f7ffffe, v1
	v_cvt_u32_f32_e32 v1, v1
	s_waitcnt lgkmcnt(0)
	v_readfirstlane_b32 s15, v1
	s_mul_i32 s7, s7, s15
	s_mul_hi_u32 s7, s15, s7
	s_add_i32 s15, s15, s7
	s_mul_hi_u32 s7, s5, s15
	s_mul_i32 s16, s7, s22
	s_sub_i32 s5, s5, s16
	s_add_i32 s15, s7, 1
	s_sub_i32 s16, s5, s22
	s_cmp_ge_u32 s5, s22
	s_cselect_b32 s7, s15, s7
	s_cselect_b32 s5, s16, s5
	s_add_i32 s15, s7, 1
	s_cmp_ge_u32 s5, s22
	s_cselect_b32 s18, s15, s7
.LBB27_6:
	s_cmp_eq_u32 s6, s18
	s_waitcnt lgkmcnt(0)
	s_mul_hi_u32 s5, s6, s12
	s_cselect_b64 s[16:17], -1, 0
	s_add_i32 s5, s5, s6
	s_lshr_b32 s7, s5, s13
	s_mul_i32 s5, s7, s14
	s_cmp_eq_u32 s5, s6
	s_mul_hi_u32 s5, s18, s12
	s_cselect_b64 s[20:21], -1, 0
	s_add_i32 s5, s5, s18
	s_lshr_b32 s5, s5, s13
	s_cmp_eq_u32 s7, s5
	s_mul_i32 s5, s5, s14
	s_cselect_b64 s[24:25], -1, 0
	s_cmp_lg_u32 s5, s18
	s_cselect_b64 s[18:19], -1, 0
	s_and_b64 s[18:19], s[24:25], s[18:19]
	s_or_b64 s[16:17], s[16:17], s[20:21]
	s_or_b64 s[16:17], s[16:17], s[18:19]
	s_and_b64 vcc, exec, s[16:17]
	s_cbranch_vccnz .LBB27_23
; %bb.7:
	s_load_dwordx8 s[24:31], s[0:1], 0x20
	s_load_dword s15, s[0:1], 0x40
	s_waitcnt lgkmcnt(0)
	s_mul_hi_u32 s5, s6, s24
	s_add_i32 s5, s5, s6
	s_lshr_b32 s5, s5, s25
	s_mul_i32 s16, s5, s26
	s_sub_i32 s16, s6, s16
	s_mul_hi_u32 s17, s16, s27
	s_add_i32 s17, s16, s17
	s_lshr_b32 s20, s17, s28
	s_mul_i32 s17, s20, s29
	s_sub_i32 s16, s16, s17
	;; [unrolled: 5-line block ×3, first 2 shown]
	s_mul_hi_u32 s16, s15, s12
	s_add_i32 s15, s15, s16
	s_lshr_b32 s23, s15, s13
	s_lshl_b32 s15, s23, 3
	s_lshl_b32 s21, s17, 3
	s_add_i32 s15, s15, s3
	s_cmp_lt_i32 s15, s8
	s_cselect_b64 s[16:17], -1, 0
	s_add_i32 s15, s21, s4
	s_cmp_lt_i32 s15, s10
	s_cselect_b64 s[18:19], -1, 0
	s_and_b64 s[16:17], s[16:17], s[18:19]
	s_andn2_b64 vcc, exec, s[16:17]
	s_cbranch_vccnz .LBB27_23
; %bb.8:
	s_load_dwordx4 s[16:19], s[0:1], 0x0
	s_mov_b32 s0, 0
	s_lshl_b32 s15, s3, 3
	s_lshl_b32 s24, s22, 8
	s_mov_b32 s25, s0
	s_add_i32 s15, s15, s4
	s_waitcnt lgkmcnt(0)
	v_mov_b32_e32 v2, s16
	v_mov_b32_e32 v3, s17
	s_lshl_b64 s[16:17], s[24:25], 2
	s_add_u32 s16, s18, s16
	s_mul_i32 s1, s5, s8
	s_addc_u32 s17, s19, s17
	s_add_i32 s1, s1, s3
	s_mul_i32 s1, s1, s9
	s_mul_i32 s20, s20, s10
	s_add_i32 s1, s1, s4
	s_add_i32 s1, s1, s20
	s_mul_i32 s5, s9, s23
	s_add_i32 s1, s1, s21
	s_lshl_b32 s5, s5, 10
	s_lshl_b32 s1, s1, 7
	s_add_i32 s5, s5, s1
	v_or_b32_e32 v4, s5, v0
	v_ashrrev_i32_e32 v5, 31, v4
	v_lshl_add_u64 v[2:3], v[4:5], 2, v[2:3]
	global_load_dword v1, v[2:3], off
	v_cvt_f32_u32_e32 v4, s22
	s_lshl_b32 s1, s2, 6
	s_add_i32 s4, s15, s1
	s_ashr_i32 s5, s4, 31
	s_lshl_b64 s[4:5], s[4:5], 3
	v_rcp_iflag_f32_e32 v4, v4
	s_add_u32 s4, s18, s4
	s_addc_u32 s5, s19, s5
	s_load_dwordx2 s[4:5], s[4:5], 0x0
	v_mul_f32_e32 v4, 0x4f7ffffe, v4
	v_cvt_u32_f32_e32 v7, v4
	s_add_i32 s24, s2, -1
	v_lshl_or_b32 v6, s15, 7, v0
	s_waitcnt lgkmcnt(0)
	v_mov_b32_e32 v0, s5
	v_mov_b32_e32 v9, s4
	s_mov_b32 s10, 0x3fb8aa3b
	s_mov_b32 s20, 0xc2ce8ed0
	;; [unrolled: 1-line block ×4, first 2 shown]
	v_mov_b32_e32 v8, 0x7f800000
	s_mul_hi_i32 s1, s24, s11
	s_cmp_lg_u64 s[0:1], 0
	s_mul_i32 s8, s24, s11
	s_cbranch_scc0 .LBB27_19
.LBB27_9:
	s_add_u32 s2, s22, 0
	s_addc_u32 s3, 0, 0
	s_xor_b64 s[2:3], s[2:3], 0
	v_cvt_f32_u32_e32 v4, s2
	v_cvt_f32_u32_e32 v5, s3
	s_sub_u32 s9, 0, s2
	s_subb_u32 s25, 0, s3
	v_fmac_f32_e32 v4, 0x4f800000, v5
	v_rcp_f32_e32 v4, v4
	s_nop 0
	v_mul_f32_e32 v4, 0x5f7ffffc, v4
	v_mul_f32_e32 v5, 0x2f800000, v4
	v_trunc_f32_e32 v5, v5
	v_fmac_f32_e32 v4, 0xcf800000, v5
	v_cvt_u32_f32_e32 v5, v5
	v_cvt_u32_f32_e32 v4, v4
	v_readfirstlane_b32 s26, v5
	v_readfirstlane_b32 s4, v4
	s_mul_i32 s5, s9, s26
	s_mul_hi_u32 s28, s9, s4
	s_mul_i32 s27, s25, s4
	s_add_i32 s5, s28, s5
	s_mul_i32 s29, s9, s4
	s_add_i32 s5, s5, s27
	s_mul_i32 s28, s4, s5
	s_mul_hi_u32 s30, s4, s29
	s_mul_hi_u32 s27, s4, s5
	s_add_u32 s28, s30, s28
	s_addc_u32 s27, 0, s27
	s_mul_hi_u32 s31, s26, s29
	s_mul_i32 s29, s26, s29
	s_add_u32 s28, s28, s29
	s_mul_hi_u32 s30, s26, s5
	s_addc_u32 s27, s27, s31
	s_addc_u32 s28, s30, 0
	s_mul_i32 s5, s26, s5
	s_add_u32 s5, s27, s5
	s_addc_u32 s27, 0, s28
	s_add_u32 s28, s4, s5
	s_cselect_b64 s[4:5], -1, 0
	s_cmp_lg_u64 s[4:5], 0
	s_addc_u32 s26, s26, s27
	s_mul_i32 s4, s9, s26
	s_mul_hi_u32 s5, s9, s28
	s_add_i32 s4, s5, s4
	s_mul_i32 s25, s25, s28
	s_add_i32 s4, s4, s25
	s_mul_i32 s9, s9, s28
	s_mul_hi_u32 s25, s26, s9
	s_mul_i32 s27, s26, s9
	s_mul_i32 s30, s28, s4
	s_mul_hi_u32 s9, s28, s9
	s_mul_hi_u32 s29, s28, s4
	s_add_u32 s9, s9, s30
	s_addc_u32 s29, 0, s29
	s_add_u32 s9, s9, s27
	s_mul_hi_u32 s5, s26, s4
	s_addc_u32 s9, s29, s25
	s_addc_u32 s5, s5, 0
	s_mul_i32 s4, s26, s4
	s_add_u32 s4, s9, s4
	s_addc_u32 s9, 0, s5
	s_add_u32 s25, s28, s4
	s_cselect_b64 s[4:5], -1, 0
	s_cmp_lg_u64 s[4:5], 0
	s_addc_u32 s9, s26, s9
	s_ashr_i32 s4, s1, 31
	s_add_u32 s26, s8, s4
	s_mov_b32 s5, s4
	s_addc_u32 s27, s1, s4
	s_xor_b64 s[26:27], s[26:27], s[4:5]
	s_mul_i32 s28, s26, s9
	s_mul_hi_u32 s29, s26, s25
	s_mul_hi_u32 s1, s26, s9
	s_add_u32 s28, s29, s28
	s_addc_u32 s1, 0, s1
	s_mul_hi_u32 s30, s27, s25
	s_mul_i32 s25, s27, s25
	s_add_u32 s25, s28, s25
	s_mul_hi_u32 s29, s27, s9
	s_addc_u32 s1, s1, s30
	s_addc_u32 s25, s29, 0
	s_mul_i32 s9, s27, s9
	s_add_u32 s1, s1, s9
	s_addc_u32 s9, 0, s25
	s_mul_i32 s25, s2, s9
	s_mul_hi_u32 s28, s2, s1
	s_add_i32 s25, s28, s25
	s_mul_i32 s28, s3, s1
	s_add_i32 s25, s25, s28
	s_sub_i32 s30, s27, s25
	s_mul_i32 s28, s2, s1
	s_sub_u32 s26, s26, s28
	s_cselect_b64 s[28:29], -1, 0
	s_cmp_lg_u64 s[28:29], 0
	s_subb_u32 s33, s30, s3
	s_sub_u32 s34, s26, s2
	s_cselect_b64 s[30:31], -1, 0
	s_cmp_lg_u64 s[30:31], 0
	s_subb_u32 s30, s33, 0
	s_cmp_ge_u32 s30, s3
	s_cselect_b32 s31, -1, 0
	s_cmp_ge_u32 s34, s2
	s_cselect_b32 s33, -1, 0
	s_cmp_eq_u32 s30, s3
	s_cselect_b32 s30, s33, s31
	s_add_u32 s31, s1, 1
	s_addc_u32 s33, s9, 0
	s_add_u32 s34, s1, 2
	s_addc_u32 s35, s9, 0
	s_cmp_lg_u32 s30, 0
	s_cselect_b32 s30, s34, s31
	s_cselect_b32 s31, s35, s33
	s_cmp_lg_u64 s[28:29], 0
	s_subb_u32 s25, s27, s25
	s_cmp_ge_u32 s25, s3
	s_cselect_b32 s27, -1, 0
	s_cmp_ge_u32 s26, s2
	s_cselect_b32 s2, -1, 0
	s_cmp_eq_u32 s25, s3
	s_cselect_b32 s2, s2, s27
	s_cmp_lg_u32 s2, 0
	s_cselect_b32 s3, s31, s9
	s_cselect_b32 s2, s30, s1
	s_xor_b64 s[4:5], s[4:5], 0
	s_xor_b64 s[2:3], s[2:3], s[4:5]
	s_sub_u32 s4, s2, s4
	s_cbranch_execnz .LBB27_11
.LBB27_10:
	s_sub_i32 s1, 0, s22
	v_readfirstlane_b32 s2, v7
	s_mul_i32 s1, s1, s2
	s_mul_hi_u32 s1, s2, s1
	s_add_i32 s2, s2, s1
	s_mul_hi_u32 s1, s8, s2
	s_mul_i32 s3, s1, s22
	s_sub_i32 s3, s8, s3
	s_add_i32 s2, s1, 1
	s_sub_i32 s4, s3, s22
	s_cmp_ge_u32 s3, s22
	s_cselect_b32 s1, s2, s1
	s_cselect_b32 s3, s4, s3
	s_add_i32 s2, s1, 1
	s_cmp_ge_u32 s3, s22
	s_cselect_b32 s4, s2, s1
.LBB27_11:
	s_cmp_lg_u32 s6, s4
	s_cbranch_scc0 .LBB27_15
; %bb.12:
	s_add_i32 s1, s24, s22
	s_lshl_b32 s1, s1, 6
	s_add_i32 s2, s1, s15
	s_mov_b32 s3, s0
	s_lshl_b64 s[2:3], s[2:3], 3
	s_add_u32 s8, s18, s2
	s_mul_hi_u32 s1, s4, s12
	s_addc_u32 s9, s19, s3
	s_add_i32 s1, s1, s4
	s_lshr_b32 s1, s1, s13
	s_mul_i32 s2, s1, s14
	s_cmp_eq_u32 s2, s4
	s_cselect_b64 s[2:3], -1, 0
	s_cmp_lt_u32 s1, s7
	s_cselect_b64 s[26:27], -1, 0
	s_or_b64 s[26:27], s[26:27], s[2:3]
	s_mov_b64 s[2:3], -1
	s_and_b64 vcc, exec, s[26:27]
	s_mov_b32 s1, s24
	s_mov_b32 s25, s6
	s_cbranch_vccnz .LBB27_14
; %bb.13:
	s_add_i32 s1, s24, -1
	s_mov_b64 s[2:3], 0
	s_mov_b32 s25, s4
.LBB27_14:
	v_lshl_add_u32 v4, s24, 13, v6
	v_ashrrev_i32_e32 v5, 31, v4
	v_lshl_add_u64 v[4:5], v[4:5], 2, s[16:17]
	global_load_dword v5, v[4:5], off
	s_load_dwordx2 s[4:5], s[8:9], 0x0
	v_max_f32_e32 v4, v9, v9
	s_waitcnt lgkmcnt(0)
	v_max_f32_e64 v10, s4, s4
	v_max_f32_e32 v10, v4, v10
	v_sub_f32_e32 v11, v9, v10
	v_sub_f32_e32 v13, s4, v10
	v_mul_f32_e32 v4, 0x3fb8aa3b, v11
	v_mul_f32_e32 v12, 0x3fb8aa3b, v13
	v_fma_f32 v14, v11, s10, -v4
	v_rndne_f32_e32 v15, v4
	v_fma_f32 v16, v13, s10, -v12
	v_rndne_f32_e32 v17, v12
	v_fmac_f32_e32 v14, 0x32a5705f, v11
	v_sub_f32_e32 v4, v4, v15
	v_fmac_f32_e32 v16, 0x32a5705f, v13
	v_sub_f32_e32 v12, v12, v17
	v_add_f32_e32 v4, v4, v14
	v_cvt_i32_f32_e32 v15, v15
	v_add_f32_e32 v12, v12, v16
	v_exp_f32_e32 v14, v4
	v_cvt_i32_f32_e32 v17, v17
	v_exp_f32_e32 v12, v12
	v_cmp_ngt_f32_e32 vcc, s20, v11
	v_ldexp_f32 v14, v14, v15
	v_mov_b32_e32 v4, s5
	v_ldexp_f32 v12, v12, v17
	v_cndmask_b32_e32 v14, 0, v14, vcc
	v_cmp_ngt_f32_e32 vcc, s20, v13
	s_nop 1
	v_cndmask_b32_e32 v12, 0, v12, vcc
	v_cmp_nlt_f32_e32 vcc, s21, v11
	s_nop 1
	v_cndmask_b32_e32 v14, v8, v14, vcc
	v_cmp_nlt_f32_e32 vcc, s21, v13
	s_nop 1
	v_cndmask_b32_e32 v15, v8, v12, vcc
	v_cmp_le_f32_e32 vcc, s23, v11
	s_nop 1
	v_cndmask_b32_e32 v12, 0, v14, vcc
	v_cmp_le_f32_e32 vcc, s23, v13
	s_nop 1
	v_cndmask_b32_e32 v14, 0, v15, vcc
	s_waitcnt vmcnt(0)
	v_pk_mul_f32 v[4:5], v[4:5], v[14:15] op_sel_hi:[1,0]
	s_nop 0
	v_pk_fma_f32 v[4:5], v[0:1], v[12:13], v[4:5] op_sel_hi:[1,0,1]
	s_cbranch_execz .LBB27_16
	s_branch .LBB27_17
.LBB27_15:
                                        ; implicit-def: $vgpr4_vgpr5
                                        ; implicit-def: $sgpr2_sgpr3
                                        ; implicit-def: $vgpr10
                                        ; implicit-def: $sgpr1
                                        ; implicit-def: $sgpr25
.LBB27_16:
	s_add_i32 s1, s24, -1
	s_mov_b64 s[2:3], 0
	s_mov_b32 s25, s6
	v_mov_b32_e32 v10, v9
	s_waitcnt vmcnt(0)
	v_mov_b64_e32 v[4:5], v[0:1]
.LBB27_17:
	s_andn2_b64 vcc, exec, s[2:3]
	s_cbranch_vccz .LBB27_22
; %bb.18:
	s_mov_b32 s6, s25
	s_mov_b32 s24, s1
	v_mov_b32_e32 v9, v10
	s_waitcnt vmcnt(0)
	v_mov_b64_e32 v[0:1], v[4:5]
	s_mul_hi_i32 s1, s24, s11
	s_cmp_lg_u64 s[0:1], 0
	s_mul_i32 s8, s24, s11
	s_cbranch_scc1 .LBB27_9
.LBB27_19:
                                        ; implicit-def: $sgpr4_sgpr5
	s_branch .LBB27_10
.LBB27_20:
                                        ; implicit-def: $sgpr6_sgpr7
	s_load_dwordx4 s[12:15], s[0:1], 0x44
	s_branch .LBB27_2
.LBB27_21:
                                        ; implicit-def: $sgpr18_sgpr19
	s_branch .LBB27_5
.LBB27_22:
	v_div_scale_f32 v0, s[0:1], v4, v4, v5
	s_waitcnt vmcnt(0)
	v_rcp_f32_e32 v1, v0
	v_div_scale_f32 v6, vcc, v5, v4, v5
	v_fma_f32 v7, -v0, v1, 1.0
	v_fmac_f32_e32 v1, v7, v1
	v_mul_f32_e32 v7, v6, v1
	v_fma_f32 v8, -v0, v7, v6
	v_fmac_f32_e32 v7, v8, v1
	v_fma_f32 v0, -v0, v7, v6
	v_div_fmas_f32 v0, v0, v1, v7
	v_div_fixup_f32 v0, v0, v4, v5
	global_store_dword v[2:3], v0, off
.LBB27_23:
	s_endpgm
	.section	.rodata,"a",@progbits
	.p2align	6, 0x0
	.amdhsa_kernel _ZL33flash_attn_stream_k_fixup_generalILi128ELi8ELi8EEvPfPK15HIP_vector_typeIfLj2EEiiiiS1_IjLj3EES5_S5_S5_
		.amdhsa_group_segment_fixed_size 0
		.amdhsa_private_segment_fixed_size 0
		.amdhsa_kernarg_size 336
		.amdhsa_user_sgpr_count 2
		.amdhsa_user_sgpr_dispatch_ptr 0
		.amdhsa_user_sgpr_queue_ptr 0
		.amdhsa_user_sgpr_kernarg_segment_ptr 1
		.amdhsa_user_sgpr_dispatch_id 0
		.amdhsa_user_sgpr_kernarg_preload_length 0
		.amdhsa_user_sgpr_kernarg_preload_offset 0
		.amdhsa_user_sgpr_private_segment_size 0
		.amdhsa_uses_dynamic_stack 0
		.amdhsa_enable_private_segment 0
		.amdhsa_system_sgpr_workgroup_id_x 1
		.amdhsa_system_sgpr_workgroup_id_y 1
		.amdhsa_system_sgpr_workgroup_id_z 1
		.amdhsa_system_sgpr_workgroup_info 0
		.amdhsa_system_vgpr_workitem_id 0
		.amdhsa_next_free_vgpr 18
		.amdhsa_next_free_sgpr 36
		.amdhsa_accum_offset 20
		.amdhsa_reserve_vcc 1
		.amdhsa_float_round_mode_32 0
		.amdhsa_float_round_mode_16_64 0
		.amdhsa_float_denorm_mode_32 3
		.amdhsa_float_denorm_mode_16_64 3
		.amdhsa_dx10_clamp 1
		.amdhsa_ieee_mode 1
		.amdhsa_fp16_overflow 0
		.amdhsa_tg_split 0
		.amdhsa_exception_fp_ieee_invalid_op 0
		.amdhsa_exception_fp_denorm_src 0
		.amdhsa_exception_fp_ieee_div_zero 0
		.amdhsa_exception_fp_ieee_overflow 0
		.amdhsa_exception_fp_ieee_underflow 0
		.amdhsa_exception_fp_ieee_inexact 0
		.amdhsa_exception_int_div_zero 0
	.end_amdhsa_kernel
	.section	.text._ZL33flash_attn_stream_k_fixup_generalILi128ELi8ELi8EEvPfPK15HIP_vector_typeIfLj2EEiiiiS1_IjLj3EES5_S5_S5_,"axG",@progbits,_ZL33flash_attn_stream_k_fixup_generalILi128ELi8ELi8EEvPfPK15HIP_vector_typeIfLj2EEiiiiS1_IjLj3EES5_S5_S5_,comdat
.Lfunc_end27:
	.size	_ZL33flash_attn_stream_k_fixup_generalILi128ELi8ELi8EEvPfPK15HIP_vector_typeIfLj2EEiiiiS1_IjLj3EES5_S5_S5_, .Lfunc_end27-_ZL33flash_attn_stream_k_fixup_generalILi128ELi8ELi8EEvPfPK15HIP_vector_typeIfLj2EEiiiiS1_IjLj3EES5_S5_S5_
                                        ; -- End function
	.set _ZL33flash_attn_stream_k_fixup_generalILi128ELi8ELi8EEvPfPK15HIP_vector_typeIfLj2EEiiiiS1_IjLj3EES5_S5_S5_.num_vgpr, 18
	.set _ZL33flash_attn_stream_k_fixup_generalILi128ELi8ELi8EEvPfPK15HIP_vector_typeIfLj2EEiiiiS1_IjLj3EES5_S5_S5_.num_agpr, 0
	.set _ZL33flash_attn_stream_k_fixup_generalILi128ELi8ELi8EEvPfPK15HIP_vector_typeIfLj2EEiiiiS1_IjLj3EES5_S5_S5_.numbered_sgpr, 36
	.set _ZL33flash_attn_stream_k_fixup_generalILi128ELi8ELi8EEvPfPK15HIP_vector_typeIfLj2EEiiiiS1_IjLj3EES5_S5_S5_.num_named_barrier, 0
	.set _ZL33flash_attn_stream_k_fixup_generalILi128ELi8ELi8EEvPfPK15HIP_vector_typeIfLj2EEiiiiS1_IjLj3EES5_S5_S5_.private_seg_size, 0
	.set _ZL33flash_attn_stream_k_fixup_generalILi128ELi8ELi8EEvPfPK15HIP_vector_typeIfLj2EEiiiiS1_IjLj3EES5_S5_S5_.uses_vcc, 1
	.set _ZL33flash_attn_stream_k_fixup_generalILi128ELi8ELi8EEvPfPK15HIP_vector_typeIfLj2EEiiiiS1_IjLj3EES5_S5_S5_.uses_flat_scratch, 0
	.set _ZL33flash_attn_stream_k_fixup_generalILi128ELi8ELi8EEvPfPK15HIP_vector_typeIfLj2EEiiiiS1_IjLj3EES5_S5_S5_.has_dyn_sized_stack, 0
	.set _ZL33flash_attn_stream_k_fixup_generalILi128ELi8ELi8EEvPfPK15HIP_vector_typeIfLj2EEiiiiS1_IjLj3EES5_S5_S5_.has_recursion, 0
	.set _ZL33flash_attn_stream_k_fixup_generalILi128ELi8ELi8EEvPfPK15HIP_vector_typeIfLj2EEiiiiS1_IjLj3EES5_S5_S5_.has_indirect_call, 0
	.section	.AMDGPU.csdata,"",@progbits
; Kernel info:
; codeLenInByte = 2940
; TotalNumSgprs: 42
; NumVgprs: 18
; NumAgprs: 0
; TotalNumVgprs: 18
; ScratchSize: 0
; MemoryBound: 0
; FloatMode: 240
; IeeeMode: 1
; LDSByteSize: 0 bytes/workgroup (compile time only)
; SGPRBlocks: 5
; VGPRBlocks: 2
; NumSGPRsForWavesPerEU: 42
; NumVGPRsForWavesPerEU: 18
; AccumOffset: 20
; Occupancy: 8
; WaveLimiterHint : 0
; COMPUTE_PGM_RSRC2:SCRATCH_EN: 0
; COMPUTE_PGM_RSRC2:USER_SGPR: 2
; COMPUTE_PGM_RSRC2:TRAP_HANDLER: 0
; COMPUTE_PGM_RSRC2:TGID_X_EN: 1
; COMPUTE_PGM_RSRC2:TGID_Y_EN: 1
; COMPUTE_PGM_RSRC2:TGID_Z_EN: 1
; COMPUTE_PGM_RSRC2:TIDIG_COMP_CNT: 0
; COMPUTE_PGM_RSRC3_GFX90A:ACCUM_OFFSET: 4
; COMPUTE_PGM_RSRC3_GFX90A:TG_SPLIT: 0
	.section	.text._ZL26flash_attn_combine_resultsILi128EEvPKfPK15HIP_vector_typeIfLj2EEPfi,"axG",@progbits,_ZL26flash_attn_combine_resultsILi128EEvPKfPK15HIP_vector_typeIfLj2EEPfi,comdat
	.globl	_ZL26flash_attn_combine_resultsILi128EEvPKfPK15HIP_vector_typeIfLj2EEPfi ; -- Begin function _ZL26flash_attn_combine_resultsILi128EEvPKfPK15HIP_vector_typeIfLj2EEPfi
	.p2align	8
	.type	_ZL26flash_attn_combine_resultsILi128EEvPKfPK15HIP_vector_typeIfLj2EEPfi,@function
_ZL26flash_attn_combine_resultsILi128EEvPKfPK15HIP_vector_typeIfLj2EEPfi: ; @_ZL26flash_attn_combine_resultsILi128EEvPKfPK15HIP_vector_typeIfLj2EEPfi
; %bb.0:
	s_load_dwordx2 s[6:7], s[0:1], 0x20
	s_load_dword s19, s[0:1], 0x18
	s_load_dwordx4 s[8:11], s[0:1], 0x0
	s_load_dwordx2 s[14:15], s[0:1], 0x10
	s_waitcnt lgkmcnt(0)
	s_mul_i32 s0, s6, s4
	s_add_i32 s0, s0, s2
	s_mul_i32 s18, s0, s7
	s_add_i32 s18, s18, s3
	s_lshl_b32 s20, s19, 1
	s_mul_i32 s2, s18, s19
	v_cmp_gt_i32_e32 vcc, s20, v0
	s_and_saveexec_b64 s[0:1], vcc
	s_cbranch_execz .LBB28_13
; %bb.1:
	v_xad_u32 v1, v0, -1, s20
	s_movk_i32 s4, 0x7f
	s_ashr_i32 s3, s2, 31
	v_cmp_lt_u32_e32 vcc, s4, v1
	s_mov_b64 s[6:7], -1
	v_mov_b32_e32 v2, v0
	s_and_saveexec_b64 s[4:5], vcc
	s_cbranch_execz .LBB28_10
; %bb.2:
	v_lshrrev_b32_e32 v6, 7, v1
	s_lshl_b64 s[6:7], s[2:3], 3
	v_add_u32_e32 v2, -1, v6
	s_add_u32 s6, s10, s6
	v_or_b32_e32 v1, 0x80, v0
	v_lshrrev_b32_e32 v3, 1, v2
	s_addc_u32 s7, s11, s7
	s_mov_b32 s21, 0
	v_add_u32_e32 v7, 1, v3
	v_cmp_lt_u32_e32 vcc, 13, v2
	v_mov_b32_e32 v4, 0
	v_mov_b64_e32 v[2:3], v[0:1]
	s_and_saveexec_b64 s[12:13], vcc
	s_cbranch_execz .LBB28_6
; %bb.3:
	v_and_b32_e32 v8, -8, v7
	v_lshl_add_u32 v9, v0, 2, 0
	s_mov_b64 s[16:17], 0
	v_mov_b32_e32 v5, 0
	v_mov_b64_e32 v[2:3], v[0:1]
.LBB28_4:                               ; =>This Inner Loop Header: Depth=1
	v_mov_b32_e32 v4, v2
	v_lshl_add_u64 v[24:25], v[4:5], 2, s[6:7]
	v_mov_b32_e32 v4, v3
	v_add_u32_e32 v10, 0x100, v3
	v_mov_b32_e32 v11, v5
	v_lshl_add_u64 v[26:27], v[4:5], 2, s[6:7]
	v_add_u32_e32 v4, 0x100, v2
	v_lshl_add_u64 v[10:11], v[10:11], 2, s[6:7]
	global_load_dword v1, v[24:25], off
	v_lshl_add_u64 v[24:25], v[4:5], 2, s[6:7]
	v_add_u32_e32 v4, 0x200, v2
	global_load_dword v28, v[26:27], off
	global_load_dword v29, v[24:25], off
	;; [unrolled: 1-line block ×3, first 2 shown]
	v_lshl_add_u64 v[10:11], v[4:5], 2, s[6:7]
	v_add_u32_e32 v4, 0x300, v2
	v_add_u32_e32 v12, 0x200, v3
	v_mov_b32_e32 v13, v5
	v_add_u32_e32 v14, 0x300, v3
	v_mov_b32_e32 v15, v5
	v_lshl_add_u64 v[24:25], v[4:5], 2, s[6:7]
	v_add_u32_e32 v4, 0x400, v2
	v_lshl_add_u64 v[12:13], v[12:13], 2, s[6:7]
	v_lshl_add_u64 v[14:15], v[14:15], 2, s[6:7]
	global_load_dword v26, v[10:11], off
	global_load_dword v27, v[12:13], off
	;; [unrolled: 1-line block ×4, first 2 shown]
	v_lshl_add_u64 v[10:11], v[4:5], 2, s[6:7]
	v_add_u32_e32 v4, 0x500, v2
	v_add_u32_e32 v16, 0x400, v3
	v_mov_b32_e32 v17, v5
	v_add_u32_e32 v18, 0x500, v3
	v_mov_b32_e32 v19, v5
	v_lshl_add_u64 v[12:13], v[4:5], 2, s[6:7]
	v_add_u32_e32 v4, 0x600, v2
	v_add_u32_e32 v20, 0x600, v3
	v_mov_b32_e32 v21, v5
	v_add_u32_e32 v22, 0x700, v3
	v_mov_b32_e32 v23, v5
	v_lshl_add_u64 v[16:17], v[16:17], 2, s[6:7]
	v_lshl_add_u64 v[18:19], v[18:19], 2, s[6:7]
	global_load_dword v14, v[10:11], off
	global_load_dword v15, v[16:17], off
	;; [unrolled: 1-line block ×4, first 2 shown]
	v_lshl_add_u64 v[10:11], v[4:5], 2, s[6:7]
	v_add_u32_e32 v4, 0x700, v2
	v_lshl_add_u64 v[20:21], v[20:21], 2, s[6:7]
	v_lshl_add_u64 v[22:23], v[22:23], 2, s[6:7]
	;; [unrolled: 1-line block ×3, first 2 shown]
	global_load_dword v16, v[10:11], off
	global_load_dword v17, v[20:21], off
	;; [unrolled: 1-line block ×4, first 2 shown]
	v_add_u32_e32 v8, -8, v8
	s_add_i32 s21, s21, 16
	v_cmp_eq_u32_e32 vcc, 0, v8
	v_add_u32_e32 v3, 0x800, v3
	v_mov_b32_e32 v4, s21
	s_or_b64 s[16:17], vcc, s[16:17]
	v_add_u32_e32 v2, 0x800, v2
	s_waitcnt vmcnt(14)
	ds_write2st64_b32 v9, v1, v28 offset1:2
	s_waitcnt vmcnt(12)
	ds_write2st64_b32 v9, v29, v30 offset0:4 offset1:6
	s_waitcnt vmcnt(10)
	ds_write2st64_b32 v9, v26, v27 offset0:8 offset1:10
	;; [unrolled: 2-line block ×7, first 2 shown]
	v_add_u32_e32 v9, 0x2000, v9
	s_andn2_b64 exec, exec, s[16:17]
	s_cbranch_execnz .LBB28_4
; %bb.5:
	s_or_b64 exec, exec, s[16:17]
.LBB28_6:
	s_or_b64 exec, exec, s[12:13]
	v_and_b32_e32 v1, 7, v7
	v_cmp_ne_u32_e32 vcc, 0, v1
	s_and_saveexec_b64 s[12:13], vcc
	s_cbranch_execz .LBB28_9
; %bb.7:
	v_lshlrev_b32_e32 v5, 2, v0
	v_lshl_or_b32 v4, v4, 9, v5
	v_add_u32_e32 v7, 0, v4
	s_mov_b64 s[16:17], 0
	v_mov_b32_e32 v5, 0
.LBB28_8:                               ; =>This Inner Loop Header: Depth=1
	v_mov_b32_e32 v4, v2
	v_lshl_add_u64 v[8:9], v[4:5], 2, s[6:7]
	v_mov_b32_e32 v4, v3
	v_lshl_add_u64 v[10:11], v[4:5], 2, s[6:7]
	global_load_dword v4, v[8:9], off
	global_load_dword v12, v[10:11], off
	v_add_u32_e32 v1, -1, v1
	v_cmp_eq_u32_e32 vcc, 0, v1
	v_add_u32_e32 v2, 0x100, v2
	v_add_u32_e32 v3, 0x100, v3
	s_or_b64 s[16:17], vcc, s[16:17]
	s_waitcnt vmcnt(0)
	ds_write2st64_b32 v7, v4, v12 offset1:2
	v_add_u32_e32 v7, 0x400, v7
	s_andn2_b64 exec, exec, s[16:17]
	s_cbranch_execnz .LBB28_8
.LBB28_9:
	s_or_b64 exec, exec, s[12:13]
	v_add_u32_e32 v1, 1, v6
	v_and_b32_e32 v3, 0x3fffffe, v1
	v_cmp_ne_u32_e32 vcc, v1, v3
	v_lshl_or_b32 v2, v3, 7, v0
	s_orn2_b64 s[6:7], vcc, exec
.LBB28_10:
	s_or_b64 exec, exec, s[4:5]
	s_and_b64 exec, exec, s[6:7]
	s_cbranch_execz .LBB28_13
; %bb.11:
	s_lshl_b64 s[4:5], s[2:3], 3
	s_add_u32 s4, s10, s4
	v_mov_b32_e32 v3, 0
	s_addc_u32 s5, s11, s5
	v_lshl_add_u64 v[4:5], v[2:3], 2, s[4:5]
	v_lshl_add_u32 v1, v2, 2, 0
	s_mov_b64 s[4:5], 0
	s_mov_b64 s[6:7], 0x200
.LBB28_12:                              ; =>This Inner Loop Header: Depth=1
	global_load_dword v3, v[4:5], off
	v_add_u32_e32 v2, 0x80, v2
	v_cmp_le_i32_e32 vcc, s20, v2
	v_lshl_add_u64 v[4:5], v[4:5], 0, s[6:7]
	s_or_b64 s[4:5], vcc, s[4:5]
	s_waitcnt vmcnt(0)
	ds_write_b32 v1, v3
	v_add_u32_e32 v1, 0x200, v1
	s_andn2_b64 exec, exec, s[4:5]
	s_cbranch_execnz .LBB28_12
.LBB28_13:
	s_or_b64 exec, exec, s[0:1]
	v_mov_b32_e32 v1, 0
	s_waitcnt lgkmcnt(0)
	s_barrier
	ds_read_b32 v1, v1
	s_cmp_lt_i32 s19, 2
	s_cbranch_scc1 .LBB28_21
; %bb.14:
	s_cmp_eq_u32 s19, 2
	s_cbranch_scc1 .LBB28_18
; %bb.15:
	s_add_i32 s3, s19, -1
	s_and_b32 s4, s3, -2
	s_add_i32 s6, 0, 8
	s_mov_b32 s5, 2
	s_waitcnt lgkmcnt(0)
	v_mov_b32_e32 v4, v1
.LBB28_16:                              ; =>This Inner Loop Header: Depth=1
	v_mov_b32_e32 v2, v1
	v_mov_b32_e32 v1, s6
	;; [unrolled: 1-line block ×3, first 2 shown]
	ds_read2_b32 v[4:5], v1 offset1:2
	s_cmp_lg_u32 s4, s5
	s_cselect_b64 s[10:11], -1, 0
	v_max_f32_e32 v1, v3, v3
	v_max_f32_e32 v6, v2, v2
	s_waitcnt lgkmcnt(0)
	v_cmp_u_f32_e32 vcc, v5, v5
	v_max_f32_e32 v7, v5, v5
	v_max_f32_e32 v8, v4, v4
	v_cndmask_b32_e64 v5, 0, 1, vcc
	v_cmp_u_f32_e32 vcc, v4, v4
	v_readfirstlane_b32 s0, v5
	s_lshl_b32 s0, s0, 1
	v_cndmask_b32_e64 v9, 0, 1, vcc
	v_max_f32_e32 v4, v1, v7
	v_readfirstlane_b32 s1, v9
	s_or_b32 s0, s1, s0
	s_and_b32 s7, s0, 3
	s_cmp_lg_u32 s7, 0
	s_cselect_b64 s[0:1], -1, 0
	s_cmp_eq_u32 s7, 0
	s_cselect_b64 s[12:13], -1, 0
	s_and_b64 s[10:11], s[12:13], s[10:11]
	v_max_f32_e32 v1, v6, v8
	s_add_i32 s5, s5, 2
	s_add_i32 s6, s6, 16
	s_and_b64 vcc, exec, s[10:11]
	s_cbranch_vccnz .LBB28_16
; %bb.17:
	s_add_i32 s5, s5, -4
	s_and_b64 s[6:7], s[0:1], exec
	s_cselect_b32 s5, s5, s3
	s_or_b32 s5, s5, 1
	v_cndmask_b32_e64 v1, v1, v2, s[0:1]
	v_cndmask_b32_e64 v2, v4, v3, s[0:1]
	s_cmp_lg_u32 s3, s4
	v_max_f32_e32 v2, v2, v2
	v_max_f32_e32 v1, v1, v1
	s_cselect_b64 s[6:7], -1, 0
	v_max_f32_e32 v1, v1, v2
	s_or_b64 s[0:1], s[6:7], s[0:1]
	s_and_b64 vcc, exec, s[0:1]
	s_cbranch_vccnz .LBB28_19
	s_branch .LBB28_21
.LBB28_18:
	s_mov_b32 s5, 1
	s_cbranch_execz .LBB28_21
.LBB28_19:
	s_lshl_b32 s1, s5, 3
	s_sub_i32 s0, s19, s5
	s_add_i32 s1, s1, 0
.LBB28_20:                              ; =>This Inner Loop Header: Depth=1
	v_mov_b32_e32 v2, s1
	ds_read_b32 v2, v2
	s_waitcnt lgkmcnt(1)
	v_max_f32_e32 v1, v1, v1
	s_add_i32 s0, s0, -1
	s_add_i32 s1, s1, 8
	s_cmp_eq_u32 s0, 0
	s_waitcnt lgkmcnt(0)
	v_max_f32_e32 v2, v2, v2
	v_max_f32_e32 v1, v1, v2
	s_cbranch_scc0 .LBB28_20
.LBB28_21:
	s_cmp_lt_i32 s19, 1
	s_cbranch_scc1 .LBB28_26
; %bb.22:
	s_lshl_b32 s0, s2, 7
	s_ashr_i32 s1, s0, 31
	s_lshl_b64 s[0:1], s[0:1], 2
	s_add_u32 s16, s8, s0
	s_addc_u32 s17, s9, s1
	s_cmp_lt_u32 s19, 8
	s_cbranch_scc1 .LBB28_27
; %bb.23:
	v_mov_b32_e32 v7, 0
	s_and_b32 s20, s19, 0x7ffffff8
	v_or_b32_e32 v4, 0x380, v0
	s_mov_b32 s21, 0
	s_mov_b32 s22, 0x3fb8aa3b
	;; [unrolled: 1-line block ×4, first 2 shown]
	v_mov_b32_e32 v8, 0x7f800000
	s_mov_b32 s25, 0
	v_mov_b32_e32 v2, v7
	v_mov_b32_e32 v3, v7
.LBB28_24:                              ; =>This Inner Loop Header: Depth=1
	v_add_u32_e32 v6, 0xfffffc80, v4
	v_lshl_add_u64 v[26:27], v[6:7], 2, s[16:17]
	v_add_u32_e32 v6, 0xfffffd00, v4
	v_mov_b32_e32 v9, s21
	v_lshl_add_u64 v[30:31], v[6:7], 2, s[16:17]
	v_add_u32_e32 v6, 0xfffffd80, v4
	ds_read2_b64 v[10:13], v9 offset1:1
	ds_read2_b64 v[14:17], v9 offset0:2 offset1:3
	ds_read2_b64 v[18:21], v9 offset0:4 offset1:5
	;; [unrolled: 1-line block ×3, first 2 shown]
	global_load_dword v33, v[26:27], off
	global_load_dword v35, v[30:31], off
	v_lshl_add_u64 v[26:27], v[6:7], 2, s[16:17]
	v_add_u32_e32 v6, 0xfffffe00, v4
	v_lshl_add_u64 v[30:31], v[6:7], 2, s[16:17]
	v_add_u32_e32 v6, 0xfffffe80, v4
	global_load_dword v37, v[26:27], off
	global_load_dword v39, v[30:31], off
	v_lshl_add_u64 v[26:27], v[6:7], 2, s[16:17]
	v_add_u32_e32 v6, 0xffffff00, v4
	s_waitcnt lgkmcnt(3)
	v_mov_b32_e32 v32, v11
	v_sub_f32_e32 v9, v12, v1
	v_mov_b32_e32 v34, v13
	global_load_dword v11, v[26:27], off
	v_lshl_add_u64 v[12:13], v[6:7], 2, s[16:17]
	s_waitcnt lgkmcnt(2)
	v_mov_b32_e32 v36, v15
	v_add_u32_e32 v6, 0xffffff80, v4
	global_load_dword v15, v[12:13], off
	v_mov_b32_e32 v5, v7
	v_lshl_add_u64 v[12:13], v[6:7], 2, s[16:17]
	v_lshl_add_u64 v[28:29], v[4:5], 2, s[16:17]
	v_sub_f32_e32 v5, v10, v1
	v_mov_b32_e32 v38, v17
	s_waitcnt lgkmcnt(1)
	v_mov_b32_e32 v10, v19
	global_load_dword v17, v[12:13], off
	global_load_dword v19, v[28:29], off
	v_sub_f32_e32 v30, v14, v1
	v_sub_f32_e32 v31, v16, v1
	;; [unrolled: 1-line block ×3, first 2 shown]
	v_mov_b32_e32 v14, v21
	s_waitcnt lgkmcnt(0)
	v_sub_f32_e32 v21, v22, v1
	v_mov_b32_e32 v16, v23
	v_sub_f32_e32 v22, v24, v1
	v_mul_f32_e32 v23, 0x3fb8aa3b, v5
	v_mov_b32_e32 v18, v25
	v_mul_f32_e32 v24, 0x3fb8aa3b, v9
	v_mul_f32_e32 v25, 0x3fb8aa3b, v30
	;; [unrolled: 1-line block ×5, first 2 shown]
	v_fma_f32 v43, v5, s22, -v23
	v_rndne_f32_e32 v44, v23
	v_sub_f32_e32 v20, v20, v1
	v_fma_f32 v45, v9, s22, -v24
	v_rndne_f32_e32 v46, v24
	v_fma_f32 v47, v30, s22, -v25
	v_rndne_f32_e32 v48, v25
	;; [unrolled: 2-line block ×5, first 2 shown]
	v_fmac_f32_e32 v43, 0x32a5705f, v5
	v_sub_f32_e32 v12, v23, v44
	v_mul_f32_e32 v26, 0x3fb8aa3b, v31
	v_mul_f32_e32 v41, 0x3fb8aa3b, v20
	v_fmac_f32_e32 v45, 0x32a5705f, v9
	v_sub_f32_e32 v23, v24, v46
	v_fmac_f32_e32 v47, 0x32a5705f, v30
	v_sub_f32_e32 v25, v25, v48
	;; [unrolled: 2-line block ×5, first 2 shown]
	v_add_f32_e32 v12, v12, v43
	v_fma_f32 v49, v31, s22, -v26
	v_rndne_f32_e32 v50, v26
	v_fma_f32 v53, v20, s22, -v41
	v_rndne_f32_e32 v54, v41
	v_cvt_i32_f32_e32 v13, v44
	v_add_f32_e32 v23, v23, v45
	v_add_f32_e32 v25, v25, v47
	;; [unrolled: 1-line block ×5, first 2 shown]
	v_exp_f32_e32 v12, v12
	v_cvt_i32_f32_e32 v24, v46
	v_cvt_i32_f32_e32 v28, v48
	v_fmac_f32_e32 v49, 0x32a5705f, v31
	v_sub_f32_e32 v26, v26, v50
	v_cvt_i32_f32_e32 v29, v50
	v_cvt_i32_f32_e32 v44, v52
	v_fmac_f32_e32 v53, 0x32a5705f, v20
	v_sub_f32_e32 v41, v41, v54
	v_cvt_i32_f32_e32 v48, v56
	v_cvt_i32_f32_e32 v50, v58
	v_exp_f32_e32 v23, v23
	v_exp_f32_e32 v25, v25
	;; [unrolled: 1-line block ×5, first 2 shown]
	v_add_f32_e32 v26, v26, v49
	v_add_f32_e32 v41, v41, v53
	v_cvt_i32_f32_e32 v46, v54
	v_exp_f32_e32 v26, v26
	v_exp_f32_e32 v41, v41
	v_ldexp_f32 v12, v12, v13
	v_cmp_ngt_f32_e64 s[12:13], s23, v5
	v_ldexp_f32 v13, v23, v24
	v_cmp_ngt_f32_e32 vcc, s23, v9
	v_ldexp_f32 v23, v25, v28
	v_ldexp_f32 v25, v27, v44
	;; [unrolled: 1-line block ×3, first 2 shown]
	v_cmp_ngt_f32_e64 s[8:9], s23, v21
	v_ldexp_f32 v6, v6, v50
	v_cmp_ngt_f32_e64 s[10:11], s23, v22
	v_cndmask_b32_e64 v12, 0, v12, s[12:13]
	v_cmp_nlt_f32_e64 s[12:13], s24, v5
	v_cmp_ngt_f32_e64 s[0:1], s23, v30
	v_cndmask_b32_e32 v13, 0, v13, vcc
	v_cmp_nlt_f32_e32 vcc, s24, v9
	v_cndmask_b32_e64 v27, 0, v27, s[8:9]
	v_cmp_nlt_f32_e64 s[8:9], s24, v21
	v_cndmask_b32_e64 v21, 0, v6, s[10:11]
	v_cndmask_b32_e64 v6, v8, v12, s[12:13]
	v_ldexp_f32 v24, v26, v29
	v_cmp_ngt_f32_e64 s[2:3], s23, v31
	v_cmp_ngt_f32_e64 s[4:5], s23, v40
	v_ldexp_f32 v26, v41, v46
	v_cmp_ngt_f32_e64 s[6:7], s23, v20
	v_cndmask_b32_e64 v9, 0, v23, s[0:1]
	v_cmp_nlt_f32_e64 s[0:1], s24, v30
	v_cndmask_b32_e32 v12, v8, v13, vcc
	s_waitcnt vmcnt(7)
	v_pk_fma_f32 v[2:3], v[6:7], v[32:33], v[2:3] op_sel_hi:[0,1,1]
	v_cndmask_b32_e64 v23, 0, v24, s[2:3]
	v_cmp_nlt_f32_e64 s[2:3], s24, v31
	v_cndmask_b32_e64 v24, 0, v25, s[4:5]
	v_cndmask_b32_e64 v25, 0, v26, s[6:7]
	v_cmp_nlt_f32_e64 s[6:7], s24, v20
	v_cndmask_b32_e64 v20, v8, v9, s[0:1]
	s_waitcnt vmcnt(6)
	v_pk_fma_f32 v[2:3], v[12:13], v[34:35], v[2:3] op_sel_hi:[0,1,1]
	v_cmp_nlt_f32_e64 s[4:5], s24, v40
	v_cmp_nlt_f32_e64 s[10:11], s24, v22
	v_cndmask_b32_e64 v22, v8, v23, s[2:3]
	s_waitcnt vmcnt(5)
	v_pk_fma_f32 v[2:3], v[20:21], v[36:37], v[2:3] op_sel_hi:[0,1,1]
	v_cndmask_b32_e64 v24, v8, v24, s[4:5]
	s_waitcnt vmcnt(4)
	v_pk_fma_f32 v[2:3], v[22:23], v[38:39], v[2:3] op_sel_hi:[0,1,1]
	;; [unrolled: 3-line block ×4, first 2 shown]
	s_add_i32 s25, s25, 8
	s_add_i32 s21, s21, 64
	v_cndmask_b32_e64 v30, v8, v21, s[10:11]
	s_waitcnt vmcnt(1)
	v_pk_fma_f32 v[2:3], v[28:29], v[16:17], v[2:3] op_sel_hi:[0,1,1]
	s_cmp_eq_u32 s20, s25
	v_add_u32_e32 v4, 0x400, v4
	s_waitcnt vmcnt(0)
	v_pk_fma_f32 v[2:3], v[30:31], v[18:19], v[2:3] op_sel_hi:[0,1,1]
	s_cbranch_scc0 .LBB28_24
; %bb.25:
	s_and_b32 s0, s19, 7
	s_cmp_eq_u32 s0, 0
	s_cbranch_scc0 .LBB28_28
	s_branch .LBB28_30
.LBB28_26:
	s_waitcnt lgkmcnt(0)
	v_mov_b32_e32 v1, 0x7fc00000
	s_branch .LBB28_31
.LBB28_27:
	v_mov_b32_e32 v2, 0
	s_mov_b32 s20, 0
	v_mov_b32_e32 v3, v2
	s_and_b32 s0, s19, 7
	s_cmp_eq_u32 s0, 0
	s_cbranch_scc1 .LBB28_30
.LBB28_28:
	s_lshl_b32 s1, s20, 3
	v_lshl_or_b32 v4, s20, 7, v0
	s_add_i32 s1, s1, 0
	s_mov_b32 s2, 0x3fb8aa3b
	s_mov_b32 s3, 0xc2ce8ed0
	;; [unrolled: 1-line block ×3, first 2 shown]
	v_mov_b32_e32 v6, 0x7f800000
	v_mov_b32_e32 v5, 0
.LBB28_29:                              ; =>This Inner Loop Header: Depth=1
	v_lshl_add_u64 v[8:9], v[4:5], 2, s[16:17]
	global_load_dword v9, v[8:9], off
	v_mov_b32_e32 v7, s1
	ds_read_b64 v[10:11], v7
	s_add_i32 s1, s1, 8
	s_add_i32 s0, s0, -1
	v_add_u32_e32 v4, 0x80, v4
	s_cmp_lg_u32 s0, 0
	s_waitcnt lgkmcnt(0)
	v_sub_f32_e32 v7, v10, v1
	v_mul_f32_e32 v8, 0x3fb8aa3b, v7
	v_fma_f32 v10, v7, s2, -v8
	v_rndne_f32_e32 v12, v8
	v_fmac_f32_e32 v10, 0x32a5705f, v7
	v_sub_f32_e32 v8, v8, v12
	v_add_f32_e32 v8, v8, v10
	v_cvt_i32_f32_e32 v12, v12
	v_exp_f32_e32 v10, v8
	v_cmp_ngt_f32_e32 vcc, s3, v7
	v_mov_b32_e32 v8, v11
	v_ldexp_f32 v10, v10, v12
	v_cndmask_b32_e32 v10, 0, v10, vcc
	v_cmp_nlt_f32_e32 vcc, s4, v7
	s_nop 1
	v_cndmask_b32_e32 v10, v6, v10, vcc
	s_waitcnt vmcnt(0)
	v_pk_fma_f32 v[2:3], v[10:11], v[8:9], v[2:3] op_sel_hi:[0,1,1]
	s_cbranch_scc1 .LBB28_29
.LBB28_30:
	s_waitcnt lgkmcnt(0)
	v_div_scale_f32 v1, s[0:1], v2, v2, v3
	v_rcp_f32_e32 v4, v1
	v_div_scale_f32 v5, vcc, v3, v2, v3
	v_fma_f32 v6, -v1, v4, 1.0
	v_fmac_f32_e32 v4, v6, v4
	v_mul_f32_e32 v6, v5, v4
	v_fma_f32 v7, -v1, v6, v5
	v_fmac_f32_e32 v6, v7, v4
	v_fma_f32 v1, -v1, v6, v5
	v_div_fmas_f32 v1, v1, v4, v6
	v_div_fixup_f32 v1, v1, v2, v3
.LBB28_31:
	s_lshl_b32 s0, s18, 7
	s_ashr_i32 s1, s0, 31
	s_lshl_b64 s[0:1], s[0:1], 2
	s_add_u32 s0, s14, s0
	s_addc_u32 s1, s15, s1
	v_lshlrev_b32_e32 v0, 2, v0
	global_store_dword v0, v1, s[0:1]
	s_endpgm
	.section	.rodata,"a",@progbits
	.p2align	6, 0x0
	.amdhsa_kernel _ZL26flash_attn_combine_resultsILi128EEvPKfPK15HIP_vector_typeIfLj2EEPfi
		.amdhsa_group_segment_fixed_size 0
		.amdhsa_private_segment_fixed_size 0
		.amdhsa_kernarg_size 288
		.amdhsa_user_sgpr_count 2
		.amdhsa_user_sgpr_dispatch_ptr 0
		.amdhsa_user_sgpr_queue_ptr 0
		.amdhsa_user_sgpr_kernarg_segment_ptr 1
		.amdhsa_user_sgpr_dispatch_id 0
		.amdhsa_user_sgpr_kernarg_preload_length 0
		.amdhsa_user_sgpr_kernarg_preload_offset 0
		.amdhsa_user_sgpr_private_segment_size 0
		.amdhsa_uses_dynamic_stack 0
		.amdhsa_enable_private_segment 0
		.amdhsa_system_sgpr_workgroup_id_x 1
		.amdhsa_system_sgpr_workgroup_id_y 1
		.amdhsa_system_sgpr_workgroup_id_z 1
		.amdhsa_system_sgpr_workgroup_info 0
		.amdhsa_system_vgpr_workitem_id 0
		.amdhsa_next_free_vgpr 59
		.amdhsa_next_free_sgpr 26
		.amdhsa_accum_offset 60
		.amdhsa_reserve_vcc 1
		.amdhsa_float_round_mode_32 0
		.amdhsa_float_round_mode_16_64 0
		.amdhsa_float_denorm_mode_32 3
		.amdhsa_float_denorm_mode_16_64 3
		.amdhsa_dx10_clamp 1
		.amdhsa_ieee_mode 1
		.amdhsa_fp16_overflow 0
		.amdhsa_tg_split 0
		.amdhsa_exception_fp_ieee_invalid_op 0
		.amdhsa_exception_fp_denorm_src 0
		.amdhsa_exception_fp_ieee_div_zero 0
		.amdhsa_exception_fp_ieee_overflow 0
		.amdhsa_exception_fp_ieee_underflow 0
		.amdhsa_exception_fp_ieee_inexact 0
		.amdhsa_exception_int_div_zero 0
	.end_amdhsa_kernel
	.section	.text._ZL26flash_attn_combine_resultsILi128EEvPKfPK15HIP_vector_typeIfLj2EEPfi,"axG",@progbits,_ZL26flash_attn_combine_resultsILi128EEvPKfPK15HIP_vector_typeIfLj2EEPfi,comdat
.Lfunc_end28:
	.size	_ZL26flash_attn_combine_resultsILi128EEvPKfPK15HIP_vector_typeIfLj2EEPfi, .Lfunc_end28-_ZL26flash_attn_combine_resultsILi128EEvPKfPK15HIP_vector_typeIfLj2EEPfi
                                        ; -- End function
	.set _ZL26flash_attn_combine_resultsILi128EEvPKfPK15HIP_vector_typeIfLj2EEPfi.num_vgpr, 59
	.set _ZL26flash_attn_combine_resultsILi128EEvPKfPK15HIP_vector_typeIfLj2EEPfi.num_agpr, 0
	.set _ZL26flash_attn_combine_resultsILi128EEvPKfPK15HIP_vector_typeIfLj2EEPfi.numbered_sgpr, 26
	.set _ZL26flash_attn_combine_resultsILi128EEvPKfPK15HIP_vector_typeIfLj2EEPfi.num_named_barrier, 0
	.set _ZL26flash_attn_combine_resultsILi128EEvPKfPK15HIP_vector_typeIfLj2EEPfi.private_seg_size, 0
	.set _ZL26flash_attn_combine_resultsILi128EEvPKfPK15HIP_vector_typeIfLj2EEPfi.uses_vcc, 1
	.set _ZL26flash_attn_combine_resultsILi128EEvPKfPK15HIP_vector_typeIfLj2EEPfi.uses_flat_scratch, 0
	.set _ZL26flash_attn_combine_resultsILi128EEvPKfPK15HIP_vector_typeIfLj2EEPfi.has_dyn_sized_stack, 0
	.set _ZL26flash_attn_combine_resultsILi128EEvPKfPK15HIP_vector_typeIfLj2EEPfi.has_recursion, 0
	.set _ZL26flash_attn_combine_resultsILi128EEvPKfPK15HIP_vector_typeIfLj2EEPfi.has_indirect_call, 0
	.section	.AMDGPU.csdata,"",@progbits
; Kernel info:
; codeLenInByte = 2924
; TotalNumSgprs: 32
; NumVgprs: 59
; NumAgprs: 0
; TotalNumVgprs: 59
; ScratchSize: 0
; MemoryBound: 0
; FloatMode: 240
; IeeeMode: 1
; LDSByteSize: 0 bytes/workgroup (compile time only)
; SGPRBlocks: 3
; VGPRBlocks: 7
; NumSGPRsForWavesPerEU: 32
; NumVGPRsForWavesPerEU: 59
; AccumOffset: 60
; Occupancy: 8
; WaveLimiterHint : 0
; COMPUTE_PGM_RSRC2:SCRATCH_EN: 0
; COMPUTE_PGM_RSRC2:USER_SGPR: 2
; COMPUTE_PGM_RSRC2:TRAP_HANDLER: 0
; COMPUTE_PGM_RSRC2:TGID_X_EN: 1
; COMPUTE_PGM_RSRC2:TGID_Y_EN: 1
; COMPUTE_PGM_RSRC2:TGID_Z_EN: 1
; COMPUTE_PGM_RSRC2:TIDIG_COMP_CNT: 0
; COMPUTE_PGM_RSRC3_GFX90A:ACCUM_OFFSET: 14
; COMPUTE_PGM_RSRC3_GFX90A:TG_SPLIT: 0
	.section	.text._ZL18flash_attn_ext_f16ILi192ELi128ELi8ELi8ELb0ELb0EEvPKcS1_S1_S1_S1_PKiPfP15HIP_vector_typeIfLj2EEffffjfiS5_IjLj3EEiiiiiiiiiiiliiliiiiil,"axG",@progbits,_ZL18flash_attn_ext_f16ILi192ELi128ELi8ELi8ELb0ELb0EEvPKcS1_S1_S1_S1_PKiPfP15HIP_vector_typeIfLj2EEffffjfiS5_IjLj3EEiiiiiiiiiiiliiliiiiil,comdat
	.globl	_ZL18flash_attn_ext_f16ILi192ELi128ELi8ELi8ELb0ELb0EEvPKcS1_S1_S1_S1_PKiPfP15HIP_vector_typeIfLj2EEffffjfiS5_IjLj3EEiiiiiiiiiiiliiliiiiil ; -- Begin function _ZL18flash_attn_ext_f16ILi192ELi128ELi8ELi8ELb0ELb0EEvPKcS1_S1_S1_S1_PKiPfP15HIP_vector_typeIfLj2EEffffjfiS5_IjLj3EEiiiiiiiiiiiliiliiiiil
	.p2align	8
	.type	_ZL18flash_attn_ext_f16ILi192ELi128ELi8ELi8ELb0ELb0EEvPKcS1_S1_S1_S1_PKiPfP15HIP_vector_typeIfLj2EEffffjfiS5_IjLj3EEiiiiiiiiiiiliiliiiiil,@function
_ZL18flash_attn_ext_f16ILi192ELi128ELi8ELi8ELb0ELb0EEvPKcS1_S1_S1_S1_PKiPfP15HIP_vector_typeIfLj2EEffffjfiS5_IjLj3EEiiiiiiiiiiiliiliiiiil: ; @_ZL18flash_attn_ext_f16ILi192ELi128ELi8ELi8ELb0ELb0EEvPKcS1_S1_S1_S1_PKiPfP15HIP_vector_typeIfLj2EEffffjfiS5_IjLj3EEiiiiiiiiiiiliiliiiiil
; %bb.0:
	s_load_dwordx2 s[4:5], s[0:1], 0x80
	s_load_dwordx4 s[36:39], s[0:1], 0x64
	s_load_dword s33, s[0:1], 0xd0
	s_mov_b32 s6, 0
	s_waitcnt lgkmcnt(0)
	s_abs_i32 s3, s5
	v_cvt_f32_u32_e32 v1, s3
	s_sub_i32 s9, 0, s3
	s_abs_i32 s8, s37
	s_xor_b32 s7, s37, s5
	v_rcp_iflag_f32_e32 v1, v1
	s_ashr_i32 s7, s7, 31
	v_mul_f32_e32 v1, 0x4f7ffffe, v1
	v_cvt_u32_f32_e32 v1, v1
	s_nop 0
	v_readfirstlane_b32 s10, v1
	s_mul_i32 s9, s9, s10
	s_mul_hi_u32 s9, s10, s9
	s_add_i32 s10, s10, s9
	s_mul_hi_u32 s9, s8, s10
	s_mul_i32 s10, s9, s3
	s_sub_i32 s8, s8, s10
	s_add_i32 s11, s9, 1
	s_sub_i32 s10, s8, s3
	s_cmp_ge_u32 s8, s3
	s_cselect_b32 s9, s11, s9
	s_cselect_b32 s8, s10, s8
	s_add_i32 s10, s9, 1
	s_cmp_ge_u32 s8, s3
	s_cselect_b32 s3, s10, s9
	s_add_i32 s4, s4, 63
	s_xor_b32 s3, s3, s7
	s_ashr_i32 s8, s4, 31
	s_sub_i32 s3, s3, s7
	s_lshr_b32 s7, s8, 26
	s_add_i32 s4, s4, s7
	s_ashr_i32 s84, s4, 6
	s_add_i32 s4, s36, 7
	s_lshr_b32 s80, s4, 3
	s_add_i32 s4, s3, 7
	s_ashr_i32 s7, s4, 31
	s_lshr_b32 s7, s7, 29
	s_add_i32 s4, s4, s7
	s_ashr_i32 s4, s4, 3
	s_mul_i32 s81, s80, s84
	s_mul_i32 s82, s81, s4
	;; [unrolled: 1-line block ×4, first 2 shown]
	s_ashr_i32 s11, s10, 31
	s_mul_i32 s4, s11, s2
	s_mul_hi_u32 s5, s10, s2
	s_add_i32 s7, s5, s4
	s_cmp_lg_u64 s[6:7], 0
	s_mul_i32 s6, s10, s2
	s_cbranch_scc0 .LBB29_361
; %bb.1:
	s_add_u32 s4, s33, 0
	s_addc_u32 s5, 0, 0
	s_xor_b64 s[8:9], s[4:5], 0
	v_cvt_f32_u32_e32 v1, s8
	v_cvt_f32_u32_e32 v2, s9
	s_sub_u32 s14, 0, s8
	s_subb_u32 s15, 0, s9
	v_fmamk_f32 v1, v2, 0x4f800000, v1
	v_rcp_f32_e32 v1, v1
	s_nop 0
	v_mul_f32_e32 v1, 0x5f7ffffc, v1
	v_mul_f32_e32 v2, 0x2f800000, v1
	v_trunc_f32_e32 v2, v2
	v_fmamk_f32 v1, v2, 0xcf800000, v1
	v_cvt_u32_f32_e32 v2, v2
	v_cvt_u32_f32_e32 v1, v1
	v_readfirstlane_b32 s16, v2
	v_readfirstlane_b32 s12, v1
	s_mul_i32 s13, s14, s16
	s_mul_hi_u32 s18, s14, s12
	s_mul_i32 s17, s15, s12
	s_add_i32 s13, s18, s13
	s_add_i32 s13, s13, s17
	s_mul_i32 s19, s14, s12
	s_mul_i32 s18, s12, s13
	s_mul_hi_u32 s20, s12, s19
	s_mul_hi_u32 s17, s12, s13
	s_add_u32 s18, s20, s18
	s_addc_u32 s17, 0, s17
	s_mul_hi_u32 s21, s16, s19
	s_mul_i32 s19, s16, s19
	s_add_u32 s18, s18, s19
	s_mul_hi_u32 s20, s16, s13
	s_addc_u32 s17, s17, s21
	s_addc_u32 s18, s20, 0
	s_mul_i32 s13, s16, s13
	s_add_u32 s13, s17, s13
	s_addc_u32 s17, 0, s18
	s_add_u32 s18, s12, s13
	s_cselect_b64 s[12:13], -1, 0
	s_cmp_lg_u64 s[12:13], 0
	s_addc_u32 s16, s16, s17
	s_mul_i32 s12, s14, s16
	s_mul_hi_u32 s13, s14, s18
	s_add_i32 s12, s13, s12
	s_mul_i32 s15, s15, s18
	s_add_i32 s12, s12, s15
	s_mul_i32 s14, s14, s18
	s_mul_hi_u32 s15, s16, s14
	s_mul_i32 s17, s16, s14
	s_mul_i32 s20, s18, s12
	s_mul_hi_u32 s14, s18, s14
	s_mul_hi_u32 s19, s18, s12
	s_add_u32 s14, s14, s20
	s_addc_u32 s19, 0, s19
	s_add_u32 s14, s14, s17
	s_mul_hi_u32 s13, s16, s12
	s_addc_u32 s14, s19, s15
	s_addc_u32 s13, s13, 0
	s_mul_i32 s12, s16, s12
	s_add_u32 s12, s14, s12
	s_addc_u32 s14, 0, s13
	s_add_u32 s17, s18, s12
	s_cselect_b64 s[12:13], -1, 0
	s_cmp_lg_u64 s[12:13], 0
	s_addc_u32 s16, s16, s14
	s_ashr_i32 s12, s7, 31
	s_add_u32 s14, s6, s12
	s_mov_b32 s13, s12
	s_addc_u32 s15, s7, s12
	s_xor_b64 s[14:15], s[14:15], s[12:13]
	s_mul_i32 s18, s14, s16
	s_mul_hi_u32 s19, s14, s17
	s_mul_hi_u32 s7, s14, s16
	s_add_u32 s18, s19, s18
	s_addc_u32 s7, 0, s7
	s_mul_hi_u32 s20, s15, s17
	s_mul_i32 s17, s15, s17
	s_add_u32 s17, s18, s17
	s_mul_hi_u32 s19, s15, s16
	s_addc_u32 s7, s7, s20
	s_addc_u32 s17, s19, 0
	s_mul_i32 s16, s15, s16
	s_add_u32 s7, s7, s16
	s_addc_u32 s20, 0, s17
	s_mul_i32 s16, s8, s20
	s_mul_hi_u32 s17, s8, s7
	s_add_i32 s16, s17, s16
	s_mul_i32 s17, s9, s7
	s_add_i32 s21, s16, s17
	s_sub_i32 s18, s15, s21
	s_mul_i32 s16, s8, s7
	s_sub_u32 s14, s14, s16
	s_cselect_b64 s[16:17], -1, 0
	s_cmp_lg_u64 s[16:17], 0
	s_subb_u32 s22, s18, s9
	s_sub_u32 s23, s14, s8
	s_cselect_b64 s[18:19], -1, 0
	s_cmp_lg_u64 s[18:19], 0
	s_subb_u32 s18, s22, 0
	s_cmp_ge_u32 s18, s9
	s_cselect_b32 s19, -1, 0
	s_cmp_ge_u32 s23, s8
	s_cselect_b32 s22, -1, 0
	s_cmp_eq_u32 s18, s9
	s_cselect_b32 s18, s22, s19
	s_add_u32 s19, s7, 1
	s_addc_u32 s22, s20, 0
	s_add_u32 s23, s7, 2
	s_addc_u32 s24, s20, 0
	s_cmp_lg_u32 s18, 0
	s_cselect_b32 s18, s23, s19
	s_cselect_b32 s19, s24, s22
	s_cmp_lg_u64 s[16:17], 0
	s_subb_u32 s15, s15, s21
	s_cmp_ge_u32 s15, s9
	s_cselect_b32 s16, -1, 0
	s_cmp_ge_u32 s14, s8
	s_cselect_b32 s8, -1, 0
	s_cmp_eq_u32 s15, s9
	s_cselect_b32 s8, s8, s16
	s_cmp_lg_u32 s8, 0
	s_cselect_b32 s9, s19, s20
	s_cselect_b32 s8, s18, s7
	s_xor_b64 s[12:13], s[12:13], 0
	s_xor_b64 s[8:9], s[8:9], s[12:13]
	s_sub_u32 s56, s8, s12
	s_load_dwordx2 s[54:55], s[0:1], 0x74
	v_cvt_f32_u32_e32 v1, s33
	s_cbranch_execnz .LBB29_3
.LBB29_2:
	v_rcp_iflag_f32_e32 v2, v1
	s_sub_i32 s4, 0, s33
	v_mul_f32_e32 v2, 0x4f7ffffe, v2
	v_cvt_u32_f32_e32 v2, v2
	s_nop 0
	v_readfirstlane_b32 s5, v2
	s_mul_i32 s4, s4, s5
	s_mul_hi_u32 s4, s5, s4
	s_add_i32 s5, s5, s4
	s_mul_hi_u32 s4, s6, s5
	s_mul_i32 s7, s4, s33
	s_sub_i32 s6, s6, s7
	s_add_i32 s5, s4, 1
	s_sub_i32 s7, s6, s33
	s_cmp_ge_u32 s6, s33
	s_cselect_b32 s4, s5, s4
	s_cselect_b32 s6, s7, s6
	s_add_i32 s5, s4, 1
	s_cmp_ge_u32 s6, s33
	s_cselect_b32 s56, s5, s4
.LBB29_3:
	s_add_i32 s4, s2, 1
	s_mul_i32 s5, s11, s4
	s_mul_hi_u32 s6, s10, s4
	s_add_i32 s9, s6, s5
	s_mov_b32 s8, 0
	s_cmp_lg_u64 s[8:9], 0
	s_mul_i32 s8, s10, s4
	s_cbranch_scc0 .LBB29_362
; %bb.4:
	s_add_u32 s4, s33, 0
	s_addc_u32 s5, 0, 0
	s_xor_b64 s[6:7], s[4:5], 0
	v_cvt_f32_u32_e32 v2, s6
	v_cvt_f32_u32_e32 v3, s7
	s_sub_u32 s12, 0, s6
	s_subb_u32 s13, 0, s7
	v_fmamk_f32 v2, v3, 0x4f800000, v2
	v_rcp_f32_e32 v2, v2
	s_nop 0
	v_mul_f32_e32 v2, 0x5f7ffffc, v2
	v_mul_f32_e32 v3, 0x2f800000, v2
	v_trunc_f32_e32 v3, v3
	v_fmamk_f32 v2, v3, 0xcf800000, v2
	v_cvt_u32_f32_e32 v3, v3
	v_cvt_u32_f32_e32 v2, v2
	v_readfirstlane_b32 s14, v3
	v_readfirstlane_b32 s10, v2
	s_mul_i32 s11, s12, s14
	s_mul_hi_u32 s16, s12, s10
	s_mul_i32 s15, s13, s10
	s_add_i32 s11, s16, s11
	s_add_i32 s11, s11, s15
	s_mul_i32 s17, s12, s10
	s_mul_i32 s16, s10, s11
	s_mul_hi_u32 s18, s10, s17
	s_mul_hi_u32 s15, s10, s11
	s_add_u32 s16, s18, s16
	s_addc_u32 s15, 0, s15
	s_mul_hi_u32 s19, s14, s17
	s_mul_i32 s17, s14, s17
	s_add_u32 s16, s16, s17
	s_mul_hi_u32 s18, s14, s11
	s_addc_u32 s15, s15, s19
	s_addc_u32 s16, s18, 0
	s_mul_i32 s11, s14, s11
	s_add_u32 s11, s15, s11
	s_addc_u32 s15, 0, s16
	s_add_u32 s16, s10, s11
	s_cselect_b64 s[10:11], -1, 0
	s_cmp_lg_u64 s[10:11], 0
	s_addc_u32 s14, s14, s15
	s_mul_i32 s10, s12, s14
	s_mul_hi_u32 s11, s12, s16
	s_add_i32 s10, s11, s10
	s_mul_i32 s13, s13, s16
	s_add_i32 s10, s10, s13
	s_mul_i32 s12, s12, s16
	s_mul_hi_u32 s13, s14, s12
	s_mul_i32 s15, s14, s12
	s_mul_i32 s18, s16, s10
	s_mul_hi_u32 s12, s16, s12
	s_mul_hi_u32 s17, s16, s10
	s_add_u32 s12, s12, s18
	s_addc_u32 s17, 0, s17
	s_add_u32 s12, s12, s15
	s_mul_hi_u32 s11, s14, s10
	s_addc_u32 s12, s17, s13
	s_addc_u32 s11, s11, 0
	s_mul_i32 s10, s14, s10
	s_add_u32 s10, s12, s10
	s_addc_u32 s12, 0, s11
	s_add_u32 s15, s16, s10
	s_cselect_b64 s[10:11], -1, 0
	s_cmp_lg_u64 s[10:11], 0
	s_addc_u32 s14, s14, s12
	s_ashr_i32 s10, s9, 31
	s_add_u32 s12, s8, s10
	s_mov_b32 s11, s10
	s_addc_u32 s13, s9, s10
	s_xor_b64 s[12:13], s[12:13], s[10:11]
	s_mul_i32 s16, s12, s14
	s_mul_hi_u32 s17, s12, s15
	s_mul_hi_u32 s9, s12, s14
	s_add_u32 s16, s17, s16
	s_addc_u32 s9, 0, s9
	s_mul_hi_u32 s18, s13, s15
	s_mul_i32 s15, s13, s15
	s_add_u32 s15, s16, s15
	s_mul_hi_u32 s17, s13, s14
	s_addc_u32 s9, s9, s18
	s_addc_u32 s15, s17, 0
	s_mul_i32 s14, s13, s14
	s_add_u32 s9, s9, s14
	s_addc_u32 s18, 0, s15
	s_mul_i32 s14, s6, s18
	s_mul_hi_u32 s15, s6, s9
	s_add_i32 s14, s15, s14
	s_mul_i32 s15, s7, s9
	s_add_i32 s19, s14, s15
	s_sub_i32 s16, s13, s19
	s_mul_i32 s14, s6, s9
	s_sub_u32 s12, s12, s14
	s_cselect_b64 s[14:15], -1, 0
	s_cmp_lg_u64 s[14:15], 0
	s_subb_u32 s20, s16, s7
	s_sub_u32 s21, s12, s6
	s_cselect_b64 s[16:17], -1, 0
	s_cmp_lg_u64 s[16:17], 0
	s_subb_u32 s16, s20, 0
	s_cmp_ge_u32 s16, s7
	s_cselect_b32 s17, -1, 0
	s_cmp_ge_u32 s21, s6
	s_cselect_b32 s20, -1, 0
	s_cmp_eq_u32 s16, s7
	s_cselect_b32 s16, s20, s17
	s_add_u32 s17, s9, 1
	s_addc_u32 s20, s18, 0
	s_add_u32 s21, s9, 2
	s_addc_u32 s22, s18, 0
	s_cmp_lg_u32 s16, 0
	s_cselect_b32 s16, s21, s17
	s_cselect_b32 s17, s22, s20
	s_cmp_lg_u64 s[14:15], 0
	s_subb_u32 s13, s13, s19
	s_cmp_ge_u32 s13, s7
	s_cselect_b32 s14, -1, 0
	s_cmp_ge_u32 s12, s6
	s_cselect_b32 s6, -1, 0
	s_cmp_eq_u32 s13, s7
	s_cselect_b32 s6, s6, s14
	s_cmp_lg_u32 s6, 0
	s_cselect_b32 s7, s17, s18
	s_cselect_b32 s6, s16, s9
	s_xor_b64 s[10:11], s[10:11], 0
	s_xor_b64 s[6:7], s[6:7], s[10:11]
	s_sub_u32 s60, s6, s10
	s_load_dwordx2 s[44:45], s[0:1], 0x5c
	s_cbranch_execnz .LBB29_6
.LBB29_5:
	v_rcp_iflag_f32_e32 v1, v1
	s_sub_i32 s4, 0, s33
	v_mul_f32_e32 v1, 0x4f7ffffe, v1
	v_cvt_u32_f32_e32 v1, v1
	s_nop 0
	v_readfirstlane_b32 s5, v1
	s_mul_i32 s4, s4, s5
	s_mul_hi_u32 s4, s5, s4
	s_add_i32 s5, s5, s4
	s_mul_hi_u32 s4, s8, s5
	s_mul_i32 s6, s4, s33
	s_sub_i32 s6, s8, s6
	s_add_i32 s5, s4, 1
	s_sub_i32 s7, s6, s33
	s_cmp_ge_u32 s6, s33
	s_cselect_b32 s4, s5, s4
	s_cselect_b32 s6, s7, s6
	s_add_i32 s5, s4, 1
	s_cmp_ge_u32 s6, s33
	s_cselect_b32 s60, s5, s4
.LBB29_6:
	s_abs_i32 s85, s84
	v_cvt_f32_u32_e32 v1, s85
	s_load_dwordx16 s[16:31], s[0:1], 0x0
	s_load_dword s6, s[0:1], 0x40
	s_load_dwordx2 s[52:53], s[0:1], 0x8c
	s_load_dwordx4 s[40:43], s[0:1], 0x98
	s_load_dwordx2 s[48:49], s[0:1], 0xa8
	s_load_dwordx2 s[58:59], s[0:1], 0xb8
	;; [unrolled: 1-line block ×3, first 2 shown]
	s_waitcnt lgkmcnt(0)
	s_ashr_i32 s38, s52, 2
	s_sub_i32 s4, 0, s85
	v_rcp_iflag_f32_e32 v1, v1
	s_abs_i32 s1, s56
	s_ashr_i32 s57, s39, 3
	s_ashr_i32 s61, s54, 3
	v_mul_f32_e32 v1, 0x4f7ffffe, v1
	v_cvt_u32_f32_e32 v1, v1
	s_ashr_i32 s46, s59, 1
	s_ashr_i32 s34, s42, 2
	;; [unrolled: 1-line block ×3, first 2 shown]
	v_readfirstlane_b32 s52, v1
	s_mul_i32 s4, s4, s52
	s_mul_hi_u32 s4, s52, s4
	s_add_i32 s52, s52, s4
	s_mul_hi_u32 s4, s1, s52
	s_mul_i32 s4, s4, s85
	s_sub_i32 s1, s1, s4
	s_ashr_i32 s42, s84, 31
	s_sub_i32 s4, s1, s85
	s_cmp_ge_u32 s1, s85
	s_cselect_b32 s1, s4, s1
	s_sub_i32 s4, s1, s85
	s_cmp_ge_u32 s1, s85
	s_cselect_b32 s1, s4, s1
	s_xor_b32 s1, s1, s0
	s_sub_i32 s76, s1, s0
	s_sub_i32 s0, s60, s56
	s_add_i32 s4, s0, s76
	s_min_i32 s97, s84, s4
	s_cmp_gt_i32 s60, s56
	s_cselect_b64 s[10:11], -1, 0
	s_cmp_le_i32 s60, s56
	s_cselect_b64 s[0:1], -1, 0
	s_cmp_gt_i32 s84, s4
	v_cvt_f16_f32_e32 v97, s6
	s_cselect_b64 s[4:5], -1, 0
	s_or_b64 s[0:1], s[4:5], s[0:1]
	v_bfe_u32 v55, v0, 10, 10
	s_mov_b32 s63, 0
	s_and_b64 vcc, exec, s[0:1]
	v_bfe_u32 v79, v0, 10, 3
	v_lshlrev_b32_e32 v59, 3, v55
	v_lshlrev_b32_e32 v57, 4, v55
	v_lshrrev_b32_e32 v99, 10, v0
	v_add_u32_e32 v95, 8, v55
	v_add_u32_e32 v93, 16, v55
	;; [unrolled: 1-line block ×7, first 2 shown]
	v_mbcnt_lo_u32_b32 v75, -1, 0
	s_cbranch_vccnz .LBB29_305
; %bb.7:
	v_bfe_u32 v3, v0, 5, 5
	v_lshl_add_u32 v101, v55, 1, v3
	v_and_b32_e32 v3, 0xff0, v59
	s_movk_i32 s14, 0x190
	v_and_b32_e32 v5, 15, v0
	v_lshrrev_b32_e32 v8, 1, v0
	v_and_b32_e32 v54, 0x3ff, v0
	v_mad_u32_u24 v4, v3, s14, 0
	v_mul_u32_u24_e32 v6, 0x190, v5
	v_and_b32_e32 v8, 0xf8, v8
	v_add3_u32 v105, v4, v6, v8
	v_lshlrev_b32_e32 v6, 1, v54
	v_lshlrev_b32_e32 v2, 2, v54
	v_bfe_u32 v7, v0, 3, 7
	v_and_b32_e32 v56, 62, v6
	v_mul_u32_u24_e32 v4, 0x90, v101
	v_lshlrev_b32_e32 v6, 1, v56
	v_add_u32_e32 v7, v59, v7
	v_and_b32_e32 v58, 28, v2
	v_add3_u32 v142, 0, v4, v6
	v_and_b32_e32 v4, 16, v57
	v_mul_u32_u24_e32 v9, 0x110, v7
	v_lshlrev_b32_e32 v10, 2, v58
	v_mul_u32_u24_e32 v6, 0x110, v5
	v_add3_u32 v143, 0, v9, v10
	v_mul_u32_u24_e32 v9, 0x110, v4
	v_add_u32_e32 v144, 0, v8
	v_add3_u32 v145, v144, v6, v9
	v_bfe_u32 v6, v0, 2, 8
	v_and_b32_e32 v8, 0x7c, v6
	v_and_or_b32 v3, v0, 8, v3
	s_movk_i32 s0, 0x90
	v_add_u32_e32 v9, v8, v4
	v_lshrrev_b32_e32 v3, 3, v3
	v_add_u16_e32 v4, v8, v4
	v_mad_u32_u24 v3, v3, s0, 0
	v_lshrrev_b16_e32 v4, 1, v4
	v_lshl_add_u32 v146, v4, 2, v3
	v_and_b32_e32 v4, 8, v59
	v_or_b32_e32 v6, 3, v6
	s_movk_i32 s0, 0x220
	v_lshl_add_u32 v3, v9, 1, v3
	v_mul_u32_u24_e32 v8, 0x110, v8
	v_mul_u32_u24_e32 v6, 0x110, v6
	v_mad_u32_u24 v4, v4, s0, 0
	v_lshlrev_b32_e32 v9, 1, v5
	v_add3_u32 v147, v4, v8, v9
	v_add3_u32 v148, v4, v6, v9
	v_bfe_u32 v4, v0, 10, 1
	v_cmp_eq_u32_e64 s[0:1], 0, v4
	v_and_b32_e32 v4, 0x400, v0
	v_cmp_ne_u32_e64 s[12:13], 0, v4
	v_bfe_u32 v4, v99, 1, 9
	v_add_u32_e32 v6, 4, v4
	v_lshlrev_b32_e32 v8, 1, v6
	v_and_b32_e32 v9, 15, v6
	s_movk_i32 s15, 0x3e0
	v_and_or_b32 v8, v8, s15, v9
	v_add_u32_e32 v9, 8, v4
	v_lshlrev_b32_e32 v10, 1, v9
	v_and_b32_e32 v11, 15, v9
	v_and_or_b32 v10, v10, s15, v11
	v_add_u32_e32 v11, 12, v4
	v_lshlrev_b32_e32 v12, 1, v11
	v_and_b32_e32 v13, 15, v11
	s_cmp_eq_u64 s[24:25], 0
	v_and_or_b32 v12, v12, s15, v13
	v_add_u32_e32 v13, 20, v4
	s_cselect_b64 s[64:65], -1, 0
	s_cmp_lg_u64 s[26:27], 0
	v_lshlrev_b32_e32 v14, 1, v13
	v_and_b32_e32 v15, 15, v13
	s_cselect_b64 s[66:67], -1, 0
	s_lshl_b32 s62, s2, 6
	v_and_or_b32 v14, v14, s15, v15
	v_add_u32_e32 v15, 24, v4
	s_ashr_i32 s47, s46, 31
	s_ashr_i32 s39, s38, 31
	;; [unrolled: 1-line block ×3, first 2 shown]
	s_lshl_b64 s[4:5], s[62:63], 3
	v_lshlrev_b32_e32 v16, 1, v15
	v_and_b32_e32 v17, 15, v15
	s_add_u32 s10, s30, s4
	v_and_or_b32 v16, v16, s15, v17
	v_add_u32_e32 v17, 28, v4
	s_addc_u32 s11, s31, s5
	v_lshlrev_b32_e32 v18, 1, v17
	v_and_b32_e32 v19, 15, v17
	s_abs_i32 s59, s83
	v_and_or_b32 v18, v18, s15, v19
	v_add_u32_e32 v19, 36, v4
	v_cvt_f32_u32_e32 v30, s59
	v_lshlrev_b32_e32 v20, 1, v19
	v_and_b32_e32 v21, 15, v19
	v_and_or_b32 v20, v20, s15, v21
	v_add_u32_e32 v21, 40, v4
	v_lshlrev_b32_e32 v22, 1, v21
	v_and_b32_e32 v23, 15, v21
	v_and_or_b32 v22, v22, s15, v23
	v_add_u32_e32 v23, 44, v4
	v_rcp_iflag_f32_e32 v30, v30
	v_lshlrev_b32_e32 v24, 1, v23
	v_and_b32_e32 v25, 15, v23
	v_and_or_b32 v24, v24, s15, v25
	v_add_u32_e32 v25, 52, v4
	v_lshlrev_b32_e32 v26, 1, v25
	v_and_b32_e32 v27, 15, v25
	s_abs_i32 s86, s82
	v_and_or_b32 v26, v26, s15, v27
	v_add_u32_e32 v27, 56, v4
	v_cvt_f32_u32_e32 v33, s86
	v_mul_f32_e32 v30, 0x4f7ffffe, v30
	v_lshlrev_b32_e32 v28, 1, v27
	v_and_b32_e32 v29, 15, v27
	v_cvt_u32_f32_e32 v30, v30
	v_and_or_b32 v28, v28, s15, v29
	v_add_u32_e32 v29, 60, v4
	s_abs_i32 s87, s81
	v_lshlrev_b32_e32 v31, 1, v29
	v_and_b32_e32 v32, 15, v29
	v_cvt_f32_u32_e32 v34, s87
	v_and_or_b32 v31, v31, s15, v32
	v_rcp_iflag_f32_e32 v32, v33
	s_sub_i32 s4, 0, s59
	v_mul_lo_u32 v33, s4, v30
	v_mul_hi_u32 v33, v30, v33
	s_abs_i32 s88, s58
	v_add_u32_e32 v149, v30, v33
	v_rcp_iflag_f32_e32 v33, v34
	v_cvt_f32_u32_e32 v34, s88
	v_mul_f32_e32 v32, 0x4f7ffffe, v32
	v_cvt_u32_f32_e32 v32, v32
	s_sub_i32 s4, 0, s86
	v_rcp_iflag_f32_e32 v34, v34
	v_mul_f32_e32 v33, 0x4f7ffffe, v33
	v_mul_lo_u32 v30, s4, v32
	v_add_u32_e32 v153, 0, v2
	v_or_b32_e32 v2, v59, v54
	v_mul_hi_u32 v30, v32, v30
	v_cvt_u32_f32_e32 v33, v33
	v_lshlrev_b32_e32 v60, 3, v2
	v_bfe_u32 v2, v0, 4, 6
	v_add_u32_e32 v150, v32, v30
	v_mul_f32_e32 v32, 0x4f7ffffe, v34
	v_lshl_add_u32 v2, v55, 2, v2
	v_cvt_u32_f32_e32 v32, v32
	v_mul_lo_u32 v62, s38, v2
	v_mul_lo_u32 v66, s38, v7
	v_mul_u32_u24_e32 v7, 0x110, v2
	v_mul_lo_u32 v70, s34, v2
	v_add_u32_e32 v2, v57, v54
	s_sub_i32 s4, 0, s87
	v_mul_u32_u24_e32 v157, 0x110, v2
	v_and_b32_e32 v2, 31, v0
	v_mul_lo_u32 v30, s4, v33
	v_add_u32_e32 v155, 64, v3
	v_add_u32_e32 v156, 0x44, v3
	;; [unrolled: 1-line block ×3, first 2 shown]
	v_mul_hi_u32 v30, v33, v30
	s_sub_i32 s4, 0, s88
	v_mul_u32_u24_e32 v158, 0x110, v3
	v_or_b32_e32 v3, v57, v5
	v_add_u32_e32 v151, v33, v30
	v_mul_lo_u32 v30, s4, v32
	v_mul_u32_u24_e32 v159, 0x110, v3
	v_add_u32_e32 v3, 16, v101
	v_mul_hi_u32 v30, v32, v30
	v_lshlrev_b32_e32 v68, 4, v5
	v_lshrrev_b32_e32 v160, 3, v3
	v_add_u32_e32 v3, 32, v101
	v_add_u32_e32 v152, v32, v30
	v_add3_u32 v154, 0, v7, v68
	v_lshrrev_b32_e32 v161, 3, v3
	v_add_u32_e32 v3, 48, v101
	v_add_u32_e32 v7, 16, v4
	;; [unrolled: 1-line block ×4, first 2 shown]
	v_lshrrev_b32_e32 v162, 3, v3
	s_movk_i32 s68, 0x1e0
	v_bfe_u32 v3, v55, 1, 4
	v_lshlrev_b32_e32 v30, 1, v7
	v_lshlrev_b32_e32 v33, 1, v32
	;; [unrolled: 1-line block ×3, first 2 shown]
	v_and_or_b32 v30, v30, s15, v3
	v_and_or_b32 v33, v33, s15, v3
	;; [unrolled: 1-line block ×4, first 2 shown]
	v_and_b32_e32 v186, 7, v101
	v_mov_b32_e32 v61, 0
	v_mul_u32_u24_e32 v163, 0x110, v3
	v_mul_lo_u32 v3, v186, s61
	v_and_b32_e32 v78, 7, v0
	v_ashrrev_i32_e32 v67, 31, v66
	v_add3_u32 v74, v3, v2, 64
	v_lshlrev_b32_e32 v2, 2, v2
	v_mov_b32_e32 v3, v61
	v_lshl_add_u64 v[80:81], s[10:11], 0, v[60:61]
	v_lshlrev_b32_e32 v60, 4, v78
	v_lshl_add_u32 v64, s38, 5, v62
	v_lshl_add_u32 v72, s34, 5, v70
	v_add_u32_e32 v187, 0, v2
	v_lshl_add_u64 v[76:77], s[22:23], 0, v[2:3]
	v_lshl_add_u64 v[2:3], v[66:67], 2, v[60:61]
	s_mov_b32 s62, 0x10001
	v_ashrrev_i32_e32 v63, 31, v62
	v_ashrrev_i32_e32 v65, 31, v64
	v_ashrrev_i32_e32 v71, 31, v70
	v_ashrrev_i32_e32 v73, 31, v72
	s_lshl_b64 s[68:69], s[46:47], 1
	v_lshl_add_u64 v[2:3], s[18:19], 0, v[2:3]
	s_mov_b64 s[10:11], 0x100
	v_mad_u32_u24 v201, v101, s14, v187
	s_mul_i32 s89, s36, s37
	v_cmp_gt_u32_e64 s[4:5], 8, v101
	v_cmp_gt_u32_e64 s[6:7], 16, v54
	;; [unrolled: 1-line block ×3, first 2 shown]
	v_mul_u32_u24_e32 v164, 0x110, v8
	v_lshrrev_b32_e32 v165, 3, v9
	v_mul_u32_u24_e32 v166, 0x110, v10
	v_mul_u32_u24_e32 v167, 0x110, v12
	v_lshrrev_b32_e32 v168, 3, v7
	v_mul_u32_u24_e32 v169, 0x110, v30
	;; [unrolled: 3-line block ×7, first 2 shown]
	v_mul_u32_u24_e32 v185, 0x110, v31
	s_ashr_i32 s90, s83, 31
	s_ashr_i32 s91, s82, 31
	s_ashr_i32 s92, s81, 31
	v_mov_b32_e32 v69, v61
	s_lshl_b64 s[70:71], s[34:35], 8
	v_lshl_add_u64 v[82:83], v[2:3], 0, s[10:11]
	s_lshl_b64 s[72:73], s[38:39], 8
	s_mov_b32 s47, 0x3fb8aa3b
	s_mov_b32 s69, 0xc2ce8ed0
	;; [unrolled: 1-line block ×5, first 2 shown]
	s_movk_i32 s96, 0x47
	s_mov_b64 s[74:75], 0x80
	v_mul_lo_u32 v188, v97, s62
	v_lshlrev_b32_e32 v84, 2, v5
	v_add_u32_e32 v189, 0x2200, v154
	v_bfe_u32 v190, v99, 3, 7
	v_mul_u32_u24_e32 v191, 0x190, v55
	v_lshrrev_b32_e32 v192, 3, v95
	v_lshrrev_b32_e32 v193, 3, v93
	;; [unrolled: 1-line block ×8, first 2 shown]
	v_mul_u32_u24_e32 v200, 0x190, v101
	v_add_u32_e32 v202, 0x1900, v201
	v_add_u32_e32 v203, 0x3200, v201
	;; [unrolled: 1-line block ×3, first 2 shown]
	v_bfe_u32 v205, v99, 4, 6
	v_lshrrev_b32_e32 v206, 3, v6
	v_and_b32_e32 v86, 7, v6
	v_lshrrev_b32_e32 v207, 3, v11
	v_and_b32_e32 v88, 7, v11
	v_lshrrev_b32_e32 v208, 3, v13
	v_and_b32_e32 v90, 7, v13
	v_lshrrev_b32_e32 v209, 3, v17
	v_and_b32_e32 v92, 7, v17
	v_lshrrev_b32_e32 v210, 3, v19
	v_and_b32_e32 v94, 7, v19
	v_lshrrev_b32_e32 v211, 3, v23
	v_and_b32_e32 v96, 7, v23
	v_lshrrev_b32_e32 v212, 3, v25
	v_and_b32_e32 v98, 7, v25
	v_lshrrev_b32_e32 v213, 3, v29
	v_and_b32_e32 v100, 7, v29
	v_mbcnt_hi_u32_b32 v214, -1, v75
	v_mov_b32_e32 v215, 0x7f800000
	v_mad_u64_u32 v[102:103], s[10:11], v79, s61, v[54:55]
	v_bfe_u32 v104, v55, 1, 3
	v_lshl_add_u64 v[106:107], v[70:71], 2, s[20:21]
	v_lshl_add_u64 v[108:109], v[72:73], 2, s[20:21]
	;; [unrolled: 1-line block ×4, first 2 shown]
	s_branch .LBB29_10
.LBB29_8:                               ;   in Loop: Header=BB29_10 Depth=1
	s_or_b64 exec, exec, s[76:77]
	s_barrier
.LBB29_9:                               ;   in Loop: Header=BB29_10 Depth=1
	s_add_i32 s10, s56, s84
	s_abs_i32 s14, s10
	s_mul_hi_u32 s15, s14, s52
	s_mul_i32 s15, s15, s85
	s_sub_i32 s14, s14, s15
	s_ashr_i32 s11, s10, 31
	s_sub_i32 s15, s14, s85
	s_cmp_ge_u32 s14, s85
	s_cselect_b32 s14, s15, s14
	s_sub_i32 s15, s14, s85
	s_cmp_ge_u32 s14, s85
	s_cselect_b32 s14, s15, s14
	s_xor_b32 s14, s14, s11
	s_sub_i32 s11, s11, s14
	s_add_i32 s56, s10, s11
	s_sub_i32 s14, s60, s56
	s_min_i32 s97, s84, s14
	s_cmp_gt_i32 s60, s56
	s_cselect_b64 s[10:11], -1, 0
	s_cmp_le_i32 s84, s14
	s_cselect_b64 s[14:15], -1, 0
	s_and_b64 s[14:15], s[14:15], s[10:11]
	s_mov_b32 s76, 0
	s_and_b64 vcc, exec, s[14:15]
	s_cbranch_vccz .LBB29_305
.LBB29_10:                              ; =>This Loop Header: Depth=1
                                        ;     Child Loop BB29_212 Depth 2
                                        ;     Child Loop BB29_64 Depth 2
	s_abs_i32 s11, s56
	v_mul_hi_u32 v2, s11, v149
	v_mul_lo_u32 v3, v2, s59
	v_sub_u32_e32 v3, s11, v3
	v_add_u32_e32 v4, 1, v2
	v_subrev_u32_e32 v5, s59, v3
	v_cmp_le_u32_e32 vcc, s59, v3
	s_ashr_i32 s10, s56, 31
	s_xor_b32 s10, s10, s90
	v_cndmask_b32_e32 v2, v2, v4, vcc
	v_cndmask_b32_e32 v3, v3, v5, vcc
	v_add_u32_e32 v4, 1, v2
	v_cmp_le_u32_e32 vcc, s59, v3
	s_nop 1
	v_cndmask_b32_e32 v2, v2, v4, vcc
	v_xor_b32_e32 v2, s10, v2
	v_subrev_u32_e32 v2, s10, v2
	v_mul_lo_u32 v3, v2, s83
	v_sub_u32_e32 v4, s56, v3
	v_sub_u32_e32 v5, 0, v4
	v_max_i32_e32 v5, v4, v5
	v_mul_hi_u32 v6, v5, v150
	v_mul_lo_u32 v7, v6, s86
	v_sub_u32_e32 v5, v5, v7
	v_add_u32_e32 v7, 1, v6
	v_subrev_u32_e32 v8, s86, v5
	v_cmp_le_u32_e32 vcc, s86, v5
	v_ashrrev_i32_e32 v3, 31, v4
	v_xor_b32_e32 v3, s91, v3
	v_cndmask_b32_e32 v6, v6, v7, vcc
	v_cndmask_b32_e32 v5, v5, v8, vcc
	v_add_u32_e32 v7, 1, v6
	v_cmp_le_u32_e32 vcc, s86, v5
	s_nop 1
	v_cndmask_b32_e32 v5, v6, v7, vcc
	v_xor_b32_e32 v5, v5, v3
	v_sub_u32_e32 v3, v5, v3
	v_mul_lo_u32 v5, v3, s82
	v_sub_u32_e32 v4, v4, v5
	v_sub_u32_e32 v6, 0, v4
	v_max_i32_e32 v6, v4, v6
	v_mul_hi_u32 v7, v6, v151
	v_mul_lo_u32 v8, v7, s87
	v_sub_u32_e32 v6, v6, v8
	v_add_u32_e32 v8, 1, v7
	v_subrev_u32_e32 v9, s87, v6
	v_cmp_le_u32_e32 vcc, s87, v6
	v_ashrrev_i32_e32 v5, 31, v4
	v_xor_b32_e32 v5, s92, v5
	v_cndmask_b32_e32 v7, v7, v8, vcc
	v_cndmask_b32_e32 v6, v6, v9, vcc
	v_add_u32_e32 v8, 1, v7
	v_cmp_le_u32_e32 vcc, s87, v6
	s_nop 1
	v_cndmask_b32_e32 v6, v7, v8, vcc
	v_xor_b32_e32 v6, v6, v5
	v_sub_u32_e32 v5, v6, v5
	v_mul_lo_u32 v6, v5, s81
	v_sub_u32_e32 v4, v4, v6
	v_sub_u32_e32 v7, 0, v4
	v_ashrrev_i32_e32 v6, 31, v4
	v_max_i32_e32 v4, v4, v7
	v_mul_hi_u32 v7, v4, s52
	v_mul_lo_u32 v8, v7, s85
	v_sub_u32_e32 v4, v4, v8
	v_add_u32_e32 v8, 1, v7
	v_subrev_u32_e32 v9, s85, v4
	v_cmp_le_u32_e32 vcc, s85, v4
	v_xor_b32_e32 v6, s42, v6
	s_nop 0
	v_cndmask_b32_e32 v7, v7, v8, vcc
	v_cndmask_b32_e32 v4, v4, v9, vcc
	v_add_u32_e32 v8, 1, v7
	v_cmp_le_u32_e32 vcc, s85, v4
	s_nop 1
	v_cndmask_b32_e32 v4, v7, v8, vcc
	v_xor_b32_e32 v4, v4, v6
	s_andn2_b64 vcc, exec, s[66:67]
	v_sub_u32_e32 v4, v4, v6
	s_cbranch_vccnz .LBB29_12
; %bb.11:                               ;   in Loop: Header=BB29_10 Depth=1
	v_mul_lo_u32 v6, v2, s80
	v_add_u32_e32 v6, v4, v6
	v_ashrrev_i32_e32 v7, 31, v6
	v_lshlrev_b64 v[6:7], 2, v[6:7]
	v_lshl_add_u64 v[6:7], s[26:27], 0, v[6:7]
	global_load_dword v6, v[6:7], off
	s_waitcnt vmcnt(0)
	v_readfirstlane_b32 s10, v6
	s_ashr_i32 s11, s10, 31
	s_lshr_b32 s11, s11, 26
	s_add_i32 s10, s10, s11
	s_ashr_i32 s10, s10, 6
	s_min_i32 s97, s97, s10
.LBB29_12:                              ;   in Loop: Header=BB29_10 Depth=1
	v_mul_lo_u32 v6, v3, s3
	v_lshlrev_b32_e32 v103, 3, v5
	v_add_u32_e32 v6, v103, v6
	v_mul_lo_u32 v8, v2, s55
	v_ashrrev_i32_e32 v9, 31, v8
	v_mul_lo_u32 v10, v6, s54
	v_lshl_add_u64 v[8:9], s[16:17], 0, v[8:9]
	v_ashrrev_i32_e32 v11, 31, v10
	v_ashrrev_i32_e32 v5, 31, v2
	v_lshl_add_u64 v[130:131], v[8:9], 0, v[10:11]
	v_mul_hi_u32 v7, s40, v2
	v_mul_lo_u32 v8, s40, v5
	v_add_u32_e32 v7, v7, v8
	v_mul_lo_u32 v8, s41, v2
	v_add_u32_e32 v125, v7, v8
	v_mul_lo_u32 v124, s40, v2
	v_mul_lo_u32 v126, v3, s53
	v_sub_u32_e32 v7, 0, v2
	v_lshl_add_u64 v[8:9], s[18:19], 0, v[124:125]
	v_ashrrev_i32_e32 v127, 31, v126
	v_max_i32_e32 v7, v2, v7
	v_lshl_add_u64 v[120:121], v[8:9], 0, v[126:127]
	v_mul_hi_u32 v8, v7, v152
	v_mul_lo_u32 v8, v8, s88
	v_sub_u32_e32 v7, v7, v8
	v_subrev_u32_e32 v8, s88, v7
	v_cmp_le_u32_e32 vcc, s88, v7
	v_mul_lo_u32 v132, s48, v2
	v_mul_lo_u32 v134, v3, s43
	v_cndmask_b32_e32 v7, v7, v8, vcc
	v_subrev_u32_e32 v8, s88, v7
	v_cmp_le_u32_e32 vcc, s88, v7
	v_ashrrev_i32_e32 v135, 31, v134
	v_lshlrev_b32_e32 v216, 3, v4
	v_cndmask_b32_e32 v7, v7, v8, vcc
	v_xor_b32_e32 v7, v7, v5
	v_sub_u32_e32 v7, v7, v5
	v_ashrrev_i32_e32 v8, 31, v7
	v_mul_lo_u32 v8, s50, v8
	v_mul_hi_u32 v9, s50, v7
	v_add_u32_e32 v8, v9, v8
	v_mul_lo_u32 v9, s51, v7
	v_mul_lo_u32 v128, s50, v7
	;; [unrolled: 1-line block ×3, first 2 shown]
	v_add_u32_e32 v7, v6, v7
	v_lshlrev_b32_e32 v60, 6, v7
	v_mul_hi_u32 v7, s48, v2
	v_mul_lo_u32 v5, s48, v5
	v_add_u32_e32 v5, v7, v5
	v_mul_lo_u32 v7, s49, v2
	v_add_u32_e32 v133, v5, v7
	v_ashrrev_i32_e32 v7, 31, v6
	v_add_u32_e32 v129, v8, v9
	v_lshlrev_b64 v[8:9], 3, v[60:61]
	v_lshlrev_b64 v[2:3], 2, v[6:7]
	v_lshl_add_u64 v[114:115], s[28:29], 0, v[8:9]
	v_lshl_add_u64 v[8:9], s[20:21], 0, v[132:133]
	;; [unrolled: 1-line block ×5, first 2 shown]
	v_cndmask_b32_e64 v117, v3, 0, s[64:65]
	v_cndmask_b32_e64 v116, v2, 0, s[64:65]
	s_cmp_lg_u32 s76, 0
	v_add_u32_e32 v217, v190, v216
	v_or_b32_e32 v218, v79, v103
	s_cbranch_scc0 .LBB29_66
; %bb.13:                               ;   in Loop: Header=BB29_10 Depth=1
	v_cmp_le_i32_e64 s[10:11], s36, v217
	v_cmp_le_i32_e64 s[14:15], s3, v218
	v_cmp_gt_i32_e32 vcc, s3, v218
	s_or_b64 s[10:11], s[10:11], s[14:15]
	s_and_saveexec_b64 s[14:15], s[10:11]
	s_xor_b64 s[10:11], exec, s[14:15]
; %bb.14:                               ;   in Loop: Header=BB29_10 Depth=1
	v_add_u32_e32 v2, v153, v191
	ds_write_b32 v2, v61
; %bb.15:                               ;   in Loop: Header=BB29_10 Depth=1
	s_andn2_saveexec_b64 s[10:11], s[10:11]
	s_cbranch_execz .LBB29_17
; %bb.16:                               ;   in Loop: Header=BB29_10 Depth=1
	v_mad_u64_u32 v[2:3], s[14:15], v217, s57, v[102:103]
	v_ashrrev_i32_e32 v3, 31, v2
	v_lshl_add_u64 v[2:3], v[2:3], 3, v[130:131]
	global_load_dwordx2 v[2:3], v[2:3], off
	s_waitcnt vmcnt(0)
	v_cvt_pk_f16_f32 v2, v2, v3
	v_pk_mul_f16 v2, v2, v188
	v_add_u32_e32 v3, v153, v191
	ds_write_b32 v3, v2
.LBB29_17:                              ;   in Loop: Header=BB29_10 Depth=1
	s_or_b64 exec, exec, s[10:11]
	v_add_u32_e32 v2, v192, v216
	v_cmp_le_i32_e64 s[10:11], s36, v2
	s_xor_b64 s[14:15], vcc, -1
	s_or_b64 s[10:11], s[10:11], s[14:15]
	s_and_saveexec_b64 s[78:79], s[10:11]
	s_xor_b64 s[10:11], exec, s[78:79]
; %bb.18:                               ;   in Loop: Header=BB29_10 Depth=1
	v_add_u32_e32 v2, v153, v191
	ds_write_b32 v2, v61 offset:3200
                                        ; implicit-def: $vgpr2
; %bb.19:                               ;   in Loop: Header=BB29_10 Depth=1
	s_andn2_saveexec_b64 s[10:11], s[10:11]
	s_cbranch_execz .LBB29_21
; %bb.20:                               ;   in Loop: Header=BB29_10 Depth=1
	v_mad_u64_u32 v[2:3], s[78:79], v2, s57, v[102:103]
	v_ashrrev_i32_e32 v3, 31, v2
	v_lshl_add_u64 v[2:3], v[2:3], 3, v[130:131]
	global_load_dwordx2 v[2:3], v[2:3], off
	s_waitcnt vmcnt(0)
	v_cvt_pk_f16_f32 v2, v2, v3
	v_pk_mul_f16 v2, v2, v188
	v_add_u32_e32 v3, v153, v191
	ds_write_b32 v3, v2 offset:3200
.LBB29_21:                              ;   in Loop: Header=BB29_10 Depth=1
	s_or_b64 exec, exec, s[10:11]
	v_add_u32_e32 v2, v193, v216
	v_cmp_le_i32_e32 vcc, s36, v2
	s_or_b64 s[10:11], vcc, s[14:15]
	s_and_saveexec_b64 s[78:79], s[10:11]
	s_xor_b64 s[10:11], exec, s[78:79]
; %bb.22:                               ;   in Loop: Header=BB29_10 Depth=1
	v_add_u32_e32 v2, v153, v191
	ds_write_b32 v2, v61 offset:6400
                                        ; implicit-def: $vgpr2
; %bb.23:                               ;   in Loop: Header=BB29_10 Depth=1
	s_andn2_saveexec_b64 s[10:11], s[10:11]
	s_cbranch_execz .LBB29_25
; %bb.24:                               ;   in Loop: Header=BB29_10 Depth=1
	v_mad_u64_u32 v[2:3], s[78:79], v2, s57, v[102:103]
	v_ashrrev_i32_e32 v3, 31, v2
	v_lshl_add_u64 v[2:3], v[2:3], 3, v[130:131]
	global_load_dwordx2 v[2:3], v[2:3], off
	s_waitcnt vmcnt(0)
	v_cvt_pk_f16_f32 v2, v2, v3
	v_pk_mul_f16 v2, v2, v188
	v_add_u32_e32 v3, v153, v191
	ds_write_b32 v3, v2 offset:6400
.LBB29_25:                              ;   in Loop: Header=BB29_10 Depth=1
	s_or_b64 exec, exec, s[10:11]
	v_add_u32_e32 v2, v194, v216
	v_cmp_le_i32_e32 vcc, s36, v2
	s_or_b64 s[10:11], vcc, s[14:15]
	;; [unrolled: 24-line block ×6, first 2 shown]
	s_and_saveexec_b64 s[14:15], s[10:11]
	s_xor_b64 s[10:11], exec, s[14:15]
; %bb.42:                               ;   in Loop: Header=BB29_10 Depth=1
	v_add_u32_e32 v2, v153, v191
	ds_write_b32 v2, v61 offset:22400
                                        ; implicit-def: $vgpr2
; %bb.43:                               ;   in Loop: Header=BB29_10 Depth=1
	s_andn2_saveexec_b64 s[10:11], s[10:11]
	s_cbranch_execz .LBB29_45
; %bb.44:                               ;   in Loop: Header=BB29_10 Depth=1
	v_mad_u64_u32 v[2:3], s[14:15], v2, s57, v[102:103]
	v_ashrrev_i32_e32 v3, 31, v2
	v_lshl_add_u64 v[2:3], v[2:3], 3, v[130:131]
	global_load_dwordx2 v[2:3], v[2:3], off
	s_waitcnt vmcnt(0)
	v_cvt_pk_f16_f32 v2, v2, v3
	v_pk_mul_f16 v2, v2, v188
	v_add_u32_e32 v3, v153, v191
	ds_write_b32 v3, v2 offset:22400
.LBB29_45:                              ;   in Loop: Header=BB29_10 Depth=1
	s_or_b64 exec, exec, s[10:11]
	v_add_u32_e32 v2, v199, v216
	v_or_b32_e32 v3, v186, v103
	v_cmp_le_i32_e64 s[10:11], s36, v2
	v_cmp_le_i32_e64 s[14:15], s3, v3
	v_cmp_gt_i32_e32 vcc, s3, v3
	s_or_b64 s[10:11], s[10:11], s[14:15]
	s_and_saveexec_b64 s[14:15], s[10:11]
	s_xor_b64 s[10:11], exec, s[14:15]
; %bb.46:                               ;   in Loop: Header=BB29_10 Depth=1
	ds_write_b32 v201, v61 offset:256
                                        ; implicit-def: $vgpr2
; %bb.47:                               ;   in Loop: Header=BB29_10 Depth=1
	s_andn2_saveexec_b64 s[10:11], s[10:11]
	s_cbranch_execz .LBB29_49
; %bb.48:                               ;   in Loop: Header=BB29_10 Depth=1
	v_mad_u64_u32 v[2:3], s[14:15], v2, s57, v[74:75]
	v_ashrrev_i32_e32 v3, 31, v2
	v_lshl_add_u64 v[2:3], v[2:3], 3, v[130:131]
	global_load_dwordx2 v[2:3], v[2:3], off
	s_waitcnt vmcnt(0)
	v_cvt_pk_f16_f32 v2, v2, v3
	v_pk_mul_f16 v2, v2, v188
	v_add_u32_e32 v3, v187, v200
	ds_write_b32 v3, v2 offset:256
.LBB29_49:                              ;   in Loop: Header=BB29_10 Depth=1
	s_or_b64 exec, exec, s[10:11]
	v_add_u32_e32 v2, v160, v216
	v_cmp_le_i32_e64 s[10:11], s36, v2
	s_xor_b64 s[14:15], vcc, -1
	s_or_b64 s[10:11], s[10:11], s[14:15]
	s_and_saveexec_b64 s[78:79], s[10:11]
	s_xor_b64 s[10:11], exec, s[78:79]
; %bb.50:                               ;   in Loop: Header=BB29_10 Depth=1
	ds_write_b32 v202, v61 offset:256
                                        ; implicit-def: $vgpr2
; %bb.51:                               ;   in Loop: Header=BB29_10 Depth=1
	s_andn2_saveexec_b64 s[10:11], s[10:11]
	s_cbranch_execz .LBB29_53
; %bb.52:                               ;   in Loop: Header=BB29_10 Depth=1
	v_mad_u64_u32 v[2:3], s[78:79], v2, s57, v[74:75]
	v_ashrrev_i32_e32 v3, 31, v2
	v_lshl_add_u64 v[2:3], v[2:3], 3, v[130:131]
	global_load_dwordx2 v[2:3], v[2:3], off
	s_waitcnt vmcnt(0)
	v_cvt_pk_f16_f32 v2, v2, v3
	v_pk_mul_f16 v2, v2, v188
	v_add_u32_e32 v3, v187, v200
	ds_write_b32 v3, v2 offset:6656
.LBB29_53:                              ;   in Loop: Header=BB29_10 Depth=1
	s_or_b64 exec, exec, s[10:11]
	v_add_u32_e32 v2, v161, v216
	v_cmp_le_i32_e32 vcc, s36, v2
	s_or_b64 s[10:11], vcc, s[14:15]
	s_and_saveexec_b64 s[78:79], s[10:11]
	s_xor_b64 s[10:11], exec, s[78:79]
; %bb.54:                               ;   in Loop: Header=BB29_10 Depth=1
	ds_write_b32 v203, v61 offset:256
                                        ; implicit-def: $vgpr2
; %bb.55:                               ;   in Loop: Header=BB29_10 Depth=1
	s_andn2_saveexec_b64 s[10:11], s[10:11]
	s_cbranch_execz .LBB29_57
; %bb.56:                               ;   in Loop: Header=BB29_10 Depth=1
	v_mad_u64_u32 v[2:3], s[78:79], v2, s57, v[74:75]
	v_ashrrev_i32_e32 v3, 31, v2
	v_lshl_add_u64 v[2:3], v[2:3], 3, v[130:131]
	global_load_dwordx2 v[2:3], v[2:3], off
	s_waitcnt vmcnt(0)
	v_cvt_pk_f16_f32 v2, v2, v3
	v_pk_mul_f16 v2, v2, v188
	v_add_u32_e32 v3, v187, v200
	ds_write_b32 v3, v2 offset:13056
.LBB29_57:                              ;   in Loop: Header=BB29_10 Depth=1
	s_or_b64 exec, exec, s[10:11]
	v_add_u32_e32 v2, v162, v216
	v_cmp_le_i32_e32 vcc, s36, v2
	s_or_b64 s[10:11], vcc, s[14:15]
	s_and_saveexec_b64 s[14:15], s[10:11]
	s_xor_b64 s[10:11], exec, s[14:15]
; %bb.58:                               ;   in Loop: Header=BB29_10 Depth=1
	ds_write_b32 v204, v61 offset:256
                                        ; implicit-def: $vgpr2
; %bb.59:                               ;   in Loop: Header=BB29_10 Depth=1
	s_andn2_saveexec_b64 s[10:11], s[10:11]
	s_cbranch_execz .LBB29_61
; %bb.60:                               ;   in Loop: Header=BB29_10 Depth=1
	v_mad_u64_u32 v[2:3], s[14:15], v2, s57, v[74:75]
	v_ashrrev_i32_e32 v3, 31, v2
	v_lshl_add_u64 v[2:3], v[2:3], 3, v[130:131]
	global_load_dwordx2 v[2:3], v[2:3], off
	s_waitcnt vmcnt(0)
	v_cvt_pk_f16_f32 v2, v2, v3
	v_pk_mul_f16 v2, v2, v188
	v_add_u32_e32 v3, v187, v200
	ds_write_b32 v3, v2 offset:19456
.LBB29_61:                              ;   in Loop: Header=BB29_10 Depth=1
	s_or_b64 exec, exec, s[10:11]
	s_waitcnt lgkmcnt(0)
	s_barrier
	ds_read2_b64 v[14:17], v105 offset1:4
	ds_read2_b64 v[10:13], v105 offset0:8 offset1:12
	ds_read2_b64 v[6:9], v105 offset0:16 offset1:20
	;; [unrolled: 1-line block ×5, first 2 shown]
	s_add_i32 s62, s97, -1
	s_cmp_ge_i32 s76, s62
	s_waitcnt lgkmcnt(0)
	s_barrier
	s_cbranch_scc1 .LBB29_67
; %bb.62:                               ;   in Loop: Header=BB29_10 Depth=1
	v_add_u32_e32 v26, v216, v101
	v_mul_hi_u32 v27, s44, v26
	v_add_u32_e32 v27, v26, v27
	v_lshrrev_b32_e32 v27, s45, v27
	v_mul_lo_u32 v27, v27, s36
	v_sub_u32_e32 v26, v26, v27
	v_mad_i64_i32 v[26:27], s[10:11], v26, s46, 0
	v_lshl_add_u64 v[26:27], v[26:27], 1, v[122:123]
	v_lshlrev_b32_e32 v60, 1, v56
	v_lshl_add_u64 v[136:137], v[26:27], 0, v[60:61]
	v_and_b32_e32 v26, 64, v214
	v_add_u32_e32 v26, 64, v26
	v_xor_b32_e32 v27, 32, v214
	v_cmp_lt_i32_e32 vcc, v27, v26
	s_lshl_b32 s10, s76, 6
	v_mov_b32_e32 v139, 0
	v_cndmask_b32_e32 v27, v214, v27, vcc
	v_lshlrev_b32_e32 v221, 2, v27
	v_xor_b32_e32 v27, 16, v214
	v_cmp_lt_i32_e32 vcc, v27, v26
	v_mov_b32_e32 v29, 0xfeffffff
	v_mov_b32_e32 v28, 0
	v_cndmask_b32_e32 v26, v214, v27, vcc
	v_lshlrev_b32_e32 v222, 2, v26
	v_mov_b32_e32 v138, 0
	v_mov_b32_e32 v51, 0
	;; [unrolled: 1-line block ×15, first 2 shown]
	s_ashr_i32 s11, s10, 31
	s_and_saveexec_b64 s[14:15], s[4:5]
	s_cbranch_execz .LBB29_64
.LBB29_63:                              ;   in Loop: Header=BB29_10 Depth=1
	v_lshl_add_u64 v[32:33], s[10:11], 1, v[136:137]
	global_load_dword v30, v[32:33], off
	s_waitcnt vmcnt(0)
	ds_write_b32 v142, v30 offset:17408
.LBB29_64:                              ;   Parent Loop BB29_10 Depth=1
                                        ; =>  This Inner Loop Header: Depth=2
	s_or_b64 exec, exec, s[14:15]
	s_mul_hi_i32 s15, s10, s38
	s_mul_i32 s14, s10, s38
	s_lshl_b64 s[14:15], s[14:15], 2
	v_lshl_add_u64 v[32:33], v[120:121], 0, s[14:15]
	v_lshl_add_u64 v[36:37], v[66:67], 2, v[32:33]
	v_lshlrev_b32_e32 v60, 2, v58
	v_lshl_add_u64 v[36:37], v[36:37], 0, v[60:61]
	global_load_dwordx4 v[224:227], v[36:37], off offset:256
	v_add_u32_e32 v30, 0x2000, v145
	v_lshl_add_u64 v[36:37], v[62:63], 2, v[32:33]
	v_lshlrev_b32_e32 v60, 2, v84
	v_lshl_add_u64 v[36:37], v[36:37], 0, v[60:61]
	v_lshl_add_u64 v[32:33], v[64:65], 2, v[32:33]
	v_lshl_add_u64 v[32:33], v[32:33], 0, v[60:61]
	s_mul_hi_i32 s15, s10, s34
	s_mul_i32 s14, s10, s34
	s_lshl_b64 s[14:15], s[14:15], 2
	s_add_i32 s76, s76, 1
	s_add_i32 s10, s10, 64
	s_cmp_lt_i32 s76, s62
	s_waitcnt vmcnt(0)
	ds_write_b128 v143, v[224:227]
	s_waitcnt lgkmcnt(0)
	s_barrier
	ds_read2_b64 v[224:227], v145 offset1:4
	s_waitcnt lgkmcnt(0)
	v_mfma_f32_16x16x16_f16 v[228:231], v[224:225], v[22:23], 0
	v_mfma_f32_16x16x16_f16 v[224:227], v[226:227], v[24:25], v[228:231]
	s_nop 6
	ds_read2_b64 v[228:231], v145 offset0:8 offset1:12
	s_waitcnt lgkmcnt(0)
	v_mfma_f32_16x16x16_f16 v[224:227], v[228:229], v[18:19], v[224:227]
	v_mfma_f32_16x16x16_f16 v[224:227], v[230:231], v[20:21], v[224:227]
	ds_read2_b64 v[228:231], v30 offset0:64 offset1:68
	s_waitcnt lgkmcnt(0)
	v_mfma_f32_16x16x16_f16 v[232:235], v[228:229], v[22:23], 0
	v_mfma_f32_16x16x16_f16 v[228:231], v[230:231], v[24:25], v[232:235]
	s_nop 6
	ds_read2_b64 v[232:235], v30 offset0:72 offset1:76
	s_waitcnt lgkmcnt(0)
	v_mfma_f32_16x16x16_f16 v[228:231], v[232:233], v[18:19], v[228:231]
	s_barrier
	v_mfma_f32_16x16x16_f16 v[228:231], v[234:235], v[20:21], v[228:231]
	global_load_dwordx4 v[232:235], v[36:37], off
	s_waitcnt vmcnt(0)
	ds_write_b128 v154, v[232:235]
	global_load_dwordx4 v[232:235], v[32:33], off
	s_waitcnt vmcnt(0)
	ds_write_b128 v189, v[232:235]
	s_waitcnt lgkmcnt(0)
	s_barrier
	ds_read2_b64 v[232:235], v145 offset1:4
	s_waitcnt lgkmcnt(0)
	v_mfma_f32_16x16x16_f16 v[224:227], v[232:233], v[14:15], v[224:227]
	v_mfma_f32_16x16x16_f16 v[224:227], v[234:235], v[16:17], v[224:227]
	ds_read2_b64 v[232:235], v145 offset0:8 offset1:12
	s_waitcnt lgkmcnt(0)
	v_mfma_f32_16x16x16_f16 v[224:227], v[232:233], v[10:11], v[224:227]
	v_mfma_f32_16x16x16_f16 v[224:227], v[234:235], v[12:13], v[224:227]
	ds_read2_b64 v[232:235], v145 offset0:16 offset1:20
	;; [unrolled: 4-line block ×7, first 2 shown]
	v_add_u32_e32 v30, 0x4400, v146
	s_waitcnt lgkmcnt(0)
	s_barrier
	ds_read2_b32 v[32:33], v30 offset1:1
	v_mfma_f32_16x16x16_f16 v[228:231], v[232:233], v[2:3], v[228:231]
	s_waitcnt lgkmcnt(0)
	v_cvt_f32_f16_e32 v36, v33
	v_cvt_f32_f16_sdwa v33, v33 dst_sel:DWORD dst_unused:UNUSED_PAD src0_sel:WORD_1
	v_cvt_f32_f16_e32 v30, v32
	v_mfma_f32_16x16x16_f16 v[228:231], v[234:235], v[4:5], v[228:231]
	v_cvt_f32_f16_sdwa v32, v32 dst_sel:DWORD dst_unused:UNUSED_PAD src0_sel:WORD_1
	v_add_f32_e32 v37, v227, v33
	ds_read_b32 v33, v155 offset:17408
	v_add_f32_e32 v30, v224, v30
	v_add_f32_e32 v32, v225, v32
	;; [unrolled: 1-line block ×4, first 2 shown]
	s_waitcnt lgkmcnt(0)
	v_cvt_f32_f16_e32 v40, v33
	v_cvt_f32_f16_sdwa v33, v33 dst_sel:DWORD dst_unused:UNUSED_PAD src0_sel:WORD_1
	v_add_f32_e32 v41, v228, v40
	v_add_f32_e32 v44, v229, v33
	ds_read_b32 v33, v156 offset:17408
	s_waitcnt lgkmcnt(0)
	v_cvt_f32_f16_e32 v40, v33
	v_cvt_f32_f16_sdwa v33, v33 dst_sel:DWORD dst_unused:UNUSED_PAD src0_sel:WORD_1
	v_add_f32_e32 v45, v230, v40
	v_add_f32_e32 v48, v231, v33
	;; [unrolled: 1-line block ×4, first 2 shown]
	v_max3_f32 v33, v29, v33, v40
	v_add_f32_e32 v40, 0x40051340, v36
	v_max3_f32 v33, v33, v40, v49
	v_add_f32_e32 v40, 0x40051340, v41
	v_add_f32_e32 v49, 0x40051340, v44
	v_max3_f32 v33, v33, v40, v49
	v_add_f32_e32 v40, 0x40051340, v45
	v_add_f32_e32 v49, 0x40051340, v48
	v_max3_f32 v33, v33, v40, v49
	ds_bpermute_b32 v40, v221, v33
	s_waitcnt lgkmcnt(0)
	v_max_f32_e32 v40, v40, v40
	v_max_f32_e32 v33, v33, v40
	ds_bpermute_b32 v40, v222, v33
	s_waitcnt lgkmcnt(0)
	v_max_f32_e32 v40, v40, v40
	v_max_f32_e32 v220, v33, v40
	v_sub_f32_e32 v30, v30, v220
	v_mul_f32_e32 v33, 0x3fb8aa3b, v30
	v_fma_f32 v40, v30, s47, -v33
	v_rndne_f32_e32 v49, v33
	v_fmac_f32_e32 v40, 0x32a5705f, v30
	v_sub_f32_e32 v33, v33, v49
	v_add_f32_e32 v33, v33, v40
	v_exp_f32_e32 v33, v33
	v_cvt_i32_f32_e32 v40, v49
	v_cmp_ngt_f32_e32 vcc, s69, v30
	v_sub_f32_e32 v32, v32, v220
	v_sub_f32_e32 v36, v36, v220
	v_ldexp_f32 v33, v33, v40
	v_cndmask_b32_e32 v33, 0, v33, vcc
	v_cmp_nlt_f32_e32 vcc, s93, v30
	v_sub_f32_e32 v37, v37, v220
	v_sub_f32_e32 v29, v29, v220
	v_cndmask_b32_e32 v30, v215, v33, vcc
	v_mul_f32_e32 v33, 0x3fb8aa3b, v32
	v_fma_f32 v40, v32, s47, -v33
	v_rndne_f32_e32 v49, v33
	v_fmac_f32_e32 v40, 0x32a5705f, v32
	v_sub_f32_e32 v33, v33, v49
	v_add_f32_e32 v33, v33, v40
	v_exp_f32_e32 v33, v33
	v_cvt_i32_f32_e32 v40, v49
	v_cmp_ngt_f32_e32 vcc, s69, v32
	v_ldexp_f32 v33, v33, v40
	v_mul_f32_e32 v40, 0x3fb8aa3b, v36
	v_fma_f32 v49, v36, s47, -v40
	v_rndne_f32_e32 v53, v40
	v_fmac_f32_e32 v49, 0x32a5705f, v36
	v_sub_f32_e32 v40, v40, v53
	v_add_f32_e32 v40, v40, v49
	v_exp_f32_e32 v40, v40
	v_cvt_i32_f32_e32 v49, v53
	v_cndmask_b32_e32 v33, 0, v33, vcc
	v_cmp_nlt_f32_e32 vcc, s93, v32
	v_ldexp_f32 v40, v40, v49
	s_nop 0
	v_cndmask_b32_e32 v33, v215, v33, vcc
	v_cmp_ngt_f32_e32 vcc, s69, v36
	v_add_f32_e32 v32, v30, v33
	v_cvt_pk_f16_f32 v140, v30, v33
	v_cndmask_b32_e32 v40, 0, v40, vcc
	v_cmp_nlt_f32_e32 vcc, s93, v36
	s_nop 1
	v_cndmask_b32_e32 v36, v215, v40, vcc
	v_mul_f32_e32 v40, 0x3fb8aa3b, v37
	v_fma_f32 v49, v37, s47, -v40
	v_rndne_f32_e32 v53, v40
	v_fmac_f32_e32 v49, 0x32a5705f, v37
	v_sub_f32_e32 v40, v40, v53
	v_add_f32_e32 v40, v40, v49
	v_exp_f32_e32 v40, v40
	v_cvt_i32_f32_e32 v49, v53
	v_cmp_ngt_f32_e32 vcc, s69, v37
	v_add_f32_e32 v32, v36, v32
	v_ldexp_f32 v40, v40, v49
	v_cndmask_b32_e32 v40, 0, v40, vcc
	v_cmp_nlt_f32_e32 vcc, s93, v37
	v_sub_f32_e32 v37, v41, v220
	v_mul_f32_e32 v41, 0x3fb8aa3b, v37
	v_fma_f32 v49, v37, s47, -v41
	v_rndne_f32_e32 v53, v41
	v_fmac_f32_e32 v49, 0x32a5705f, v37
	v_sub_f32_e32 v41, v41, v53
	v_add_f32_e32 v41, v41, v49
	v_exp_f32_e32 v41, v41
	v_cvt_i32_f32_e32 v49, v53
	v_cndmask_b32_e32 v40, v215, v40, vcc
	v_cmp_ngt_f32_e32 vcc, s69, v37
	v_add_f32_e32 v32, v40, v32
	v_ldexp_f32 v41, v41, v49
	v_cndmask_b32_e32 v41, 0, v41, vcc
	v_cmp_nlt_f32_e32 vcc, s93, v37
	v_cvt_pk_f16_f32 v141, v36, v40
	s_nop 0
	v_cndmask_b32_e32 v37, v215, v41, vcc
	v_sub_f32_e32 v41, v44, v220
	v_mul_f32_e32 v44, 0x3fb8aa3b, v41
	v_fma_f32 v49, v41, s47, -v44
	v_rndne_f32_e32 v53, v44
	v_fmac_f32_e32 v49, 0x32a5705f, v41
	v_sub_f32_e32 v44, v44, v53
	v_add_f32_e32 v44, v44, v49
	v_exp_f32_e32 v44, v44
	v_cvt_i32_f32_e32 v49, v53
	v_cmp_ngt_f32_e32 vcc, s69, v41
	v_add_f32_e32 v32, v37, v32
	v_ldexp_f32 v44, v44, v49
	v_cndmask_b32_e32 v44, 0, v44, vcc
	v_cmp_nlt_f32_e32 vcc, s93, v41
	s_nop 1
	v_cndmask_b32_e32 v41, v215, v44, vcc
	v_sub_f32_e32 v44, v45, v220
	v_mul_f32_e32 v45, 0x3fb8aa3b, v44
	v_fma_f32 v49, v44, s47, -v45
	v_rndne_f32_e32 v53, v45
	v_fmac_f32_e32 v49, 0x32a5705f, v44
	v_sub_f32_e32 v45, v45, v53
	v_add_f32_e32 v45, v45, v49
	v_exp_f32_e32 v45, v45
	v_cvt_i32_f32_e32 v49, v53
	v_cmp_ngt_f32_e32 vcc, s69, v44
	v_add_f32_e32 v32, v41, v32
	v_ldexp_f32 v45, v45, v49
	v_cndmask_b32_e32 v45, 0, v45, vcc
	v_cmp_nlt_f32_e32 vcc, s93, v44
	;; [unrolled: 16-line block ×3, first 2 shown]
	s_nop 1
	v_cndmask_b32_e32 v45, v215, v48, vcc
	v_add_f32_e32 v219, v45, v32
	v_mul_f32_e32 v32, 0x3fb8aa3b, v29
	v_fma_f32 v48, v29, s47, -v32
	v_rndne_f32_e32 v49, v32
	v_fmac_f32_e32 v48, 0x32a5705f, v29
	v_sub_f32_e32 v32, v32, v49
	v_add_f32_e32 v32, v32, v48
	v_exp_f32_e32 v32, v32
	v_cvt_i32_f32_e32 v48, v49
	v_cmp_ngt_f32_e32 vcc, s69, v29
	v_ldexp_f32 v32, v32, v48
	s_nop 0
	v_cndmask_b32_e32 v32, 0, v32, vcc
	v_cmp_nlt_f32_e32 vcc, s93, v29
	s_nop 1
	v_cndmask_b32_e32 v32, v215, v32, vcc
	v_cmp_le_f32_e32 vcc, s94, v29
	s_nop 1
	v_cndmask_b32_e32 v29, 0, v32, vcc
	v_fmac_f32_e32 v219, v28, v29
	v_cvt_f16_f32_e32 v28, v29
	v_mul_u32_u24_e32 v28, 0x10001, v28
	v_pk_mul_f16 v49, v27, v28
	v_pk_mul_f16 v48, v26, v28
	v_lshl_add_u64 v[26:27], v[118:119], 0, s[14:15]
	v_pk_mul_f16 v32, v52, v28
	v_pk_mul_f16 v31, v31, v28
	v_pk_mul_f16 v35, v35, v28
	v_pk_mul_f16 v34, v34, v28
	v_pk_mul_f16 v39, v39, v28
	v_pk_mul_f16 v38, v38, v28
	v_pk_mul_f16 v43, v43, v28
	v_pk_mul_f16 v42, v42, v28
	v_pk_mul_f16 v47, v47, v28
	v_pk_mul_f16 v46, v46, v28
	v_pk_mul_f16 v51, v51, v28
	v_pk_mul_f16 v50, v50, v28
	v_pk_mul_f16 v224, v139, v28
	v_pk_mul_f16 v223, v138, v28
	v_lshl_add_u64 v[28:29], v[70:71], 2, v[26:27]
	v_lshl_add_u64 v[28:29], v[28:29], 0, v[60:61]
	v_lshl_add_u64 v[26:27], v[72:73], 2, v[26:27]
	v_lshl_add_u64 v[52:53], v[26:27], 0, v[60:61]
	global_load_dwordx4 v[26:29], v[28:29], off
	v_cvt_f32_f16_e32 v228, v31
	v_cvt_f32_f16_sdwa v229, v31 dst_sel:DWORD dst_unused:UNUSED_PAD src0_sel:WORD_1
	v_cvt_f32_f16_e32 v226, v32
	v_cvt_f32_f16_sdwa v227, v32 dst_sel:DWORD dst_unused:UNUSED_PAD src0_sel:WORD_1
	v_cvt_pk_f16_f32 v138, v37, v41
	v_cvt_pk_f16_f32 v139, v44, v45
	s_waitcnt vmcnt(0)
	ds_write_b128 v154, v[26:29]
	global_load_dwordx4 v[26:29], v[52:53], off
	s_waitcnt vmcnt(0)
	ds_write_b128 v189, v[26:29]
	s_waitcnt lgkmcnt(0)
	s_barrier
	ds_read_u16 v52, v147 offset:272
	ds_read_u16 v53, v147 offset:544
	v_cvt_f32_f16_e32 v28, v48
	v_cvt_f32_f16_sdwa v29, v48 dst_sel:DWORD dst_unused:UNUSED_PAD src0_sel:WORD_1
	ds_read_u16 v48, v148
	ds_read_u16 v60, v148 offset:32
	v_cvt_f32_f16_e32 v26, v49
	v_cvt_f32_f16_sdwa v27, v49 dst_sel:DWORD dst_unused:UNUSED_PAD src0_sel:WORD_1
	s_waitcnt lgkmcnt(1)
	v_perm_b32 v49, v48, v53, s95
	ds_read_u16 v48, v147
	ds_read_u16 v53, v147 offset:32
	ds_read_u16 v30, v147 offset:8704
	;; [unrolled: 1-line block ×5, first 2 shown]
	s_waitcnt lgkmcnt(5)
	v_perm_b32 v48, v52, v48, s95
	s_nop 1
	v_mfma_f32_16x16x16_f16 v[26:29], v[48:49], v[140:141], v[26:29]
	s_waitcnt lgkmcnt(2)
	v_perm_b32 v48, v33, v30, s95
	ds_read_u16 v30, v147 offset:304
	ds_read_u16 v33, v147 offset:576
	s_waitcnt lgkmcnt(2)
	v_perm_b32 v49, v40, v36, s95
	ds_read_u16 v36, v147 offset:8736
	ds_read_u16 v40, v147 offset:9008
	;; [unrolled: 1-line block ×4, first 2 shown]
	v_cvt_f16_f32_e32 v26, v26
	s_waitcnt lgkmcnt(5)
	v_perm_b32 v30, v30, v53, s95
	s_waitcnt lgkmcnt(4)
	v_perm_b32 v31, v60, v33, s95
	;; [unrolled: 2-line block ×4, first 2 shown]
	v_mfma_f32_16x16x16_f16 v[30:33], v[30:31], v[140:141], v[226:229]
	v_cvt_f16_f32_e32 v27, v27
	s_nop 1
	v_cvt_f32_f16_e32 v226, v35
	v_cvt_f32_f16_sdwa v227, v35 dst_sel:DWORD dst_unused:UNUSED_PAD src0_sel:WORD_1
	s_nop 2
	v_cvt_f16_f32_e32 v30, v30
	v_cvt_f16_f32_e32 v31, v31
	;; [unrolled: 1-line block ×4, first 2 shown]
	v_cvt_f32_f16_e32 v30, v30
	v_cvt_f32_f16_e32 v31, v31
	;; [unrolled: 1-line block ×5, first 2 shown]
	v_cvt_f32_f16_sdwa v229, v34 dst_sel:DWORD dst_unused:UNUSED_PAD src0_sel:WORD_1
	v_mfma_f32_16x16x16_f16 v[30:33], v[36:37], v[138:139], v[30:33]
	ds_read_u16 v36, v147 offset:64
	ds_read_u16 v37, v147 offset:336
	;; [unrolled: 1-line block ×4, first 2 shown]
	v_cvt_f16_f32_e32 v28, v28
	v_cvt_f16_f32_e32 v29, v29
	s_waitcnt lgkmcnt(2)
	v_perm_b32 v34, v37, v36, s95
	v_cvt_f32_f16_e32 v26, v26
	s_waitcnt lgkmcnt(0)
	v_perm_b32 v35, v41, v40, s95
	ds_read_u16 v40, v147 offset:8768
	ds_read_u16 v44, v147 offset:9040
	;; [unrolled: 1-line block ×4, first 2 shown]
	v_mfma_f32_16x16x16_f16 v[34:37], v[34:35], v[140:141], v[226:229]
	s_waitcnt lgkmcnt(0)
	v_perm_b32 v41, v45, v41, s95
	v_perm_b32 v40, v44, v40, s95
	v_cvt_f32_f16_e32 v226, v39
	s_nop 3
	v_cvt_f16_f32_e32 v34, v34
	v_cvt_f16_f32_e32 v35, v35
	;; [unrolled: 1-line block ×4, first 2 shown]
	v_cvt_f32_f16_e32 v34, v34
	v_cvt_f32_f16_e32 v35, v35
	;; [unrolled: 1-line block ×4, first 2 shown]
	v_cvt_f32_f16_sdwa v227, v39 dst_sel:DWORD dst_unused:UNUSED_PAD src0_sel:WORD_1
	v_cvt_f32_f16_e32 v228, v38
	v_mfma_f32_16x16x16_f16 v[34:37], v[40:41], v[138:139], v[34:37]
	ds_read_u16 v40, v147 offset:96
	ds_read_u16 v41, v147 offset:368
	;; [unrolled: 1-line block ×4, first 2 shown]
	v_cvt_f32_f16_sdwa v229, v38 dst_sel:DWORD dst_unused:UNUSED_PAD src0_sel:WORD_1
	v_cvt_f32_f16_e32 v27, v27
	s_waitcnt lgkmcnt(2)
	v_perm_b32 v38, v41, v40, s95
	v_cvt_f32_f16_e32 v28, v28
	s_waitcnt lgkmcnt(0)
	v_perm_b32 v39, v45, v44, s95
	v_cvt_f32_f16_e32 v29, v29
	v_cvt_pk_f16_f32 v35, v34, v35
	v_mfma_f32_16x16x16_f16 v[38:41], v[38:39], v[140:141], v[226:229]
	v_cvt_pk_f16_f32 v34, v36, v37
	s_nop 1
	v_cvt_f32_f16_e32 v226, v43
	v_cvt_f32_f16_sdwa v227, v43 dst_sel:DWORD dst_unused:UNUSED_PAD src0_sel:WORD_1
	v_mfma_f32_16x16x16_f16 v[26:29], v[48:49], v[138:139], v[26:29]
	ds_read_u16 v44, v147 offset:8800
	ds_read_u16 v48, v147 offset:9072
	;; [unrolled: 1-line block ×4, first 2 shown]
	v_cvt_f16_f32_e32 v38, v38
	v_cvt_f16_f32_e32 v39, v39
	;; [unrolled: 1-line block ×4, first 2 shown]
	s_waitcnt lgkmcnt(0)
	v_perm_b32 v45, v49, v45, s95
	v_perm_b32 v44, v48, v44, s95
	v_cvt_f32_f16_e32 v38, v38
	v_cvt_f32_f16_e32 v39, v39
	;; [unrolled: 1-line block ×5, first 2 shown]
	v_cvt_f32_f16_sdwa v229, v42 dst_sel:DWORD dst_unused:UNUSED_PAD src0_sel:WORD_1
	v_mfma_f32_16x16x16_f16 v[38:41], v[44:45], v[138:139], v[38:41]
	ds_read_u16 v44, v147 offset:128
	ds_read_u16 v45, v147 offset:400
	;; [unrolled: 1-line block ×4, first 2 shown]
	v_cvt_pk_f16_f32 v27, v26, v27
	v_cvt_pk_f16_f32 v26, v28, v29
	s_waitcnt lgkmcnt(2)
	v_perm_b32 v42, v45, v44, s95
	v_cvt_pk_f16_f32 v39, v38, v39
	s_waitcnt lgkmcnt(0)
	v_perm_b32 v43, v49, v48, s95
	ds_read_u16 v48, v147 offset:8832
	ds_read_u16 v52, v147 offset:9104
	ds_read_u16 v49, v147 offset:9376
	ds_read_u16 v53, v148 offset:8832
	v_mfma_f32_16x16x16_f16 v[42:45], v[42:43], v[140:141], v[226:229]
	s_waitcnt lgkmcnt(0)
	v_perm_b32 v49, v53, v49, s95
	v_perm_b32 v48, v52, v48, s95
	v_cvt_f32_f16_e32 v226, v47
	s_nop 3
	v_cvt_f16_f32_e32 v42, v42
	v_cvt_f16_f32_e32 v43, v43
	;; [unrolled: 1-line block ×4, first 2 shown]
	v_cvt_f32_f16_e32 v42, v42
	v_cvt_f32_f16_e32 v43, v43
	;; [unrolled: 1-line block ×4, first 2 shown]
	v_cvt_f32_f16_sdwa v227, v47 dst_sel:DWORD dst_unused:UNUSED_PAD src0_sel:WORD_1
	v_cvt_f32_f16_e32 v228, v46
	v_mfma_f32_16x16x16_f16 v[42:45], v[48:49], v[138:139], v[42:45]
	ds_read_u16 v48, v147 offset:160
	ds_read_u16 v49, v147 offset:432
	;; [unrolled: 1-line block ×4, first 2 shown]
	v_cvt_f32_f16_sdwa v229, v46 dst_sel:DWORD dst_unused:UNUSED_PAD src0_sel:WORD_1
	v_cvt_pk_f16_f32 v38, v40, v41
	s_waitcnt lgkmcnt(2)
	v_perm_b32 v46, v49, v48, s95
	v_cvt_pk_f16_f32 v43, v42, v43
	s_waitcnt lgkmcnt(0)
	v_perm_b32 v47, v53, v52, s95
	ds_read_u16 v52, v147 offset:8864
	ds_read_u16 v60, v147 offset:9136
	;; [unrolled: 1-line block ×4, first 2 shown]
	v_mfma_f32_16x16x16_f16 v[46:49], v[46:47], v[140:141], v[226:229]
	s_waitcnt lgkmcnt(0)
	v_perm_b32 v53, v225, v53, s95
	v_perm_b32 v52, v60, v52, s95
	v_cvt_f32_f16_e32 v226, v51
	s_nop 3
	v_cvt_f16_f32_e32 v46, v46
	v_cvt_f16_f32_e32 v47, v47
	;; [unrolled: 1-line block ×4, first 2 shown]
	v_cvt_f32_f16_e32 v46, v46
	v_cvt_f32_f16_e32 v47, v47
	;; [unrolled: 1-line block ×4, first 2 shown]
	v_cvt_f32_f16_sdwa v227, v51 dst_sel:DWORD dst_unused:UNUSED_PAD src0_sel:WORD_1
	v_cvt_f32_f16_e32 v228, v50
	v_mfma_f32_16x16x16_f16 v[46:49], v[52:53], v[138:139], v[46:49]
	ds_read_u16 v52, v147 offset:192
	ds_read_u16 v53, v147 offset:464
	;; [unrolled: 1-line block ×4, first 2 shown]
	v_cvt_f32_f16_sdwa v229, v50 dst_sel:DWORD dst_unused:UNUSED_PAD src0_sel:WORD_1
	v_cvt_pk_f16_f32 v42, v44, v45
	s_waitcnt lgkmcnt(2)
	v_perm_b32 v50, v53, v52, s95
	v_cvt_pk_f16_f32 v47, v46, v47
	s_waitcnt lgkmcnt(0)
	v_perm_b32 v51, v225, v60, s95
	v_cvt_pk_f16_f32 v46, v48, v49
	s_nop 0
	v_mfma_f32_16x16x16_f16 v[50:53], v[50:51], v[140:141], v[226:229]
	ds_read_u16 v60, v147 offset:8896
	ds_read_u16 v225, v147 offset:9168
	s_nop 0
	ds_read_u16 v226, v147 offset:9440
	ds_read_u16 v227, v148 offset:8896
	v_cvt_f32_f16_e32 v228, v223
	v_cvt_f32_f16_sdwa v229, v223 dst_sel:DWORD dst_unused:UNUSED_PAD src0_sel:WORD_1
	s_nop 0
	v_cvt_f16_f32_e32 v50, v50
	v_cvt_f16_f32_e32 v51, v51
	;; [unrolled: 1-line block ×4, first 2 shown]
	s_waitcnt lgkmcnt(0)
	v_perm_b32 v227, v227, v226, s95
	v_perm_b32 v226, v225, v60, s95
	ds_read_u16 v60, v147 offset:224
	ds_read_u16 v230, v147 offset:496
	;; [unrolled: 1-line block ×4, first 2 shown]
	v_cvt_f32_f16_e32 v50, v50
	v_cvt_f32_f16_e32 v51, v51
	;; [unrolled: 1-line block ×4, first 2 shown]
	s_waitcnt lgkmcnt(0)
	v_perm_b32 v225, v231, v225, s95
	v_mfma_f32_16x16x16_f16 v[50:53], v[226:227], v[138:139], v[50:53]
	v_cvt_f32_f16_e32 v226, v224
	v_cvt_f32_f16_sdwa v227, v224 dst_sel:DWORD dst_unused:UNUSED_PAD src0_sel:WORD_1
	v_perm_b32 v224, v230, v60, s95
	s_nop 1
	v_mfma_f32_16x16x16_f16 v[224:227], v[224:225], v[140:141], v[226:229]
	s_nop 2
	ds_read_u16 v228, v147 offset:8928
	ds_read_u16 v229, v147 offset:9200
	;; [unrolled: 1-line block ×4, first 2 shown]
	v_cvt_pk_f16_f32 v51, v50, v51
	v_cvt_pk_f16_f32 v50, v52, v53
	v_cvt_f16_f32_e32 v140, v225
	v_cvt_f16_f32_e32 v141, v226
	;; [unrolled: 1-line block ×4, first 2 shown]
	v_cvt_f32_f16_e32 v225, v140
	v_cvt_f32_f16_e32 v226, v141
	s_waitcnt lgkmcnt(0)
	v_perm_b32 v141, v231, v230, s95
	v_perm_b32 v140, v229, v228, s95
	v_cvt_f32_f16_e32 v224, v60
	v_cvt_f32_f16_e32 v227, v223
	v_cvt_pk_f16_f32 v52, v30, v31
	v_cvt_pk_f16_f32 v31, v32, v33
	v_mfma_f32_16x16x16_f16 v[138:141], v[140:141], v[138:139], v[224:227]
	s_barrier
	s_nop 6
	v_cvt_pk_f16_f32 v139, v138, v139
	v_cvt_pk_f16_f32 v138, v140, v141
	s_cbranch_scc0 .LBB29_68
; %bb.65:                               ;   in Loop: Header=BB29_64 Depth=2
	v_mov_b32_e32 v28, v219
	v_mov_b32_e32 v29, v220
	s_ashr_i32 s11, s10, 31
	s_and_saveexec_b64 s[14:15], s[4:5]
	s_cbranch_execnz .LBB29_63
	s_branch .LBB29_64
.LBB29_66:                              ;   in Loop: Header=BB29_10 Depth=1
	s_cbranch_execz .LBB29_9
	s_branch .LBB29_161
.LBB29_67:                              ;   in Loop: Header=BB29_10 Depth=1
	v_mov_b32_e32 v220, 0xfeffffff
	v_mov_b32_e32 v219, 0
	;; [unrolled: 1-line block ×18, first 2 shown]
.LBB29_68:                              ;   in Loop: Header=BB29_10 Depth=1
	s_lshl_b32 s10, s76, 6
	s_ashr_i32 s11, s10, 31
	s_and_saveexec_b64 s[14:15], s[4:5]
	s_cbranch_execz .LBB29_70
; %bb.69:                               ;   in Loop: Header=BB29_10 Depth=1
	v_or_b32_e32 v30, v216, v101
	v_mul_hi_u32 v32, s44, v30
	v_add_u32_e32 v32, v30, v32
	v_lshrrev_b32_e32 v32, s45, v32
	v_mul_lo_u32 v32, v32, s36
	s_lshl_b64 s[76:77], s[10:11], 1
	v_sub_u32_e32 v30, v30, v32
	v_lshl_add_u64 v[28:29], v[122:123], 0, s[76:77]
	v_mad_i64_i32 v[32:33], s[76:77], v30, s46, 0
	v_lshl_add_u64 v[28:29], v[32:33], 1, v[28:29]
	v_lshlrev_b32_e32 v60, 1, v56
	v_lshl_add_u64 v[28:29], v[28:29], 0, v[60:61]
	global_load_dword v28, v[28:29], off
	s_waitcnt vmcnt(0)
	ds_write_b32 v142, v28 offset:17408
.LBB29_70:                              ;   in Loop: Header=BB29_10 Depth=1
	s_or_b64 exec, exec, s[14:15]
	s_mul_hi_i32 s15, s10, s38
	s_mul_i32 s14, s10, s38
	s_lshl_b64 s[14:15], s[14:15], 2
	v_lshl_add_u64 v[28:29], v[120:121], 0, s[14:15]
	v_lshl_add_u64 v[32:33], v[66:67], 2, v[28:29]
	v_lshlrev_b32_e32 v60, 2, v58
	v_lshl_add_u64 v[32:33], v[32:33], 0, v[60:61]
	global_load_dwordx4 v[222:225], v[32:33], off offset:256
	v_add_u32_e32 v30, 0x2000, v145
	v_lshl_add_u64 v[32:33], v[62:63], 2, v[28:29]
	v_lshlrev_b32_e32 v60, 2, v84
	v_lshl_add_u64 v[28:29], v[64:65], 2, v[28:29]
	v_lshl_add_u64 v[32:33], v[32:33], 0, v[60:61]
	;; [unrolled: 1-line block ×3, first 2 shown]
	s_mul_hi_i32 s11, s10, s34
	s_mul_i32 s10, s10, s34
	s_lshl_b64 s[10:11], s[10:11], 2
	s_waitcnt vmcnt(0)
	ds_write_b128 v143, v[222:225]
	s_waitcnt lgkmcnt(0)
	s_barrier
	ds_read2_b64 v[222:225], v145 offset1:4
	ds_read2_b64 v[230:233], v30 offset0:64 offset1:68
	s_waitcnt lgkmcnt(1)
	v_mfma_f32_16x16x16_f16 v[226:229], v[222:223], v[22:23], 0
	v_mfma_f32_16x16x16_f16 v[222:225], v[224:225], v[24:25], v[226:229]
	s_nop 6
	ds_read2_b64 v[226:229], v145 offset0:8 offset1:12
	s_waitcnt lgkmcnt(1)
	v_mfma_f32_16x16x16_f16 v[234:237], v[230:231], v[22:23], 0
	s_waitcnt lgkmcnt(0)
	v_mfma_f32_16x16x16_f16 v[222:225], v[226:227], v[18:19], v[222:225]
	v_mfma_f32_16x16x16_f16 v[22:25], v[232:233], v[24:25], v[234:237]
	ds_read2_b64 v[230:233], v30 offset0:72 offset1:76
	s_waitcnt lgkmcnt(0)
	s_barrier
	v_mfma_f32_16x16x16_f16 v[222:225], v[228:229], v[20:21], v[222:225]
	global_load_dwordx4 v[226:229], v[32:33], off
	global_load_dwordx4 v[234:237], v[28:29], off
	v_add_u32_e32 v28, 0x4400, v146
	v_and_b32_e32 v29, 64, v214
	v_mfma_f32_16x16x16_f16 v[22:25], v[230:231], v[18:19], v[22:25]
	v_xor_b32_e32 v32, 32, v214
	v_add_u32_e32 v29, 64, v29
	v_xor_b32_e32 v33, 16, v214
	v_mfma_f32_16x16x16_f16 v[18:21], v[232:233], v[20:21], v[22:25]
	v_cmp_lt_i32_e32 vcc, v32, v29
	s_waitcnt vmcnt(1)
	ds_write_b128 v154, v[226:229]
	s_waitcnt vmcnt(0)
	ds_write_b128 v189, v[234:237]
	s_waitcnt lgkmcnt(0)
	s_barrier
	ds_read2_b64 v[22:25], v145 offset1:4
	ds_read2_b64 v[226:229], v30 offset0:64 offset1:68
	s_waitcnt lgkmcnt(1)
	v_mfma_f32_16x16x16_f16 v[222:225], v[22:23], v[14:15], v[222:225]
	v_cndmask_b32_e32 v32, v214, v32, vcc
	v_cmp_lt_i32_e32 vcc, v33, v29
	s_waitcnt lgkmcnt(0)
	v_mfma_f32_16x16x16_f16 v[18:21], v[226:227], v[14:15], v[18:21]
	v_cndmask_b32_e32 v29, v214, v33, vcc
	v_lshlrev_b32_e32 v33, 2, v32
	v_lshlrev_b32_e32 v32, 2, v29
	v_mfma_f32_16x16x16_f16 v[22:25], v[24:25], v[16:17], v[222:225]
	v_mfma_f32_16x16x16_f16 v[14:17], v[228:229], v[16:17], v[18:21]
	s_nop 1
	ds_read2_b64 v[222:225], v30 offset0:72 offset1:76
	ds_read2_b64 v[226:229], v145 offset0:16 offset1:20
	;; [unrolled: 1-line block ×3, first 2 shown]
	s_waitcnt lgkmcnt(0)
	v_mfma_f32_16x16x16_f16 v[22:25], v[18:19], v[10:11], v[22:25]
	v_mfma_f32_16x16x16_f16 v[18:21], v[20:21], v[12:13], v[22:25]
	s_nop 6
	ds_read2_b64 v[22:25], v30 offset0:80 offset1:84
	v_mfma_f32_16x16x16_f16 v[14:17], v[222:223], v[10:11], v[14:17]
	v_mfma_f32_16x16x16_f16 v[10:13], v[224:225], v[12:13], v[14:17]
	ds_read2_b64 v[222:225], v30 offset0:88 offset1:92
	v_mfma_f32_16x16x16_f16 v[14:17], v[226:227], v[6:7], v[18:21]
	s_nop 2
	ds_read2_b64 v[18:21], v145 offset0:24 offset1:28
	s_waitcnt lgkmcnt(2)
	v_mfma_f32_16x16x16_f16 v[10:13], v[22:23], v[6:7], v[10:13]
	s_waitcnt lgkmcnt(0)
	s_barrier
	v_mfma_f32_16x16x16_f16 v[14:17], v[228:229], v[8:9], v[14:17]
	ds_read2_b32 v[22:23], v28 offset1:1
	v_mfma_f32_16x16x16_f16 v[6:9], v[24:25], v[8:9], v[10:13]
	v_mfma_f32_16x16x16_f16 v[10:13], v[18:19], v[2:3], v[14:17]
	s_nop 4
	ds_read_b32 v14, v155 offset:17408
	ds_read_b32 v15, v156 offset:17408
	s_waitcnt lgkmcnt(2)
	v_cvt_f32_f16_e32 v16, v22
	v_cvt_f32_f16_sdwa v17, v22 dst_sel:DWORD dst_unused:UNUSED_PAD src0_sel:WORD_1
	v_mfma_f32_16x16x16_f16 v[6:9], v[222:223], v[2:3], v[6:9]
	v_cvt_f32_f16_e32 v18, v23
	v_cvt_f32_f16_sdwa v19, v23 dst_sel:DWORD dst_unused:UNUSED_PAD src0_sel:WORD_1
	s_waitcnt lgkmcnt(1)
	v_cvt_f32_f16_e32 v22, v14
	v_mfma_f32_16x16x16_f16 v[10:13], v[20:21], v[4:5], v[10:13]
	v_cvt_f32_f16_sdwa v14, v14 dst_sel:DWORD dst_unused:UNUSED_PAD src0_sel:WORD_1
	s_waitcnt lgkmcnt(0)
	v_cvt_f32_f16_e32 v20, v15
	v_cvt_f32_f16_sdwa v15, v15 dst_sel:DWORD dst_unused:UNUSED_PAD src0_sel:WORD_1
	v_mfma_f32_16x16x16_f16 v[2:5], v[224:225], v[4:5], v[6:9]
	s_nop 2
	v_add_f32_e32 v10, v10, v16
	v_add_f32_e32 v11, v11, v17
	;; [unrolled: 1-line block ×4, first 2 shown]
	s_nop 0
	v_add_f32_e32 v16, v2, v22
	v_add_f32_e32 v14, v3, v14
	;; [unrolled: 1-line block ×8, first 2 shown]
	v_max3_f32 v2, v220, v2, v3
	v_add_f32_e32 v6, 0x40051340, v16
	v_add_f32_e32 v7, 0x40051340, v14
	v_max3_f32 v2, v2, v4, v5
	v_add_f32_e32 v8, 0x40051340, v17
	v_add_f32_e32 v9, 0x40051340, v15
	v_max3_f32 v2, v2, v6, v7
	v_max3_f32 v6, v2, v8, v9
	ds_bpermute_b32 v7, v33, v6
	v_lshl_add_u64 v[2:3], v[118:119], 0, s[10:11]
	v_lshl_add_u64 v[4:5], v[70:71], 2, v[2:3]
	;; [unrolled: 1-line block ×4, first 2 shown]
	s_waitcnt lgkmcnt(0)
	v_max_f32_e32 v7, v7, v7
	v_max_f32_e32 v18, v6, v7
	v_lshl_add_u64 v[6:7], v[2:3], 0, v[60:61]
	global_load_dwordx4 v[2:5], v[4:5], off
	s_nop 0
	global_load_dwordx4 v[6:9], v[6:7], off
	ds_bpermute_b32 v19, v32, v18
	s_waitcnt vmcnt(1)
	ds_write_b128 v154, v[2:5]
	s_waitcnt vmcnt(0)
	ds_write_b128 v189, v[6:9]
	s_waitcnt lgkmcnt(2)
	v_max_f32_e32 v19, v19, v19
	v_max_f32_e32 v30, v18, v19
	v_sub_f32_e32 v10, v10, v30
	v_sub_f32_e32 v11, v11, v30
	v_mul_f32_e32 v19, 0x3fb8aa3b, v10
	v_sub_f32_e32 v12, v12, v30
	v_mul_f32_e32 v20, 0x3fb8aa3b, v11
	v_fma_f32 v36, v10, s47, -v19
	v_rndne_f32_e32 v37, v19
	v_sub_f32_e32 v13, v13, v30
	v_mul_f32_e32 v21, 0x3fb8aa3b, v12
	v_fma_f32 v40, v11, s47, -v20
	v_rndne_f32_e32 v41, v20
	v_fmac_f32_e32 v36, 0x32a5705f, v10
	v_sub_f32_e32 v19, v19, v37
	v_sub_f32_e32 v16, v16, v30
	v_mul_f32_e32 v22, 0x3fb8aa3b, v13
	v_fma_f32 v44, v12, s47, -v21
	v_rndne_f32_e32 v45, v21
	v_fmac_f32_e32 v40, 0x32a5705f, v11
	v_sub_f32_e32 v20, v20, v41
	v_add_f32_e32 v19, v19, v36
	v_sub_f32_e32 v14, v14, v30
	v_mul_f32_e32 v23, 0x3fb8aa3b, v16
	v_fma_f32 v48, v13, s47, -v22
	v_rndne_f32_e32 v49, v22
	v_cvt_i32_f32_e32 v37, v37
	v_fmac_f32_e32 v44, 0x32a5705f, v12
	v_sub_f32_e32 v21, v21, v45
	v_add_f32_e32 v20, v20, v40
	v_exp_f32_e32 v19, v19
	v_sub_f32_e32 v17, v17, v30
	v_mul_f32_e32 v24, 0x3fb8aa3b, v14
	v_fma_f32 v53, v16, s47, -v23
	v_rndne_f32_e32 v60, v23
	v_cvt_i32_f32_e32 v41, v41
	v_fmac_f32_e32 v48, 0x32a5705f, v13
	v_sub_f32_e32 v22, v22, v49
	v_add_f32_e32 v21, v21, v44
	v_exp_f32_e32 v20, v20
	v_mul_f32_e32 v25, 0x3fb8aa3b, v17
	v_fma_f32 v136, v14, s47, -v24
	v_rndne_f32_e32 v137, v24
	v_cvt_i32_f32_e32 v45, v45
	v_fmac_f32_e32 v53, 0x32a5705f, v16
	v_sub_f32_e32 v23, v23, v60
	v_add_f32_e32 v22, v22, v48
	v_exp_f32_e32 v21, v21
	v_fma_f32 v140, v17, s47, -v25
	v_rndne_f32_e32 v141, v25
	v_cvt_i32_f32_e32 v49, v49
	v_fmac_f32_e32 v136, 0x32a5705f, v14
	v_sub_f32_e32 v24, v24, v137
	v_add_f32_e32 v23, v23, v53
	v_exp_f32_e32 v22, v22
	v_cvt_i32_f32_e32 v60, v60
	v_fmac_f32_e32 v140, 0x32a5705f, v17
	v_sub_f32_e32 v25, v25, v141
	v_add_f32_e32 v24, v24, v136
	v_exp_f32_e32 v23, v23
	v_ldexp_f32 v19, v19, v37
	v_cmp_ngt_f32_e32 vcc, s69, v10
	v_cvt_i32_f32_e32 v137, v137
	v_add_f32_e32 v25, v25, v140
	v_exp_f32_e32 v24, v24
	v_ldexp_f32 v20, v20, v41
	v_cndmask_b32_e32 v19, 0, v19, vcc
	v_cmp_ngt_f32_e32 vcc, s69, v11
	v_cvt_i32_f32_e32 v141, v141
	v_exp_f32_e32 v25, v25
	v_ldexp_f32 v21, v21, v45
	v_cndmask_b32_e32 v20, 0, v20, vcc
	v_cmp_ngt_f32_e32 vcc, s69, v12
	v_ldexp_f32 v22, v22, v49
	v_ldexp_f32 v23, v23, v60
	v_cndmask_b32_e32 v21, 0, v21, vcc
	v_cmp_ngt_f32_e32 vcc, s69, v13
	v_sub_f32_e32 v15, v15, v30
	v_ldexp_f32 v24, v24, v137
	v_cndmask_b32_e32 v22, 0, v22, vcc
	v_cmp_ngt_f32_e32 vcc, s69, v16
	v_sub_f32_e32 v18, v220, v30
	v_mul_f32_e32 v28, 0x3fb8aa3b, v15
	v_cndmask_b32_e32 v23, 0, v23, vcc
	v_cmp_ngt_f32_e32 vcc, s69, v14
	v_ldexp_f32 v25, v25, v141
	v_mul_f32_e32 v29, 0x3fb8aa3b, v18
	v_cndmask_b32_e32 v24, 0, v24, vcc
	v_cmp_ngt_f32_e32 vcc, s69, v17
	v_fma_f32 v220, v15, s47, -v28
	v_rndne_f32_e32 v221, v28
	v_cndmask_b32_e32 v25, 0, v25, vcc
	v_cmp_nlt_f32_e32 vcc, s93, v10
	v_fma_f32 v222, v18, s47, -v29
	v_rndne_f32_e32 v223, v29
	v_fmac_f32_e32 v220, 0x32a5705f, v15
	v_sub_f32_e32 v28, v28, v221
	v_cndmask_b32_e32 v10, v215, v19, vcc
	v_cmp_nlt_f32_e32 vcc, s93, v11
	v_fmac_f32_e32 v222, 0x32a5705f, v18
	v_sub_f32_e32 v29, v29, v223
	v_add_f32_e32 v28, v28, v220
	v_cndmask_b32_e32 v11, v215, v20, vcc
	v_cmp_nlt_f32_e32 vcc, s93, v12
	v_cvt_i32_f32_e32 v221, v221
	v_exp_f32_e32 v28, v28
	v_cndmask_b32_e32 v12, v215, v21, vcc
	v_cmp_nlt_f32_e32 vcc, s93, v13
	v_add_f32_e32 v20, v29, v222
	v_exp_f32_e32 v20, v20
	v_cndmask_b32_e32 v13, v215, v22, vcc
	v_cmp_nlt_f32_e32 vcc, s93, v16
	v_cvt_i32_f32_e32 v21, v223
	v_ldexp_f32 v22, v28, v221
	v_cndmask_b32_e32 v16, v215, v23, vcc
	v_cmp_nlt_f32_e32 vcc, s93, v14
	v_ldexp_f32 v20, v20, v21
	v_add_f32_e32 v19, v10, v11
	v_cndmask_b32_e32 v14, v215, v24, vcc
	v_cmp_nlt_f32_e32 vcc, s93, v17
	v_add_f32_e32 v19, v12, v19
	v_add_f32_e32 v19, v13, v19
	v_cndmask_b32_e32 v17, v215, v25, vcc
	v_cmp_ngt_f32_e32 vcc, s69, v15
	v_add_f32_e32 v19, v16, v19
	v_add_f32_e32 v19, v14, v19
	v_cndmask_b32_e32 v22, 0, v22, vcc
	v_cmp_ngt_f32_e32 vcc, s69, v18
	v_add_f32_e32 v19, v17, v19
	s_waitcnt lgkmcnt(0)
	v_cndmask_b32_e32 v20, 0, v20, vcc
	v_cmp_nlt_f32_e32 vcc, s93, v18
	s_barrier
	s_nop 0
	v_cndmask_b32_e32 v20, v215, v20, vcc
	v_cmp_le_f32_e32 vcc, s94, v18
	v_cvt_pk_f16_f32 v40, v16, v14
	s_nop 0
	v_cndmask_b32_e32 v18, 0, v20, vcc
	v_cvt_f16_f32_e32 v20, v18
	v_cmp_nlt_f32_e32 vcc, s93, v15
	s_nop 1
	v_cndmask_b32_e32 v15, v215, v22, vcc
	v_add_f32_e32 v36, v15, v19
	v_fmac_f32_e32 v36, v219, v18
	v_mul_u32_u24_e32 v18, 0x10001, v20
	v_pk_mul_f16 v19, v27, v18
	v_pk_mul_f16 v20, v26, v18
	;; [unrolled: 1-line block ×5, first 2 shown]
	v_cvt_f32_f16_e32 v2, v19
	v_cvt_f32_f16_sdwa v3, v19 dst_sel:DWORD dst_unused:UNUSED_PAD src0_sel:WORD_1
	ds_read_u16 v5, v147 offset:544
	ds_read_u16 v9, v147 offset:576
	;; [unrolled: 1-line block ×8, first 2 shown]
	ds_read_u16 v6, v148
	ds_read_u16 v29, v148 offset:32
	ds_read_u16 v34, v148 offset:64
	;; [unrolled: 1-line block ×7, first 2 shown]
	v_pk_mul_f16 v21, v52, v18
	s_waitcnt lgkmcnt(7)
	v_perm_b32 v7, v6, v5, s95
	ds_read_u16 v5, v147
	ds_read_u16 v52, v147 offset:32
	ds_read_u16 v53, v147 offset:64
	;; [unrolled: 1-line block ×15, first 2 shown]
	s_waitcnt lgkmcnt(7)
	v_perm_b32 v6, v6, v5, s95
	v_cvt_f32_f16_e32 v4, v20
	v_cvt_f32_f16_sdwa v5, v20 dst_sel:DWORD dst_unused:UNUSED_PAD src0_sel:WORD_1
	v_pk_mul_f16 v25, v39, v18
	v_pk_mul_f16 v20, v38, v18
	v_cvt_pk_f16_f32 v39, v12, v13
	v_cvt_pk_f16_f32 v38, v10, v11
	;; [unrolled: 1-line block ×3, first 2 shown]
	v_perm_b32 v11, v29, v9, s95
	v_mfma_f32_16x16x16_f16 v[2:5], v[6:7], v[38:39], v[2:5]
	ds_read_u16 v6, v147 offset:9248
	ds_read_u16 v12, v147 offset:9280
	ds_read_u16 v226, v147 offset:9312
	ds_read_u16 v227, v147 offset:9344
	ds_read_u16 v228, v147 offset:9376
	ds_read_u16 v229, v147 offset:9408
	ds_read_u16 v230, v147 offset:9440
	ds_read_u16 v231, v147 offset:9472
	ds_read_u16 v7, v148 offset:8704
	ds_read_u16 v13, v148 offset:8736
	ds_read_u16 v232, v148 offset:8768
	ds_read_u16 v233, v148 offset:8800
	ds_read_u16 v234, v148 offset:8832
	ds_read_u16 v235, v148 offset:8864
	ds_read_u16 v236, v148 offset:8896
	ds_read_u16 v237, v148 offset:8928
	s_waitcnt lgkmcnt(7)
	v_perm_b32 v7, v7, v6, s95
	ds_read_u16 v6, v147 offset:8704
	ds_read_u16 v238, v147 offset:8736
	;; [unrolled: 1-line block ×16, first 2 shown]
	v_cvt_f16_f32_e32 v2, v2
	v_cvt_f16_f32_e32 v3, v3
	;; [unrolled: 1-line block ×4, first 2 shown]
	s_waitcnt lgkmcnt(7)
	v_perm_b32 v6, v8, v6, s95
	v_cvt_f32_f16_e32 v2, v2
	v_cvt_f32_f16_e32 v3, v3
	;; [unrolled: 1-line block ×4, first 2 shown]
	v_perm_b32 v10, v219, v52, s95
	v_cvt_f32_f16_e32 v8, v22
	v_mfma_f32_16x16x16_f16 v[2:5], v[6:7], v[40:41], v[2:5]
	v_cvt_f32_f16_e32 v6, v21
	v_cvt_f32_f16_sdwa v7, v21 dst_sel:DWORD dst_unused:UNUSED_PAD src0_sel:WORD_1
	v_cvt_f32_f16_sdwa v9, v22 dst_sel:DWORD dst_unused:UNUSED_PAD src0_sel:WORD_1
	v_perm_b32 v15, v34, v19, s95
	v_perm_b32 v14, v220, v53, s95
	v_mfma_f32_16x16x16_f16 v[6:9], v[10:11], v[38:39], v[6:9]
	v_perm_b32 v11, v13, v12, s95
	s_waitcnt lgkmcnt(6)
	v_perm_b32 v10, v245, v238, s95
	v_cvt_f32_f16_e32 v12, v24
	v_cvt_f32_f16_sdwa v13, v24 dst_sel:DWORD dst_unused:UNUSED_PAD src0_sel:WORD_1
	s_nop 2
	v_cvt_f16_f32_e32 v6, v6
	v_cvt_f16_f32_e32 v7, v7
	;; [unrolled: 1-line block ×4, first 2 shown]
	v_cvt_f32_f16_e32 v6, v6
	v_cvt_f32_f16_e32 v7, v7
	;; [unrolled: 1-line block ×4, first 2 shown]
	v_cvt_f16_f32_e32 v16, v4
	v_cvt_f16_f32_e32 v17, v5
	v_mfma_f32_16x16x16_f16 v[6:9], v[10:11], v[40:41], v[6:9]
	v_cvt_f32_f16_e32 v10, v23
	v_cvt_f32_f16_sdwa v11, v23 dst_sel:DWORD dst_unused:UNUSED_PAD src0_sel:WORD_1
	v_perm_b32 v34, v17, v16, s95
	v_cvt_f32_f16_e32 v16, v20
	v_mfma_f32_16x16x16_f16 v[10:13], v[14:15], v[38:39], v[10:13]
	v_cvt_f32_f16_e32 v14, v25
	v_cvt_f32_f16_sdwa v15, v25 dst_sel:DWORD dst_unused:UNUSED_PAD src0_sel:WORD_1
	v_cvt_f32_f16_sdwa v17, v20 dst_sel:DWORD dst_unused:UNUSED_PAD src0_sel:WORD_1
	v_pk_mul_f16 v43, v43, v18
	s_nop 3
	v_cvt_f16_f32_e32 v4, v10
	v_cvt_f16_f32_e32 v5, v11
	;; [unrolled: 1-line block ×4, first 2 shown]
	v_cvt_f32_f16_e32 v10, v4
	v_cvt_f32_f16_e32 v11, v5
	v_perm_b32 v5, v232, v226, s95
	s_waitcnt lgkmcnt(5)
	v_perm_b32 v4, v246, v239, s95
	v_cvt_f32_f16_e32 v12, v12
	v_cvt_f32_f16_e32 v13, v13
	v_pk_mul_f16 v21, v42, v18
	v_pk_mul_f16 v29, v47, v18
	v_mfma_f32_16x16x16_f16 v[10:13], v[4:5], v[40:41], v[10:13]
	v_perm_b32 v5, v37, v26, s95
	v_perm_b32 v4, v221, v60, s95
	v_pk_mul_f16 v42, v46, v18
	v_pk_mul_f16 v46, v51, v18
	v_mfma_f32_16x16x16_f16 v[14:17], v[4:5], v[38:39], v[14:17]
	v_pk_mul_f16 v47, v50, v18
	v_pk_mul_f16 v50, v139, v18
	;; [unrolled: 1-line block ×3, first 2 shown]
	s_nop 4
	v_cvt_f16_f32_e32 v4, v14
	v_cvt_f16_f32_e32 v5, v15
	;; [unrolled: 1-line block ×4, first 2 shown]
	v_cvt_f32_f16_e32 v14, v4
	v_cvt_f32_f16_e32 v15, v5
	v_perm_b32 v5, v233, v227, s95
	s_waitcnt lgkmcnt(4)
	v_perm_b32 v4, v247, v240, s95
	v_cvt_f32_f16_e32 v16, v16
	v_cvt_f32_f16_e32 v17, v17
	;; [unrolled: 1-line block ×3, first 2 shown]
	v_cvt_f32_f16_sdwa v19, v43 dst_sel:DWORD dst_unused:UNUSED_PAD src0_sel:WORD_1
	v_mfma_f32_16x16x16_f16 v[14:17], v[4:5], v[40:41], v[14:17]
	v_perm_b32 v5, v44, v27, s95
	v_perm_b32 v4, v222, v136, s95
	v_cvt_f32_f16_e32 v20, v21
	v_cvt_f32_f16_sdwa v21, v21 dst_sel:DWORD dst_unused:UNUSED_PAD src0_sel:WORD_1
	v_cvt_f16_f32_e32 v8, v8
	v_cvt_f16_f32_e32 v9, v9
	v_mfma_f32_16x16x16_f16 v[18:21], v[4:5], v[38:39], v[18:21]
	v_cvt_f32_f16_e32 v24, v51
	v_perm_b32 v8, v9, v8, s95
	v_cvt_f16_f32_e32 v9, v12
	v_cvt_f16_f32_e32 v12, v13
	s_nop 3
	v_cvt_f16_f32_e32 v4, v18
	v_cvt_f16_f32_e32 v5, v19
	;; [unrolled: 1-line block ×4, first 2 shown]
	v_cvt_f32_f16_e32 v18, v4
	v_cvt_f32_f16_e32 v19, v5
	v_perm_b32 v5, v234, v228, s95
	s_waitcnt lgkmcnt(3)
	v_perm_b32 v4, v248, v241, s95
	v_cvt_f32_f16_e32 v20, v13
	v_cvt_f32_f16_e32 v21, v21
	v_perm_b32 v9, v12, v9, s95
	v_cvt_f16_f32_e32 v12, v16
	v_mfma_f32_16x16x16_f16 v[20:23], v[4:5], v[40:41], v[18:21]
	v_perm_b32 v5, v45, v28, s95
	v_perm_b32 v4, v223, v137, s95
	v_cvt_f16_f32_e32 v13, v17
	v_cvt_f32_f16_e32 v16, v29
	v_cvt_f32_f16_sdwa v17, v29 dst_sel:DWORD dst_unused:UNUSED_PAD src0_sel:WORD_1
	v_cvt_f32_f16_e32 v18, v42
	v_cvt_f32_f16_sdwa v19, v42 dst_sel:DWORD dst_unused:UNUSED_PAD src0_sel:WORD_1
	v_perm_b32 v12, v13, v12, s95
	v_cvt_f32_f16_sdwa v25, v51 dst_sel:DWORD dst_unused:UNUSED_PAD src0_sel:WORD_1
	v_mfma_f32_16x16x16_f16 v[16:19], v[4:5], v[38:39], v[16:19]
	v_cvt_f16_f32_e32 v52, v2
	v_cvt_f16_f32_e32 v53, v3
	;; [unrolled: 1-line block ×4, first 2 shown]
	s_nop 3
	v_cvt_f16_f32_e32 v4, v16
	v_cvt_f16_f32_e32 v5, v17
	;; [unrolled: 1-line block ×4, first 2 shown]
	v_cvt_f32_f16_e32 v16, v4
	v_cvt_f32_f16_e32 v17, v5
	v_perm_b32 v5, v235, v229, s95
	s_waitcnt lgkmcnt(2)
	v_perm_b32 v4, v249, v242, s95
	v_cvt_f32_f16_e32 v18, v13
	v_cvt_f32_f16_e32 v19, v19
	v_cvt_f16_f32_e32 v13, v22
	v_cvt_f16_f32_e32 v22, v23
	v_mfma_f32_16x16x16_f16 v[26:29], v[4:5], v[40:41], v[16:19]
	v_perm_b32 v5, v48, v31, s95
	v_perm_b32 v4, v224, v140, s95
	s_nop 0
	v_cvt_f32_f16_e32 v16, v46
	v_cvt_f32_f16_sdwa v17, v46 dst_sel:DWORD dst_unused:UNUSED_PAD src0_sel:WORD_1
	v_cvt_f32_f16_e32 v18, v47
	v_cvt_f32_f16_sdwa v19, v47 dst_sel:DWORD dst_unused:UNUSED_PAD src0_sel:WORD_1
	v_perm_b32 v13, v22, v13, s95
	v_cvt_f32_f16_e32 v22, v50
	v_mfma_f32_16x16x16_f16 v[16:19], v[4:5], v[38:39], v[16:19]
	v_cvt_f32_f16_sdwa v23, v50 dst_sel:DWORD dst_unused:UNUSED_PAD src0_sel:WORD_1
	v_cvt_f16_f32_e32 v28, v28
	v_cvt_f16_f32_e32 v29, v29
	;; [unrolled: 1-line block ×3, first 2 shown]
	s_nop 3
	v_cvt_f16_f32_e32 v4, v16
	v_cvt_f16_f32_e32 v5, v17
	;; [unrolled: 1-line block ×4, first 2 shown]
	v_cvt_f32_f16_e32 v16, v4
	v_cvt_f32_f16_e32 v17, v5
	v_perm_b32 v5, v236, v230, s95
	s_waitcnt lgkmcnt(1)
	v_perm_b32 v4, v250, v243, s95
	v_cvt_f32_f16_e32 v18, v18
	v_cvt_f32_f16_e32 v19, v19
	v_cvt_f16_f32_e32 v43, v11
	v_cvt_f16_f32_e32 v42, v14
	v_mfma_f32_16x16x16_f16 v[16:19], v[4:5], v[40:41], v[16:19]
	v_perm_b32 v5, v49, v35, s95
	v_perm_b32 v4, v225, v141, s95
	v_cvt_f16_f32_e32 v44, v15
	v_cvt_f16_f32_e32 v45, v20
	v_mfma_f32_16x16x16_f16 v[22:25], v[4:5], v[38:39], v[22:25]
	s_nop 2
	v_cvt_f16_f32_e32 v18, v18
	v_cvt_f16_f32_e32 v19, v19
	;; [unrolled: 1-line block ×3, first 2 shown]
	s_nop 1
	v_cvt_f16_f32_e32 v4, v22
	v_cvt_f16_f32_e32 v5, v23
	;; [unrolled: 1-line block ×4, first 2 shown]
	v_cvt_f32_f16_e32 v22, v4
	v_cvt_f32_f16_e32 v23, v5
	v_perm_b32 v5, v237, v231, s95
	s_waitcnt lgkmcnt(0)
	v_perm_b32 v4, v251, v244, s95
	v_cvt_f32_f16_e32 v24, v24
	v_cvt_f32_f16_e32 v25, v25
	v_cvt_f16_f32_e32 v47, v26
	v_cvt_f16_f32_e32 v48, v27
	v_mfma_f32_16x16x16_f16 v[22:25], v[4:5], v[40:41], v[22:25]
	ds_bpermute_b32 v4, v33, v36
	v_perm_b32 v28, v29, v28, s95
	v_cvt_f16_f32_e32 v29, v16
	v_cvt_f16_f32_e32 v35, v17
	v_perm_b32 v18, v19, v18, s95
	s_waitcnt lgkmcnt(0)
	v_add_f32_e32 v4, v36, v4
	ds_bpermute_b32 v31, v32, v4
	v_cvt_f16_f32_e32 v5, v22
	v_cvt_f16_f32_e32 v19, v24
	;; [unrolled: 1-line block ×4, first 2 shown]
	v_cmp_ne_u64_e32 vcc, 0, v[116:117]
	s_waitcnt lgkmcnt(0)
	v_add_f32_e32 v31, v4, v31
	v_perm_b32 v19, v24, v19, s95
	s_and_b64 s[14:15], s[0:1], vcc
	v_perm_b32 v24, v25, v5, s95
	v_perm_b32 v25, v35, v29, s95
	;; [unrolled: 1-line block ×8, first 2 shown]
	s_barrier
	s_and_saveexec_b64 s[10:11], s[14:15]
	s_cbranch_execz .LBB29_72
; %bb.71:                               ;   in Loop: Header=BB29_10 Depth=1
	v_lshlrev_b32_e32 v4, 2, v78
	v_readfirstlane_b32 s14, v116
	v_readfirstlane_b32 s15, v117
	v_cvt_pk_f16_f32 v5, v2, v3
	v_max_f32_e32 v2, v30, v30
	v_cvt_pk_f16_f32 v6, v6, v7
	v_cvt_pk_f16_f32 v7, v10, v11
	;; [unrolled: 1-line block ×3, first 2 shown]
	global_load_dword v4, v4, s[14:15]
	v_cvt_pk_f16_f32 v11, v20, v21
	v_cvt_pk_f16_f32 v14, v26, v27
	;; [unrolled: 1-line block ×4, first 2 shown]
	s_waitcnt vmcnt(0)
	v_max_f32_e32 v3, v4, v4
	v_max_f32_e32 v2, v2, v3
	v_sub_f32_e32 v3, v30, v2
	v_sub_f32_e32 v4, v4, v2
	v_mul_f32_e32 v15, 0x3fb8aa3b, v3
	v_mul_f32_e32 v20, 0x3fb8aa3b, v4
	v_fma_f32 v21, v3, s47, -v15
	v_rndne_f32_e32 v24, v15
	v_fma_f32 v25, v4, s47, -v20
	v_rndne_f32_e32 v26, v20
	v_fmac_f32_e32 v21, 0x32a5705f, v3
	v_sub_f32_e32 v15, v15, v24
	v_fmac_f32_e32 v25, 0x32a5705f, v4
	v_sub_f32_e32 v20, v20, v26
	v_add_f32_e32 v15, v15, v21
	v_cvt_i32_f32_e32 v24, v24
	v_add_f32_e32 v20, v20, v25
	v_exp_f32_e32 v15, v15
	v_cvt_i32_f32_e32 v26, v26
	v_exp_f32_e32 v20, v20
	v_cmp_ngt_f32_e32 vcc, s69, v3
	v_ldexp_f32 v15, v15, v24
	v_ldexp_f32 v20, v20, v26
	v_cndmask_b32_e32 v15, 0, v15, vcc
	v_cmp_ngt_f32_e32 vcc, s69, v4
	s_nop 1
	v_cndmask_b32_e32 v20, 0, v20, vcc
	v_cmp_nlt_f32_e32 vcc, s93, v3
	s_nop 1
	v_cndmask_b32_e32 v15, v215, v15, vcc
	v_cmp_le_f32_e32 vcc, s94, v3
	s_nop 1
	v_cndmask_b32_e32 v15, 0, v15, vcc
	v_cvt_f16_f32_e32 v21, v15
	v_cmp_nlt_f32_e32 vcc, s93, v4
	v_mul_u32_u24_e32 v4, 0x10001, v21
	s_nop 0
	v_cndmask_b32_e32 v3, v215, v20, vcc
	v_fmac_f32_e32 v3, v31, v15
	v_pk_mul_f16 v38, v5, v4
	v_pk_mul_f16 v34, v34, v4
	;; [unrolled: 1-line block ×16, first 2 shown]
	v_mov_b64_e32 v[30:31], v[2:3]
.LBB29_72:                              ;   in Loop: Header=BB29_10 Depth=1
	s_or_b64 exec, exec, s[10:11]
	s_and_saveexec_b64 s[10:11], s[6:7]
; %bb.73:                               ;   in Loop: Header=BB29_10 Depth=1
	v_add_u32_e32 v2, 0, v157
	ds_write2_b32 v2, v30, v31 offset0:64 offset1:65
; %bb.74:                               ;   in Loop: Header=BB29_10 Depth=1
	s_or_b64 exec, exec, s[10:11]
	s_waitcnt lgkmcnt(0)
	s_barrier
	s_and_saveexec_b64 s[10:11], s[12:13]
	s_xor_b64 s[10:11], exec, s[10:11]
	s_cbranch_execz .LBB29_76
; %bb.75:                               ;   in Loop: Header=BB29_10 Depth=1
	s_barrier
                                        ; implicit-def: $vgpr32
.LBB29_76:                              ;   in Loop: Header=BB29_10 Depth=1
	s_andn2_saveexec_b64 s[10:11], s[10:11]
	s_cbranch_execz .LBB29_82
; %bb.77:                               ;   in Loop: Header=BB29_10 Depth=1
	v_add_u32_e32 v3, 0, v158
	ds_read_b64 v[6:7], v3 offset:256
	s_waitcnt lgkmcnt(0)
	s_barrier
	ds_bpermute_b32 v2, v32, v6
	v_max_f32_e32 v4, v6, v6
	s_waitcnt lgkmcnt(0)
	v_max_f32_e32 v2, v2, v2
	v_max_f32_e32 v2, v4, v2
	v_sub_f32_e32 v4, v6, v2
	v_mul_f32_e32 v5, 0x3fb8aa3b, v4
	v_fma_f32 v6, v4, s47, -v5
	v_rndne_f32_e32 v10, v5
	v_fmac_f32_e32 v6, 0x32a5705f, v4
	v_sub_f32_e32 v5, v5, v10
	v_add_f32_e32 v5, v5, v6
	v_cvt_i32_f32_e32 v10, v10
	v_exp_f32_e32 v5, v5
	v_cmp_ngt_f32_e32 vcc, s69, v4
	v_ldexp_f32 v5, v5, v10
	s_nop 0
	v_cndmask_b32_e32 v5, 0, v5, vcc
	v_cmp_nlt_f32_e32 vcc, s93, v4
	s_nop 1
	v_cndmask_b32_e32 v4, v215, v5, vcc
	v_mul_f32_e32 v5, v7, v4
	ds_bpermute_b32 v5, v32, v5
	s_waitcnt lgkmcnt(0)
	v_fmac_f32_e32 v5, v7, v4
	s_and_saveexec_b64 s[14:15], s[8:9]
; %bb.78:                               ;   in Loop: Header=BB29_10 Depth=1
	ds_write_b64 v3, v[4:5] offset:256
; %bb.79:                               ;   in Loop: Header=BB29_10 Depth=1
	s_or_b64 exec, exec, s[14:15]
	s_and_saveexec_b64 s[14:15], s[6:7]
	s_cbranch_execz .LBB29_81
; %bb.80:                               ;   in Loop: Header=BB29_10 Depth=1
	v_mov_b32_e32 v3, v5
	global_store_dwordx2 v[80:81], v[2:3], off
.LBB29_81:                              ;   in Loop: Header=BB29_10 Depth=1
	s_or_b64 exec, exec, s[14:15]
.LBB29_82:                              ;   in Loop: Header=BB29_10 Depth=1
	s_or_b64 exec, exec, s[10:11]
	v_add_u32_e32 v2, v144, v159
	ds_write2_b32 v2, v38, v34 offset1:1
	ds_write2_b32 v2, v37, v8 offset0:8 offset1:9
	ds_write2_b32 v2, v36, v9 offset0:16 offset1:17
	;; [unrolled: 1-line block ×7, first 2 shown]
	s_waitcnt lgkmcnt(0)
	s_barrier
	s_and_saveexec_b64 s[76:77], s[0:1]
	s_cbranch_execz .LBB29_160
; %bb.83:                               ;   in Loop: Header=BB29_10 Depth=1
	v_add_u32_e32 v3, v205, v216
	v_or_b32_e32 v2, v104, v103
	v_cmp_gt_i32_e64 s[10:11], s36, v3
	v_cmp_gt_i32_e32 vcc, s3, v2
	s_and_b64 s[14:15], s[10:11], vcc
	v_mov_b32_e32 v2, 0x47
	s_and_saveexec_b64 s[10:11], s[14:15]
	s_cbranch_execz .LBB29_85
; %bb.84:                               ;   in Loop: Header=BB29_10 Depth=1
	v_mad_u64_u32 v[2:3], s[14:15], v3, s37, v[104:105]
	v_add_u32_e32 v3, v153, v163
	ds_read2st64_b32 v[4:5], v3 offset1:17
	v_add_u32_e32 v3, 0, v163
	ds_read2st64_b32 v[6:7], v3 offset0:1 offset1:18
	v_lshl_add_u32 v2, v2, 6, v54
	v_ashrrev_i32_e32 v3, 31, v2
	s_waitcnt lgkmcnt(1)
	v_cvt_f32_f16_e32 v8, v4
	v_cvt_f32_f16_sdwa v9, v4 dst_sel:DWORD dst_unused:UNUSED_PAD src0_sel:WORD_1
	v_cvt_f32_f16_e32 v4, v5
	v_cvt_f32_f16_sdwa v5, v5 dst_sel:DWORD dst_unused:UNUSED_PAD src0_sel:WORD_1
	v_lshl_add_u64 v[2:3], v[2:3], 3, v[114:115]
	s_waitcnt lgkmcnt(0)
	v_pk_fma_f32 v[8:9], v[6:7], v[8:9], 0 op_sel_hi:[0,1,0]
	v_mov_b32_e32 v6, v7
	v_pk_fma_f32 v[4:5], v[6:7], v[4:5], v[8:9] op_sel_hi:[0,1,1]
	global_store_dwordx2 v[2:3], v[4:5], off
	v_mov_b32_e32 v2, 0
.LBB29_85:                              ;   in Loop: Header=BB29_10 Depth=1
	s_or_b64 exec, exec, s[10:11]
	v_cmp_gt_i32_e64 s[10:11], s96, v2
	s_mov_b64 s[14:15], -1
	s_and_saveexec_b64 s[78:79], s[10:11]
; %bb.86:                               ;   in Loop: Header=BB29_10 Depth=1
	v_cmp_eq_u32_e64 s[10:11], 0, v2
	s_orn2_b64 s[14:15], s[10:11], exec
; %bb.87:                               ;   in Loop: Header=BB29_10 Depth=1
	s_or_b64 exec, exec, s[78:79]
	s_and_b64 exec, exec, s[14:15]
	s_cbranch_execz .LBB29_160
; %bb.88:                               ;   in Loop: Header=BB29_10 Depth=1
	v_add_u32_e32 v3, v206, v216
	v_or_b32_e32 v2, v86, v103
	v_cmp_gt_i32_e64 s[10:11], s36, v3
	v_cmp_gt_i32_e64 s[14:15], s3, v2
	s_and_b64 s[14:15], s[10:11], s[14:15]
	v_mov_b32_e32 v2, 0x47
	s_and_saveexec_b64 s[10:11], s[14:15]
	s_cbranch_execz .LBB29_90
; %bb.89:                               ;   in Loop: Header=BB29_10 Depth=1
	v_mad_u64_u32 v[2:3], s[14:15], v3, s37, v[86:87]
	v_add_u32_e32 v3, v153, v164
	ds_read2st64_b32 v[4:5], v3 offset1:17
	v_add_u32_e32 v3, 0, v164
	ds_read2st64_b32 v[6:7], v3 offset0:1 offset1:18
	v_lshl_add_u32 v2, v2, 6, v54
	v_ashrrev_i32_e32 v3, 31, v2
	s_waitcnt lgkmcnt(1)
	v_cvt_f32_f16_e32 v8, v4
	v_cvt_f32_f16_sdwa v9, v4 dst_sel:DWORD dst_unused:UNUSED_PAD src0_sel:WORD_1
	v_cvt_f32_f16_e32 v4, v5
	v_cvt_f32_f16_sdwa v5, v5 dst_sel:DWORD dst_unused:UNUSED_PAD src0_sel:WORD_1
	v_lshl_add_u64 v[2:3], v[2:3], 3, v[114:115]
	s_waitcnt lgkmcnt(0)
	v_pk_fma_f32 v[8:9], v[6:7], v[8:9], 0 op_sel_hi:[0,1,0]
	v_mov_b32_e32 v6, v7
	v_pk_fma_f32 v[4:5], v[6:7], v[4:5], v[8:9] op_sel_hi:[0,1,1]
	global_store_dwordx2 v[2:3], v[4:5], off
	v_mov_b32_e32 v2, 0
.LBB29_90:                              ;   in Loop: Header=BB29_10 Depth=1
	s_or_b64 exec, exec, s[10:11]
	v_cmp_gt_i32_e64 s[10:11], s96, v2
	s_mov_b64 s[14:15], -1
	s_and_saveexec_b64 s[78:79], s[10:11]
; %bb.91:                               ;   in Loop: Header=BB29_10 Depth=1
	v_cmp_eq_u32_e64 s[10:11], 0, v2
	s_orn2_b64 s[14:15], s[10:11], exec
; %bb.92:                               ;   in Loop: Header=BB29_10 Depth=1
	s_or_b64 exec, exec, s[78:79]
	s_and_b64 exec, exec, s[14:15]
	s_cbranch_execz .LBB29_160
; %bb.93:                               ;   in Loop: Header=BB29_10 Depth=1
	v_add_u32_e32 v3, v165, v216
	v_cmp_gt_i32_e64 s[10:11], s36, v3
	s_and_b64 s[14:15], s[10:11], vcc
	v_mov_b32_e32 v2, 0x47
	s_and_saveexec_b64 s[10:11], s[14:15]
	s_cbranch_execz .LBB29_95
; %bb.94:                               ;   in Loop: Header=BB29_10 Depth=1
	v_mad_u64_u32 v[2:3], s[14:15], v3, s37, v[104:105]
	v_add_u32_e32 v3, v153, v166
	ds_read2st64_b32 v[4:5], v3 offset1:17
	v_add_u32_e32 v3, 0, v166
	ds_read2st64_b32 v[6:7], v3 offset0:1 offset1:18
	v_lshl_add_u32 v2, v2, 6, v54
	v_ashrrev_i32_e32 v3, 31, v2
	s_waitcnt lgkmcnt(1)
	v_cvt_f32_f16_e32 v8, v4
	v_cvt_f32_f16_sdwa v9, v4 dst_sel:DWORD dst_unused:UNUSED_PAD src0_sel:WORD_1
	v_cvt_f32_f16_e32 v4, v5
	v_cvt_f32_f16_sdwa v5, v5 dst_sel:DWORD dst_unused:UNUSED_PAD src0_sel:WORD_1
	v_lshl_add_u64 v[2:3], v[2:3], 3, v[114:115]
	s_waitcnt lgkmcnt(0)
	v_pk_fma_f32 v[8:9], v[6:7], v[8:9], 0 op_sel_hi:[0,1,0]
	v_mov_b32_e32 v6, v7
	v_pk_fma_f32 v[4:5], v[6:7], v[4:5], v[8:9] op_sel_hi:[0,1,1]
	global_store_dwordx2 v[2:3], v[4:5], off
	v_mov_b32_e32 v2, 0
.LBB29_95:                              ;   in Loop: Header=BB29_10 Depth=1
	s_or_b64 exec, exec, s[10:11]
	v_cmp_gt_i32_e64 s[10:11], s96, v2
	s_mov_b64 s[14:15], -1
	s_and_saveexec_b64 s[78:79], s[10:11]
; %bb.96:                               ;   in Loop: Header=BB29_10 Depth=1
	v_cmp_eq_u32_e64 s[10:11], 0, v2
	s_orn2_b64 s[14:15], s[10:11], exec
; %bb.97:                               ;   in Loop: Header=BB29_10 Depth=1
	s_or_b64 exec, exec, s[78:79]
	s_and_b64 exec, exec, s[14:15]
	s_cbranch_execz .LBB29_160
; %bb.98:                               ;   in Loop: Header=BB29_10 Depth=1
	v_add_u32_e32 v3, v207, v216
	v_or_b32_e32 v2, v88, v103
	v_cmp_gt_i32_e64 s[10:11], s36, v3
	v_cmp_gt_i32_e64 s[14:15], s3, v2
	s_and_b64 s[14:15], s[10:11], s[14:15]
	v_mov_b32_e32 v2, 0x47
	s_and_saveexec_b64 s[10:11], s[14:15]
	s_cbranch_execz .LBB29_100
; %bb.99:                               ;   in Loop: Header=BB29_10 Depth=1
	v_mad_u64_u32 v[2:3], s[14:15], v3, s37, v[88:89]
	v_add_u32_e32 v3, v153, v167
	ds_read2st64_b32 v[4:5], v3 offset1:17
	v_add_u32_e32 v3, 0, v167
	ds_read2st64_b32 v[6:7], v3 offset0:1 offset1:18
	v_lshl_add_u32 v2, v2, 6, v54
	v_ashrrev_i32_e32 v3, 31, v2
	s_waitcnt lgkmcnt(1)
	v_cvt_f32_f16_e32 v8, v4
	v_cvt_f32_f16_sdwa v9, v4 dst_sel:DWORD dst_unused:UNUSED_PAD src0_sel:WORD_1
	v_cvt_f32_f16_e32 v4, v5
	v_cvt_f32_f16_sdwa v5, v5 dst_sel:DWORD dst_unused:UNUSED_PAD src0_sel:WORD_1
	v_lshl_add_u64 v[2:3], v[2:3], 3, v[114:115]
	s_waitcnt lgkmcnt(0)
	v_pk_fma_f32 v[8:9], v[6:7], v[8:9], 0 op_sel_hi:[0,1,0]
	v_mov_b32_e32 v6, v7
	v_pk_fma_f32 v[4:5], v[6:7], v[4:5], v[8:9] op_sel_hi:[0,1,1]
	global_store_dwordx2 v[2:3], v[4:5], off
	v_mov_b32_e32 v2, 0
.LBB29_100:                             ;   in Loop: Header=BB29_10 Depth=1
	s_or_b64 exec, exec, s[10:11]
	v_cmp_gt_i32_e64 s[10:11], s96, v2
	s_mov_b64 s[14:15], -1
	s_and_saveexec_b64 s[78:79], s[10:11]
; %bb.101:                              ;   in Loop: Header=BB29_10 Depth=1
	v_cmp_eq_u32_e64 s[10:11], 0, v2
	s_orn2_b64 s[14:15], s[10:11], exec
; %bb.102:                              ;   in Loop: Header=BB29_10 Depth=1
	s_or_b64 exec, exec, s[78:79]
	s_and_b64 exec, exec, s[14:15]
	s_cbranch_execz .LBB29_160
; %bb.103:                              ;   in Loop: Header=BB29_10 Depth=1
	v_add_u32_e32 v3, v168, v216
	v_cmp_gt_i32_e64 s[10:11], s36, v3
	s_and_b64 s[14:15], s[10:11], vcc
	v_mov_b32_e32 v2, 0x47
	s_and_saveexec_b64 s[10:11], s[14:15]
	s_cbranch_execz .LBB29_105
; %bb.104:                              ;   in Loop: Header=BB29_10 Depth=1
	v_mad_u64_u32 v[2:3], s[14:15], v3, s37, v[104:105]
	v_add_u32_e32 v3, v153, v169
	ds_read2st64_b32 v[4:5], v3 offset1:17
	v_add_u32_e32 v3, 0, v169
	ds_read2st64_b32 v[6:7], v3 offset0:1 offset1:18
	v_lshl_add_u32 v2, v2, 6, v54
	v_ashrrev_i32_e32 v3, 31, v2
	s_waitcnt lgkmcnt(1)
	v_cvt_f32_f16_e32 v8, v4
	v_cvt_f32_f16_sdwa v9, v4 dst_sel:DWORD dst_unused:UNUSED_PAD src0_sel:WORD_1
	v_cvt_f32_f16_e32 v4, v5
	v_cvt_f32_f16_sdwa v5, v5 dst_sel:DWORD dst_unused:UNUSED_PAD src0_sel:WORD_1
	v_lshl_add_u64 v[2:3], v[2:3], 3, v[114:115]
	s_waitcnt lgkmcnt(0)
	v_pk_fma_f32 v[8:9], v[6:7], v[8:9], 0 op_sel_hi:[0,1,0]
	v_mov_b32_e32 v6, v7
	v_pk_fma_f32 v[4:5], v[6:7], v[4:5], v[8:9] op_sel_hi:[0,1,1]
	global_store_dwordx2 v[2:3], v[4:5], off
	v_mov_b32_e32 v2, 0
.LBB29_105:                             ;   in Loop: Header=BB29_10 Depth=1
	s_or_b64 exec, exec, s[10:11]
	v_cmp_gt_i32_e64 s[10:11], s96, v2
	s_mov_b64 s[14:15], -1
	s_and_saveexec_b64 s[78:79], s[10:11]
; %bb.106:                              ;   in Loop: Header=BB29_10 Depth=1
	v_cmp_eq_u32_e64 s[10:11], 0, v2
	s_orn2_b64 s[14:15], s[10:11], exec
; %bb.107:                              ;   in Loop: Header=BB29_10 Depth=1
	s_or_b64 exec, exec, s[78:79]
	s_and_b64 exec, exec, s[14:15]
	s_cbranch_execz .LBB29_160
; %bb.108:                              ;   in Loop: Header=BB29_10 Depth=1
	v_add_u32_e32 v3, v208, v216
	v_or_b32_e32 v2, v90, v103
	v_cmp_gt_i32_e64 s[10:11], s36, v3
	v_cmp_gt_i32_e64 s[14:15], s3, v2
	s_and_b64 s[14:15], s[10:11], s[14:15]
	v_mov_b32_e32 v2, 0x47
	s_and_saveexec_b64 s[10:11], s[14:15]
	s_cbranch_execz .LBB29_110
; %bb.109:                              ;   in Loop: Header=BB29_10 Depth=1
	v_mad_u64_u32 v[2:3], s[14:15], v3, s37, v[90:91]
	v_add_u32_e32 v3, v153, v170
	ds_read2st64_b32 v[4:5], v3 offset1:17
	v_add_u32_e32 v3, 0, v170
	ds_read2st64_b32 v[6:7], v3 offset0:1 offset1:18
	v_lshl_add_u32 v2, v2, 6, v54
	v_ashrrev_i32_e32 v3, 31, v2
	s_waitcnt lgkmcnt(1)
	v_cvt_f32_f16_e32 v8, v4
	v_cvt_f32_f16_sdwa v9, v4 dst_sel:DWORD dst_unused:UNUSED_PAD src0_sel:WORD_1
	v_cvt_f32_f16_e32 v4, v5
	v_cvt_f32_f16_sdwa v5, v5 dst_sel:DWORD dst_unused:UNUSED_PAD src0_sel:WORD_1
	v_lshl_add_u64 v[2:3], v[2:3], 3, v[114:115]
	s_waitcnt lgkmcnt(0)
	v_pk_fma_f32 v[8:9], v[6:7], v[8:9], 0 op_sel_hi:[0,1,0]
	v_mov_b32_e32 v6, v7
	v_pk_fma_f32 v[4:5], v[6:7], v[4:5], v[8:9] op_sel_hi:[0,1,1]
	global_store_dwordx2 v[2:3], v[4:5], off
	v_mov_b32_e32 v2, 0
.LBB29_110:                             ;   in Loop: Header=BB29_10 Depth=1
	s_or_b64 exec, exec, s[10:11]
	v_cmp_gt_i32_e64 s[10:11], s96, v2
	s_mov_b64 s[14:15], -1
	s_and_saveexec_b64 s[78:79], s[10:11]
; %bb.111:                              ;   in Loop: Header=BB29_10 Depth=1
	v_cmp_eq_u32_e64 s[10:11], 0, v2
	s_orn2_b64 s[14:15], s[10:11], exec
; %bb.112:                              ;   in Loop: Header=BB29_10 Depth=1
	s_or_b64 exec, exec, s[78:79]
	s_and_b64 exec, exec, s[14:15]
	s_cbranch_execz .LBB29_160
; %bb.113:                              ;   in Loop: Header=BB29_10 Depth=1
	v_add_u32_e32 v3, v171, v216
	v_cmp_gt_i32_e64 s[10:11], s36, v3
	s_and_b64 s[14:15], s[10:11], vcc
	v_mov_b32_e32 v2, 0x47
	s_and_saveexec_b64 s[10:11], s[14:15]
	s_cbranch_execz .LBB29_115
; %bb.114:                              ;   in Loop: Header=BB29_10 Depth=1
	v_mad_u64_u32 v[2:3], s[14:15], v3, s37, v[104:105]
	v_add_u32_e32 v3, v153, v172
	ds_read2st64_b32 v[4:5], v3 offset1:17
	v_add_u32_e32 v3, 0, v172
	ds_read2st64_b32 v[6:7], v3 offset0:1 offset1:18
	v_lshl_add_u32 v2, v2, 6, v54
	v_ashrrev_i32_e32 v3, 31, v2
	s_waitcnt lgkmcnt(1)
	v_cvt_f32_f16_e32 v8, v4
	v_cvt_f32_f16_sdwa v9, v4 dst_sel:DWORD dst_unused:UNUSED_PAD src0_sel:WORD_1
	v_cvt_f32_f16_e32 v4, v5
	v_cvt_f32_f16_sdwa v5, v5 dst_sel:DWORD dst_unused:UNUSED_PAD src0_sel:WORD_1
	v_lshl_add_u64 v[2:3], v[2:3], 3, v[114:115]
	s_waitcnt lgkmcnt(0)
	v_pk_fma_f32 v[8:9], v[6:7], v[8:9], 0 op_sel_hi:[0,1,0]
	v_mov_b32_e32 v6, v7
	v_pk_fma_f32 v[4:5], v[6:7], v[4:5], v[8:9] op_sel_hi:[0,1,1]
	global_store_dwordx2 v[2:3], v[4:5], off
	v_mov_b32_e32 v2, 0
.LBB29_115:                             ;   in Loop: Header=BB29_10 Depth=1
	s_or_b64 exec, exec, s[10:11]
	v_cmp_gt_i32_e64 s[10:11], s96, v2
	s_mov_b64 s[14:15], -1
	s_and_saveexec_b64 s[78:79], s[10:11]
; %bb.116:                              ;   in Loop: Header=BB29_10 Depth=1
	v_cmp_eq_u32_e64 s[10:11], 0, v2
	s_orn2_b64 s[14:15], s[10:11], exec
; %bb.117:                              ;   in Loop: Header=BB29_10 Depth=1
	s_or_b64 exec, exec, s[78:79]
	s_and_b64 exec, exec, s[14:15]
	s_cbranch_execz .LBB29_160
; %bb.118:                              ;   in Loop: Header=BB29_10 Depth=1
	v_add_u32_e32 v3, v209, v216
	v_or_b32_e32 v2, v92, v103
	v_cmp_gt_i32_e64 s[10:11], s36, v3
	v_cmp_gt_i32_e64 s[14:15], s3, v2
	s_and_b64 s[14:15], s[10:11], s[14:15]
	v_mov_b32_e32 v2, 0x47
	s_and_saveexec_b64 s[10:11], s[14:15]
	s_cbranch_execz .LBB29_120
; %bb.119:                              ;   in Loop: Header=BB29_10 Depth=1
	v_mad_u64_u32 v[2:3], s[14:15], v3, s37, v[92:93]
	v_add_u32_e32 v3, v153, v173
	ds_read2st64_b32 v[4:5], v3 offset1:17
	v_add_u32_e32 v3, 0, v173
	ds_read2st64_b32 v[6:7], v3 offset0:1 offset1:18
	v_lshl_add_u32 v2, v2, 6, v54
	v_ashrrev_i32_e32 v3, 31, v2
	s_waitcnt lgkmcnt(1)
	v_cvt_f32_f16_e32 v8, v4
	v_cvt_f32_f16_sdwa v9, v4 dst_sel:DWORD dst_unused:UNUSED_PAD src0_sel:WORD_1
	v_cvt_f32_f16_e32 v4, v5
	v_cvt_f32_f16_sdwa v5, v5 dst_sel:DWORD dst_unused:UNUSED_PAD src0_sel:WORD_1
	v_lshl_add_u64 v[2:3], v[2:3], 3, v[114:115]
	s_waitcnt lgkmcnt(0)
	v_pk_fma_f32 v[8:9], v[6:7], v[8:9], 0 op_sel_hi:[0,1,0]
	v_mov_b32_e32 v6, v7
	v_pk_fma_f32 v[4:5], v[6:7], v[4:5], v[8:9] op_sel_hi:[0,1,1]
	global_store_dwordx2 v[2:3], v[4:5], off
	v_mov_b32_e32 v2, 0
.LBB29_120:                             ;   in Loop: Header=BB29_10 Depth=1
	s_or_b64 exec, exec, s[10:11]
	v_cmp_gt_i32_e64 s[10:11], s96, v2
	s_mov_b64 s[14:15], -1
	s_and_saveexec_b64 s[78:79], s[10:11]
; %bb.121:                              ;   in Loop: Header=BB29_10 Depth=1
	v_cmp_eq_u32_e64 s[10:11], 0, v2
	s_orn2_b64 s[14:15], s[10:11], exec
; %bb.122:                              ;   in Loop: Header=BB29_10 Depth=1
	s_or_b64 exec, exec, s[78:79]
	s_and_b64 exec, exec, s[14:15]
	s_cbranch_execz .LBB29_160
; %bb.123:                              ;   in Loop: Header=BB29_10 Depth=1
	v_add_u32_e32 v3, v174, v216
	v_cmp_gt_i32_e64 s[10:11], s36, v3
	s_and_b64 s[14:15], s[10:11], vcc
	v_mov_b32_e32 v2, 0x47
	s_and_saveexec_b64 s[10:11], s[14:15]
	s_cbranch_execz .LBB29_125
; %bb.124:                              ;   in Loop: Header=BB29_10 Depth=1
	v_mad_u64_u32 v[2:3], s[14:15], v3, s37, v[104:105]
	v_add_u32_e32 v3, v153, v175
	ds_read2st64_b32 v[4:5], v3 offset1:17
	v_add_u32_e32 v3, 0, v175
	ds_read2st64_b32 v[6:7], v3 offset0:1 offset1:18
	v_lshl_add_u32 v2, v2, 6, v54
	v_ashrrev_i32_e32 v3, 31, v2
	s_waitcnt lgkmcnt(1)
	v_cvt_f32_f16_e32 v8, v4
	v_cvt_f32_f16_sdwa v9, v4 dst_sel:DWORD dst_unused:UNUSED_PAD src0_sel:WORD_1
	v_cvt_f32_f16_e32 v4, v5
	v_cvt_f32_f16_sdwa v5, v5 dst_sel:DWORD dst_unused:UNUSED_PAD src0_sel:WORD_1
	v_lshl_add_u64 v[2:3], v[2:3], 3, v[114:115]
	s_waitcnt lgkmcnt(0)
	v_pk_fma_f32 v[8:9], v[6:7], v[8:9], 0 op_sel_hi:[0,1,0]
	v_mov_b32_e32 v6, v7
	v_pk_fma_f32 v[4:5], v[6:7], v[4:5], v[8:9] op_sel_hi:[0,1,1]
	global_store_dwordx2 v[2:3], v[4:5], off
	v_mov_b32_e32 v2, 0
.LBB29_125:                             ;   in Loop: Header=BB29_10 Depth=1
	s_or_b64 exec, exec, s[10:11]
	v_cmp_gt_i32_e64 s[10:11], s96, v2
	s_mov_b64 s[14:15], -1
	s_and_saveexec_b64 s[78:79], s[10:11]
; %bb.126:                              ;   in Loop: Header=BB29_10 Depth=1
	v_cmp_eq_u32_e64 s[10:11], 0, v2
	s_orn2_b64 s[14:15], s[10:11], exec
; %bb.127:                              ;   in Loop: Header=BB29_10 Depth=1
	s_or_b64 exec, exec, s[78:79]
	s_and_b64 exec, exec, s[14:15]
	s_cbranch_execz .LBB29_160
; %bb.128:                              ;   in Loop: Header=BB29_10 Depth=1
	v_add_u32_e32 v3, v210, v216
	v_or_b32_e32 v2, v94, v103
	v_cmp_gt_i32_e64 s[10:11], s36, v3
	v_cmp_gt_i32_e64 s[14:15], s3, v2
	s_and_b64 s[14:15], s[10:11], s[14:15]
	v_mov_b32_e32 v2, 0x47
	s_and_saveexec_b64 s[10:11], s[14:15]
	s_cbranch_execz .LBB29_130
; %bb.129:                              ;   in Loop: Header=BB29_10 Depth=1
	v_mad_u64_u32 v[2:3], s[14:15], v3, s37, v[94:95]
	v_add_u32_e32 v3, v153, v176
	ds_read2st64_b32 v[4:5], v3 offset1:17
	v_add_u32_e32 v3, 0, v176
	ds_read2st64_b32 v[6:7], v3 offset0:1 offset1:18
	v_lshl_add_u32 v2, v2, 6, v54
	v_ashrrev_i32_e32 v3, 31, v2
	s_waitcnt lgkmcnt(1)
	v_cvt_f32_f16_e32 v8, v4
	v_cvt_f32_f16_sdwa v9, v4 dst_sel:DWORD dst_unused:UNUSED_PAD src0_sel:WORD_1
	v_cvt_f32_f16_e32 v4, v5
	v_cvt_f32_f16_sdwa v5, v5 dst_sel:DWORD dst_unused:UNUSED_PAD src0_sel:WORD_1
	v_lshl_add_u64 v[2:3], v[2:3], 3, v[114:115]
	s_waitcnt lgkmcnt(0)
	v_pk_fma_f32 v[8:9], v[6:7], v[8:9], 0 op_sel_hi:[0,1,0]
	v_mov_b32_e32 v6, v7
	v_pk_fma_f32 v[4:5], v[6:7], v[4:5], v[8:9] op_sel_hi:[0,1,1]
	global_store_dwordx2 v[2:3], v[4:5], off
	v_mov_b32_e32 v2, 0
.LBB29_130:                             ;   in Loop: Header=BB29_10 Depth=1
	s_or_b64 exec, exec, s[10:11]
	v_cmp_gt_i32_e64 s[10:11], s96, v2
	s_mov_b64 s[14:15], -1
	s_and_saveexec_b64 s[78:79], s[10:11]
; %bb.131:                              ;   in Loop: Header=BB29_10 Depth=1
	v_cmp_eq_u32_e64 s[10:11], 0, v2
	s_orn2_b64 s[14:15], s[10:11], exec
; %bb.132:                              ;   in Loop: Header=BB29_10 Depth=1
	s_or_b64 exec, exec, s[78:79]
	s_and_b64 exec, exec, s[14:15]
	s_cbranch_execz .LBB29_160
; %bb.133:                              ;   in Loop: Header=BB29_10 Depth=1
	v_add_u32_e32 v3, v177, v216
	v_cmp_gt_i32_e64 s[10:11], s36, v3
	s_and_b64 s[14:15], s[10:11], vcc
	v_mov_b32_e32 v2, 0x47
	s_and_saveexec_b64 s[10:11], s[14:15]
	s_cbranch_execz .LBB29_135
; %bb.134:                              ;   in Loop: Header=BB29_10 Depth=1
	v_mad_u64_u32 v[2:3], s[14:15], v3, s37, v[104:105]
	v_add_u32_e32 v3, v153, v178
	ds_read2st64_b32 v[4:5], v3 offset1:17
	v_add_u32_e32 v3, 0, v178
	ds_read2st64_b32 v[6:7], v3 offset0:1 offset1:18
	v_lshl_add_u32 v2, v2, 6, v54
	v_ashrrev_i32_e32 v3, 31, v2
	s_waitcnt lgkmcnt(1)
	v_cvt_f32_f16_e32 v8, v4
	v_cvt_f32_f16_sdwa v9, v4 dst_sel:DWORD dst_unused:UNUSED_PAD src0_sel:WORD_1
	v_cvt_f32_f16_e32 v4, v5
	v_cvt_f32_f16_sdwa v5, v5 dst_sel:DWORD dst_unused:UNUSED_PAD src0_sel:WORD_1
	v_lshl_add_u64 v[2:3], v[2:3], 3, v[114:115]
	s_waitcnt lgkmcnt(0)
	v_pk_fma_f32 v[8:9], v[6:7], v[8:9], 0 op_sel_hi:[0,1,0]
	v_mov_b32_e32 v6, v7
	v_pk_fma_f32 v[4:5], v[6:7], v[4:5], v[8:9] op_sel_hi:[0,1,1]
	global_store_dwordx2 v[2:3], v[4:5], off
	v_mov_b32_e32 v2, 0
.LBB29_135:                             ;   in Loop: Header=BB29_10 Depth=1
	s_or_b64 exec, exec, s[10:11]
	v_cmp_gt_i32_e64 s[10:11], s96, v2
	s_mov_b64 s[14:15], -1
	s_and_saveexec_b64 s[78:79], s[10:11]
; %bb.136:                              ;   in Loop: Header=BB29_10 Depth=1
	v_cmp_eq_u32_e64 s[10:11], 0, v2
	s_orn2_b64 s[14:15], s[10:11], exec
; %bb.137:                              ;   in Loop: Header=BB29_10 Depth=1
	s_or_b64 exec, exec, s[78:79]
	s_and_b64 exec, exec, s[14:15]
	s_cbranch_execz .LBB29_160
; %bb.138:                              ;   in Loop: Header=BB29_10 Depth=1
	v_add_u32_e32 v3, v211, v216
	v_or_b32_e32 v2, v96, v103
	v_cmp_gt_i32_e64 s[10:11], s36, v3
	v_cmp_gt_i32_e64 s[14:15], s3, v2
	s_and_b64 s[14:15], s[10:11], s[14:15]
	v_mov_b32_e32 v2, 0x47
	s_and_saveexec_b64 s[10:11], s[14:15]
	s_cbranch_execz .LBB29_140
; %bb.139:                              ;   in Loop: Header=BB29_10 Depth=1
	v_mad_u64_u32 v[2:3], s[14:15], v3, s37, v[96:97]
	v_add_u32_e32 v3, v153, v179
	ds_read2st64_b32 v[4:5], v3 offset1:17
	v_add_u32_e32 v3, 0, v179
	ds_read2st64_b32 v[6:7], v3 offset0:1 offset1:18
	v_lshl_add_u32 v2, v2, 6, v54
	v_ashrrev_i32_e32 v3, 31, v2
	s_waitcnt lgkmcnt(1)
	v_cvt_f32_f16_e32 v8, v4
	v_cvt_f32_f16_sdwa v9, v4 dst_sel:DWORD dst_unused:UNUSED_PAD src0_sel:WORD_1
	v_cvt_f32_f16_e32 v4, v5
	v_cvt_f32_f16_sdwa v5, v5 dst_sel:DWORD dst_unused:UNUSED_PAD src0_sel:WORD_1
	v_lshl_add_u64 v[2:3], v[2:3], 3, v[114:115]
	s_waitcnt lgkmcnt(0)
	v_pk_fma_f32 v[8:9], v[6:7], v[8:9], 0 op_sel_hi:[0,1,0]
	v_mov_b32_e32 v6, v7
	v_pk_fma_f32 v[4:5], v[6:7], v[4:5], v[8:9] op_sel_hi:[0,1,1]
	global_store_dwordx2 v[2:3], v[4:5], off
	v_mov_b32_e32 v2, 0
.LBB29_140:                             ;   in Loop: Header=BB29_10 Depth=1
	s_or_b64 exec, exec, s[10:11]
	v_cmp_gt_i32_e64 s[10:11], s96, v2
	s_mov_b64 s[14:15], -1
	s_and_saveexec_b64 s[78:79], s[10:11]
; %bb.141:                              ;   in Loop: Header=BB29_10 Depth=1
	v_cmp_eq_u32_e64 s[10:11], 0, v2
	s_orn2_b64 s[14:15], s[10:11], exec
; %bb.142:                              ;   in Loop: Header=BB29_10 Depth=1
	s_or_b64 exec, exec, s[78:79]
	s_and_b64 exec, exec, s[14:15]
	s_cbranch_execz .LBB29_160
; %bb.143:                              ;   in Loop: Header=BB29_10 Depth=1
	v_add_u32_e32 v3, v180, v216
	v_cmp_gt_i32_e64 s[10:11], s36, v3
	s_and_b64 s[14:15], s[10:11], vcc
	v_mov_b32_e32 v2, 0x47
	s_and_saveexec_b64 s[10:11], s[14:15]
	s_cbranch_execz .LBB29_145
; %bb.144:                              ;   in Loop: Header=BB29_10 Depth=1
	v_mad_u64_u32 v[2:3], s[14:15], v3, s37, v[104:105]
	v_add_u32_e32 v3, v153, v181
	ds_read2st64_b32 v[4:5], v3 offset1:17
	v_add_u32_e32 v3, 0, v181
	ds_read2st64_b32 v[6:7], v3 offset0:1 offset1:18
	v_lshl_add_u32 v2, v2, 6, v54
	v_ashrrev_i32_e32 v3, 31, v2
	s_waitcnt lgkmcnt(1)
	v_cvt_f32_f16_e32 v8, v4
	v_cvt_f32_f16_sdwa v9, v4 dst_sel:DWORD dst_unused:UNUSED_PAD src0_sel:WORD_1
	v_cvt_f32_f16_e32 v4, v5
	v_cvt_f32_f16_sdwa v5, v5 dst_sel:DWORD dst_unused:UNUSED_PAD src0_sel:WORD_1
	v_lshl_add_u64 v[2:3], v[2:3], 3, v[114:115]
	s_waitcnt lgkmcnt(0)
	v_pk_fma_f32 v[8:9], v[6:7], v[8:9], 0 op_sel_hi:[0,1,0]
	v_mov_b32_e32 v6, v7
	v_pk_fma_f32 v[4:5], v[6:7], v[4:5], v[8:9] op_sel_hi:[0,1,1]
	global_store_dwordx2 v[2:3], v[4:5], off
	v_mov_b32_e32 v2, 0
.LBB29_145:                             ;   in Loop: Header=BB29_10 Depth=1
	s_or_b64 exec, exec, s[10:11]
	v_cmp_gt_i32_e64 s[10:11], s96, v2
	s_mov_b64 s[14:15], -1
	s_and_saveexec_b64 s[78:79], s[10:11]
; %bb.146:                              ;   in Loop: Header=BB29_10 Depth=1
	v_cmp_eq_u32_e64 s[10:11], 0, v2
	s_orn2_b64 s[14:15], s[10:11], exec
; %bb.147:                              ;   in Loop: Header=BB29_10 Depth=1
	s_or_b64 exec, exec, s[78:79]
	s_and_b64 exec, exec, s[14:15]
	s_cbranch_execz .LBB29_160
; %bb.148:                              ;   in Loop: Header=BB29_10 Depth=1
	v_add_u32_e32 v3, v212, v216
	v_or_b32_e32 v2, v98, v103
	v_cmp_gt_i32_e64 s[10:11], s36, v3
	v_cmp_gt_i32_e64 s[14:15], s3, v2
	s_and_b64 s[14:15], s[10:11], s[14:15]
	v_mov_b32_e32 v2, 0x47
	s_and_saveexec_b64 s[10:11], s[14:15]
	s_cbranch_execz .LBB29_150
; %bb.149:                              ;   in Loop: Header=BB29_10 Depth=1
	v_mad_u64_u32 v[2:3], s[14:15], v3, s37, v[98:99]
	v_add_u32_e32 v3, v153, v182
	ds_read2st64_b32 v[4:5], v3 offset1:17
	v_add_u32_e32 v3, 0, v182
	ds_read2st64_b32 v[6:7], v3 offset0:1 offset1:18
	v_lshl_add_u32 v2, v2, 6, v54
	v_ashrrev_i32_e32 v3, 31, v2
	s_waitcnt lgkmcnt(1)
	v_cvt_f32_f16_e32 v8, v4
	v_cvt_f32_f16_sdwa v9, v4 dst_sel:DWORD dst_unused:UNUSED_PAD src0_sel:WORD_1
	v_cvt_f32_f16_e32 v4, v5
	v_cvt_f32_f16_sdwa v5, v5 dst_sel:DWORD dst_unused:UNUSED_PAD src0_sel:WORD_1
	v_lshl_add_u64 v[2:3], v[2:3], 3, v[114:115]
	s_waitcnt lgkmcnt(0)
	v_pk_fma_f32 v[8:9], v[6:7], v[8:9], 0 op_sel_hi:[0,1,0]
	v_mov_b32_e32 v6, v7
	v_pk_fma_f32 v[4:5], v[6:7], v[4:5], v[8:9] op_sel_hi:[0,1,1]
	global_store_dwordx2 v[2:3], v[4:5], off
	v_mov_b32_e32 v2, 0
.LBB29_150:                             ;   in Loop: Header=BB29_10 Depth=1
	s_or_b64 exec, exec, s[10:11]
	v_cmp_gt_i32_e64 s[10:11], s96, v2
	s_mov_b64 s[14:15], -1
	s_and_saveexec_b64 s[78:79], s[10:11]
; %bb.151:                              ;   in Loop: Header=BB29_10 Depth=1
	v_cmp_eq_u32_e64 s[10:11], 0, v2
	s_orn2_b64 s[14:15], s[10:11], exec
; %bb.152:                              ;   in Loop: Header=BB29_10 Depth=1
	s_or_b64 exec, exec, s[78:79]
	s_and_b64 exec, exec, s[14:15]
	s_cbranch_execz .LBB29_160
; %bb.153:                              ;   in Loop: Header=BB29_10 Depth=1
	v_add_u32_e32 v3, v183, v216
	v_cmp_gt_i32_e64 s[10:11], s36, v3
	s_and_b64 s[14:15], s[10:11], vcc
	v_mov_b32_e32 v2, 0x47
	s_and_saveexec_b64 s[10:11], s[14:15]
	s_cbranch_execz .LBB29_155
; %bb.154:                              ;   in Loop: Header=BB29_10 Depth=1
	v_mad_u64_u32 v[2:3], s[14:15], v3, s37, v[104:105]
	v_add_u32_e32 v3, v153, v184
	ds_read2st64_b32 v[4:5], v3 offset1:17
	v_add_u32_e32 v3, 0, v184
	ds_read2st64_b32 v[6:7], v3 offset0:1 offset1:18
	v_lshl_add_u32 v2, v2, 6, v54
	v_ashrrev_i32_e32 v3, 31, v2
	s_waitcnt lgkmcnt(1)
	v_cvt_f32_f16_e32 v8, v4
	v_cvt_f32_f16_sdwa v9, v4 dst_sel:DWORD dst_unused:UNUSED_PAD src0_sel:WORD_1
	v_cvt_f32_f16_e32 v4, v5
	v_cvt_f32_f16_sdwa v5, v5 dst_sel:DWORD dst_unused:UNUSED_PAD src0_sel:WORD_1
	v_lshl_add_u64 v[2:3], v[2:3], 3, v[114:115]
	s_waitcnt lgkmcnt(0)
	v_pk_fma_f32 v[8:9], v[6:7], v[8:9], 0 op_sel_hi:[0,1,0]
	v_mov_b32_e32 v6, v7
	v_pk_fma_f32 v[4:5], v[6:7], v[4:5], v[8:9] op_sel_hi:[0,1,1]
	global_store_dwordx2 v[2:3], v[4:5], off
	v_mov_b32_e32 v2, 0
.LBB29_155:                             ;   in Loop: Header=BB29_10 Depth=1
	s_or_b64 exec, exec, s[10:11]
	v_cmp_gt_i32_e32 vcc, s96, v2
	s_mov_b64 s[10:11], -1
	s_and_saveexec_b64 s[14:15], vcc
; %bb.156:                              ;   in Loop: Header=BB29_10 Depth=1
	v_cmp_eq_u32_e32 vcc, 0, v2
	s_orn2_b64 s[10:11], vcc, exec
; %bb.157:                              ;   in Loop: Header=BB29_10 Depth=1
	s_or_b64 exec, exec, s[14:15]
	s_and_b64 exec, exec, s[10:11]
	s_cbranch_execz .LBB29_160
; %bb.158:                              ;   in Loop: Header=BB29_10 Depth=1
	v_add_u32_e32 v2, v213, v216
	v_or_b32_e32 v3, v100, v103
	v_cmp_gt_i32_e32 vcc, s36, v2
	v_cmp_gt_i32_e64 s[10:11], s3, v3
	s_and_b64 s[10:11], vcc, s[10:11]
	s_and_b64 exec, exec, s[10:11]
	s_cbranch_execz .LBB29_160
; %bb.159:                              ;   in Loop: Header=BB29_10 Depth=1
	v_mad_u64_u32 v[2:3], s[10:11], v2, s37, v[100:101]
	v_add_u32_e32 v3, v153, v185
	ds_read2st64_b32 v[4:5], v3 offset1:17
	v_add_u32_e32 v3, 0, v185
	ds_read2st64_b32 v[6:7], v3 offset0:1 offset1:18
	v_lshl_add_u32 v2, v2, 6, v54
	v_ashrrev_i32_e32 v3, 31, v2
	s_waitcnt lgkmcnt(1)
	v_cvt_f32_f16_e32 v8, v4
	v_cvt_f32_f16_sdwa v9, v4 dst_sel:DWORD dst_unused:UNUSED_PAD src0_sel:WORD_1
	v_cvt_f32_f16_e32 v4, v5
	v_cvt_f32_f16_sdwa v5, v5 dst_sel:DWORD dst_unused:UNUSED_PAD src0_sel:WORD_1
	v_lshl_add_u64 v[2:3], v[2:3], 3, v[114:115]
	s_waitcnt lgkmcnt(0)
	v_pk_fma_f32 v[8:9], v[6:7], v[8:9], 0 op_sel_hi:[0,1,0]
	v_mov_b32_e32 v6, v7
	v_pk_fma_f32 v[4:5], v[6:7], v[4:5], v[8:9] op_sel_hi:[0,1,1]
	global_store_dwordx2 v[2:3], v[4:5], off
.LBB29_160:                             ;   in Loop: Header=BB29_10 Depth=1
	s_or_b64 exec, exec, s[76:77]
	s_barrier
	s_branch .LBB29_9
.LBB29_161:                             ;   in Loop: Header=BB29_10 Depth=1
	v_cmp_le_i32_e64 s[10:11], s36, v217
	v_cmp_le_i32_e64 s[14:15], s3, v218
	v_cmp_gt_i32_e32 vcc, s3, v218
	s_or_b64 s[10:11], s[10:11], s[14:15]
	s_and_saveexec_b64 s[14:15], s[10:11]
	s_xor_b64 s[10:11], exec, s[14:15]
; %bb.162:                              ;   in Loop: Header=BB29_10 Depth=1
	v_add_u32_e32 v2, v153, v191
	ds_write_b32 v2, v61
                                        ; implicit-def: $vgpr217
; %bb.163:                              ;   in Loop: Header=BB29_10 Depth=1
	s_andn2_saveexec_b64 s[10:11], s[10:11]
	s_cbranch_execz .LBB29_165
; %bb.164:                              ;   in Loop: Header=BB29_10 Depth=1
	v_mad_u64_u32 v[2:3], s[14:15], v217, s57, v[102:103]
	v_ashrrev_i32_e32 v3, 31, v2
	v_lshl_add_u64 v[2:3], v[2:3], 3, v[130:131]
	global_load_dwordx2 v[2:3], v[2:3], off
	s_waitcnt vmcnt(0)
	v_cvt_pk_f16_f32 v2, v2, v3
	v_pk_mul_f16 v2, v2, v188
	v_add_u32_e32 v3, v153, v191
	ds_write_b32 v3, v2
.LBB29_165:                             ;   in Loop: Header=BB29_10 Depth=1
	s_or_b64 exec, exec, s[10:11]
	v_add_u32_e32 v2, v192, v216
	v_cmp_le_i32_e64 s[10:11], s36, v2
	s_xor_b64 s[14:15], vcc, -1
	s_or_b64 s[10:11], s[10:11], s[14:15]
	s_and_saveexec_b64 s[76:77], s[10:11]
	s_xor_b64 s[10:11], exec, s[76:77]
; %bb.166:                              ;   in Loop: Header=BB29_10 Depth=1
	v_add_u32_e32 v2, v153, v191
	ds_write_b32 v2, v61 offset:3200
                                        ; implicit-def: $vgpr2
; %bb.167:                              ;   in Loop: Header=BB29_10 Depth=1
	s_andn2_saveexec_b64 s[10:11], s[10:11]
	s_cbranch_execz .LBB29_169
; %bb.168:                              ;   in Loop: Header=BB29_10 Depth=1
	v_mad_u64_u32 v[2:3], s[76:77], v2, s57, v[102:103]
	v_ashrrev_i32_e32 v3, 31, v2
	v_lshl_add_u64 v[2:3], v[2:3], 3, v[130:131]
	global_load_dwordx2 v[2:3], v[2:3], off
	s_waitcnt vmcnt(0)
	v_cvt_pk_f16_f32 v2, v2, v3
	v_pk_mul_f16 v2, v2, v188
	v_add_u32_e32 v3, v153, v191
	ds_write_b32 v3, v2 offset:3200
.LBB29_169:                             ;   in Loop: Header=BB29_10 Depth=1
	s_or_b64 exec, exec, s[10:11]
	v_add_u32_e32 v2, v193, v216
	v_cmp_le_i32_e32 vcc, s36, v2
	s_or_b64 s[10:11], vcc, s[14:15]
	s_and_saveexec_b64 s[76:77], s[10:11]
	s_xor_b64 s[10:11], exec, s[76:77]
; %bb.170:                              ;   in Loop: Header=BB29_10 Depth=1
	v_add_u32_e32 v2, v153, v191
	ds_write_b32 v2, v61 offset:6400
                                        ; implicit-def: $vgpr2
; %bb.171:                              ;   in Loop: Header=BB29_10 Depth=1
	s_andn2_saveexec_b64 s[10:11], s[10:11]
	s_cbranch_execz .LBB29_173
; %bb.172:                              ;   in Loop: Header=BB29_10 Depth=1
	v_mad_u64_u32 v[2:3], s[76:77], v2, s57, v[102:103]
	v_ashrrev_i32_e32 v3, 31, v2
	v_lshl_add_u64 v[2:3], v[2:3], 3, v[130:131]
	global_load_dwordx2 v[2:3], v[2:3], off
	s_waitcnt vmcnt(0)
	v_cvt_pk_f16_f32 v2, v2, v3
	v_pk_mul_f16 v2, v2, v188
	v_add_u32_e32 v3, v153, v191
	ds_write_b32 v3, v2 offset:6400
.LBB29_173:                             ;   in Loop: Header=BB29_10 Depth=1
	s_or_b64 exec, exec, s[10:11]
	v_add_u32_e32 v2, v194, v216
	v_cmp_le_i32_e32 vcc, s36, v2
	s_or_b64 s[10:11], vcc, s[14:15]
	;; [unrolled: 24-line block ×6, first 2 shown]
	s_and_saveexec_b64 s[14:15], s[10:11]
	s_xor_b64 s[10:11], exec, s[14:15]
; %bb.190:                              ;   in Loop: Header=BB29_10 Depth=1
	v_add_u32_e32 v2, v153, v191
	ds_write_b32 v2, v61 offset:22400
                                        ; implicit-def: $vgpr2
; %bb.191:                              ;   in Loop: Header=BB29_10 Depth=1
	s_andn2_saveexec_b64 s[10:11], s[10:11]
	s_cbranch_execz .LBB29_193
; %bb.192:                              ;   in Loop: Header=BB29_10 Depth=1
	v_mad_u64_u32 v[2:3], s[14:15], v2, s57, v[102:103]
	v_ashrrev_i32_e32 v3, 31, v2
	v_lshl_add_u64 v[2:3], v[2:3], 3, v[130:131]
	global_load_dwordx2 v[2:3], v[2:3], off
	s_waitcnt vmcnt(0)
	v_cvt_pk_f16_f32 v2, v2, v3
	v_pk_mul_f16 v2, v2, v188
	v_add_u32_e32 v3, v153, v191
	ds_write_b32 v3, v2 offset:22400
.LBB29_193:                             ;   in Loop: Header=BB29_10 Depth=1
	s_or_b64 exec, exec, s[10:11]
	v_add_u32_e32 v2, v199, v216
	v_or_b32_e32 v3, v186, v103
	v_cmp_le_i32_e64 s[10:11], s36, v2
	v_cmp_le_i32_e64 s[14:15], s3, v3
	v_cmp_gt_i32_e32 vcc, s3, v3
	s_or_b64 s[10:11], s[10:11], s[14:15]
	s_and_saveexec_b64 s[14:15], s[10:11]
	s_xor_b64 s[10:11], exec, s[14:15]
; %bb.194:                              ;   in Loop: Header=BB29_10 Depth=1
	ds_write_b32 v201, v61 offset:256
                                        ; implicit-def: $vgpr2
; %bb.195:                              ;   in Loop: Header=BB29_10 Depth=1
	s_andn2_saveexec_b64 s[10:11], s[10:11]
	s_cbranch_execz .LBB29_197
; %bb.196:                              ;   in Loop: Header=BB29_10 Depth=1
	v_mad_u64_u32 v[2:3], s[14:15], v2, s57, v[74:75]
	v_ashrrev_i32_e32 v3, 31, v2
	v_lshl_add_u64 v[2:3], v[2:3], 3, v[130:131]
	global_load_dwordx2 v[2:3], v[2:3], off
	s_waitcnt vmcnt(0)
	v_cvt_pk_f16_f32 v2, v2, v3
	v_pk_mul_f16 v2, v2, v188
	v_add_u32_e32 v3, v187, v200
	ds_write_b32 v3, v2 offset:256
.LBB29_197:                             ;   in Loop: Header=BB29_10 Depth=1
	s_or_b64 exec, exec, s[10:11]
	v_add_u32_e32 v2, v160, v216
	v_cmp_le_i32_e64 s[10:11], s36, v2
	s_xor_b64 s[14:15], vcc, -1
	s_or_b64 s[10:11], s[10:11], s[14:15]
	s_and_saveexec_b64 s[76:77], s[10:11]
	s_xor_b64 s[10:11], exec, s[76:77]
; %bb.198:                              ;   in Loop: Header=BB29_10 Depth=1
	ds_write_b32 v202, v61 offset:256
                                        ; implicit-def: $vgpr2
; %bb.199:                              ;   in Loop: Header=BB29_10 Depth=1
	s_andn2_saveexec_b64 s[10:11], s[10:11]
	s_cbranch_execz .LBB29_201
; %bb.200:                              ;   in Loop: Header=BB29_10 Depth=1
	v_mad_u64_u32 v[2:3], s[76:77], v2, s57, v[74:75]
	v_ashrrev_i32_e32 v3, 31, v2
	v_lshl_add_u64 v[2:3], v[2:3], 3, v[130:131]
	global_load_dwordx2 v[2:3], v[2:3], off
	s_waitcnt vmcnt(0)
	v_cvt_pk_f16_f32 v2, v2, v3
	v_pk_mul_f16 v2, v2, v188
	v_add_u32_e32 v3, v187, v200
	ds_write_b32 v3, v2 offset:6656
.LBB29_201:                             ;   in Loop: Header=BB29_10 Depth=1
	s_or_b64 exec, exec, s[10:11]
	v_add_u32_e32 v2, v161, v216
	v_cmp_le_i32_e32 vcc, s36, v2
	s_or_b64 s[10:11], vcc, s[14:15]
	s_and_saveexec_b64 s[76:77], s[10:11]
	s_xor_b64 s[10:11], exec, s[76:77]
; %bb.202:                              ;   in Loop: Header=BB29_10 Depth=1
	ds_write_b32 v203, v61 offset:256
                                        ; implicit-def: $vgpr2
; %bb.203:                              ;   in Loop: Header=BB29_10 Depth=1
	s_andn2_saveexec_b64 s[10:11], s[10:11]
	s_cbranch_execz .LBB29_205
; %bb.204:                              ;   in Loop: Header=BB29_10 Depth=1
	v_mad_u64_u32 v[2:3], s[76:77], v2, s57, v[74:75]
	v_ashrrev_i32_e32 v3, 31, v2
	v_lshl_add_u64 v[2:3], v[2:3], 3, v[130:131]
	global_load_dwordx2 v[2:3], v[2:3], off
	s_waitcnt vmcnt(0)
	v_cvt_pk_f16_f32 v2, v2, v3
	v_pk_mul_f16 v2, v2, v188
	v_add_u32_e32 v3, v187, v200
	ds_write_b32 v3, v2 offset:13056
.LBB29_205:                             ;   in Loop: Header=BB29_10 Depth=1
	s_or_b64 exec, exec, s[10:11]
	v_add_u32_e32 v2, v162, v216
	v_cmp_le_i32_e32 vcc, s36, v2
	s_or_b64 s[10:11], vcc, s[14:15]
	s_and_saveexec_b64 s[14:15], s[10:11]
	s_xor_b64 s[10:11], exec, s[14:15]
; %bb.206:                              ;   in Loop: Header=BB29_10 Depth=1
	ds_write_b32 v204, v61 offset:256
                                        ; implicit-def: $vgpr2
                                        ; implicit-def: $vgpr130_vgpr131
; %bb.207:                              ;   in Loop: Header=BB29_10 Depth=1
	s_andn2_saveexec_b64 s[10:11], s[10:11]
	s_cbranch_execz .LBB29_209
; %bb.208:                              ;   in Loop: Header=BB29_10 Depth=1
	v_mad_u64_u32 v[2:3], s[14:15], v2, s57, v[74:75]
	v_ashrrev_i32_e32 v3, 31, v2
	v_lshl_add_u64 v[2:3], v[2:3], 3, v[130:131]
	global_load_dwordx2 v[2:3], v[2:3], off
	s_waitcnt vmcnt(0)
	v_cvt_pk_f16_f32 v2, v2, v3
	v_pk_mul_f16 v2, v2, v188
	v_add_u32_e32 v3, v187, v200
	ds_write_b32 v3, v2 offset:19456
.LBB29_209:                             ;   in Loop: Header=BB29_10 Depth=1
	s_or_b64 exec, exec, s[10:11]
	s_waitcnt lgkmcnt(0)
	s_barrier
	ds_read2_b64 v[14:17], v105 offset1:4
	ds_read2_b64 v[10:13], v105 offset0:8 offset1:12
	ds_read2_b64 v[6:9], v105 offset0:16 offset1:20
	;; [unrolled: 1-line block ×5, first 2 shown]
	s_cmp_lt_i32 s97, 2
	s_waitcnt lgkmcnt(0)
	s_barrier
	s_cbranch_scc1 .LBB29_214
; %bb.210:                              ;   in Loop: Header=BB29_10 Depth=1
	v_add_u32_e32 v26, v216, v101
	v_mul_hi_u32 v27, s44, v26
	v_add_u32_e32 v27, v26, v27
	v_lshrrev_b32_e32 v27, s45, v27
	v_mul_lo_u32 v27, v27, s36
	v_sub_u32_e32 v26, v26, v27
	v_and_b32_e32 v27, 64, v214
	v_add_u32_e32 v27, 64, v27
	v_xor_b32_e32 v28, 32, v214
	v_cmp_lt_i32_e32 vcc, v28, v27
	s_add_i32 s14, s97, -1
	v_mov_b32_e32 v136, 0
	v_cndmask_b32_e32 v28, v214, v28, vcc
	v_lshlrev_b32_e32 v60, 2, v28
	v_xor_b32_e32 v28, 16, v214
	v_cmp_lt_i32_e32 vcc, v28, v27
	v_mov_b32_e32 v29, 0xfeffffff
	s_mov_b32 s15, s14
	v_cndmask_b32_e32 v27, v214, v28, vcc
	v_lshlrev_b32_e32 v217, 2, v27
	v_mad_i64_i32 v[26:27], s[10:11], s68, v26, v[128:129]
	v_lshl_add_u64 v[128:129], v[76:77], 0, v[26:27]
	v_lshl_add_u64 v[26:27], v[132:133], 0, v[134:135]
	;; [unrolled: 1-line block ×8, first 2 shown]
	v_mov_b32_e32 v28, 0
	v_mov_b32_e32 v137, 0
	;; [unrolled: 1-line block ×16, first 2 shown]
	s_and_saveexec_b64 s[10:11], s[4:5]
	s_cbranch_execz .LBB29_212
.LBB29_211:                             ;   in Loop: Header=BB29_10 Depth=1
	global_load_dword v30, v[128:129], off
	s_waitcnt vmcnt(0)
	ds_write_b32 v142, v30 offset:17408
.LBB29_212:                             ;   Parent Loop BB29_10 Depth=1
                                        ; =>  This Inner Loop Header: Depth=2
	s_or_b64 exec, exec, s[10:11]
	global_load_dwordx4 v[138:141], v[124:125], off
	v_add_u32_e32 v30, 0x2000, v145
	v_lshl_add_u64 v[32:33], v[126:127], 0, v[68:69]
	s_add_i32 s15, s15, -1
	v_lshl_add_u64 v[128:129], v[128:129], 0, s[74:75]
	v_lshl_add_u64 v[124:125], v[124:125], 0, s[72:73]
	;; [unrolled: 1-line block ×3, first 2 shown]
	s_cmp_lg_u32 s15, 0
	s_waitcnt vmcnt(0)
	ds_write_b128 v143, v[138:141]
	s_waitcnt lgkmcnt(0)
	s_barrier
	ds_read2_b64 v[138:141], v145 offset1:4
	s_waitcnt lgkmcnt(0)
	v_mfma_f32_16x16x16_f16 v[218:221], v[138:139], v[22:23], 0
	v_mfma_f32_16x16x16_f16 v[138:141], v[140:141], v[24:25], v[218:221]
	s_nop 6
	ds_read2_b64 v[218:221], v145 offset0:8 offset1:12
	s_waitcnt lgkmcnt(0)
	v_mfma_f32_16x16x16_f16 v[138:141], v[218:219], v[18:19], v[138:141]
	v_mfma_f32_16x16x16_f16 v[138:141], v[220:221], v[20:21], v[138:141]
	ds_read2_b64 v[218:221], v30 offset0:64 offset1:68
	s_waitcnt lgkmcnt(0)
	v_mfma_f32_16x16x16_f16 v[222:225], v[218:219], v[22:23], 0
	v_mfma_f32_16x16x16_f16 v[218:221], v[220:221], v[24:25], v[222:225]
	s_nop 6
	ds_read2_b64 v[222:225], v30 offset0:72 offset1:76
	s_waitcnt lgkmcnt(0)
	v_mfma_f32_16x16x16_f16 v[218:221], v[222:223], v[18:19], v[218:221]
	s_barrier
	v_mfma_f32_16x16x16_f16 v[218:221], v[224:225], v[20:21], v[218:221]
	global_load_dwordx4 v[222:225], v[32:33], off
	v_lshl_add_u64 v[32:33], v[134:135], 0, v[68:69]
	v_lshl_add_u64 v[134:135], v[134:135], 0, s[72:73]
	s_waitcnt vmcnt(0)
	ds_write_b128 v154, v[222:225]
	global_load_dwordx4 v[222:225], v[32:33], off
	s_waitcnt vmcnt(0)
	ds_write_b128 v189, v[222:225]
	s_waitcnt lgkmcnt(0)
	s_barrier
	ds_read2_b64 v[222:225], v145 offset1:4
	s_waitcnt lgkmcnt(0)
	v_mfma_f32_16x16x16_f16 v[138:141], v[222:223], v[14:15], v[138:141]
	v_mfma_f32_16x16x16_f16 v[138:141], v[224:225], v[16:17], v[138:141]
	ds_read2_b64 v[222:225], v145 offset0:8 offset1:12
	s_waitcnt lgkmcnt(0)
	v_mfma_f32_16x16x16_f16 v[138:141], v[222:223], v[10:11], v[138:141]
	v_mfma_f32_16x16x16_f16 v[138:141], v[224:225], v[12:13], v[138:141]
	ds_read2_b64 v[222:225], v145 offset0:16 offset1:20
	;; [unrolled: 4-line block ×7, first 2 shown]
	v_add_u32_e32 v30, 0x4400, v146
	s_waitcnt lgkmcnt(0)
	s_barrier
	ds_read2_b32 v[32:33], v30 offset1:1
	v_mfma_f32_16x16x16_f16 v[218:221], v[222:223], v[2:3], v[218:221]
	s_waitcnt lgkmcnt(0)
	v_cvt_f32_f16_e32 v37, v33
	v_cvt_f32_f16_sdwa v33, v33 dst_sel:DWORD dst_unused:UNUSED_PAD src0_sel:WORD_1
	v_cvt_f32_f16_e32 v30, v32
	v_mfma_f32_16x16x16_f16 v[218:221], v[224:225], v[4:5], v[218:221]
	v_cvt_f32_f16_sdwa v32, v32 dst_sel:DWORD dst_unused:UNUSED_PAD src0_sel:WORD_1
	v_add_f32_e32 v40, v141, v33
	ds_read_b32 v33, v155 offset:17408
	v_add_f32_e32 v30, v138, v30
	v_add_f32_e32 v32, v139, v32
	;; [unrolled: 1-line block ×4, first 2 shown]
	s_waitcnt lgkmcnt(0)
	v_cvt_f32_f16_e32 v41, v33
	v_cvt_f32_f16_sdwa v33, v33 dst_sel:DWORD dst_unused:UNUSED_PAD src0_sel:WORD_1
	v_add_f32_e32 v44, v218, v41
	v_add_f32_e32 v45, v219, v33
	ds_read_b32 v33, v156 offset:17408
	s_waitcnt lgkmcnt(0)
	v_cvt_f32_f16_e32 v41, v33
	v_cvt_f32_f16_sdwa v33, v33 dst_sel:DWORD dst_unused:UNUSED_PAD src0_sel:WORD_1
	v_add_f32_e32 v48, v220, v41
	v_add_f32_e32 v49, v221, v33
	;; [unrolled: 1-line block ×4, first 2 shown]
	v_max3_f32 v33, v29, v33, v41
	v_add_f32_e32 v41, 0x40051340, v37
	v_max3_f32 v33, v33, v41, v52
	v_add_f32_e32 v41, 0x40051340, v44
	v_add_f32_e32 v52, 0x40051340, v45
	v_max3_f32 v33, v33, v41, v52
	v_add_f32_e32 v41, 0x40051340, v48
	v_add_f32_e32 v52, 0x40051340, v49
	v_max3_f32 v33, v33, v41, v52
	ds_bpermute_b32 v41, v60, v33
	s_waitcnt lgkmcnt(0)
	v_max_f32_e32 v41, v41, v41
	v_max_f32_e32 v33, v33, v41
	ds_bpermute_b32 v41, v217, v33
	s_waitcnt lgkmcnt(0)
	v_max_f32_e32 v41, v41, v41
	v_max_f32_e32 v141, v33, v41
	v_sub_f32_e32 v30, v30, v141
	v_mul_f32_e32 v33, 0x3fb8aa3b, v30
	v_fma_f32 v41, v30, s47, -v33
	v_rndne_f32_e32 v52, v33
	v_fmac_f32_e32 v41, 0x32a5705f, v30
	v_sub_f32_e32 v33, v33, v52
	v_add_f32_e32 v33, v33, v41
	v_exp_f32_e32 v33, v33
	v_cvt_i32_f32_e32 v41, v52
	v_cmp_ngt_f32_e32 vcc, s69, v30
	v_sub_f32_e32 v32, v32, v141
	v_sub_f32_e32 v37, v37, v141
	v_ldexp_f32 v33, v33, v41
	v_cndmask_b32_e32 v33, 0, v33, vcc
	v_cmp_nlt_f32_e32 vcc, s93, v30
	v_sub_f32_e32 v40, v40, v141
	v_sub_f32_e32 v29, v29, v141
	v_cndmask_b32_e32 v30, v215, v33, vcc
	v_mul_f32_e32 v33, 0x3fb8aa3b, v32
	v_fma_f32 v41, v32, s47, -v33
	v_rndne_f32_e32 v52, v33
	v_fmac_f32_e32 v41, 0x32a5705f, v32
	v_sub_f32_e32 v33, v33, v52
	v_add_f32_e32 v33, v33, v41
	v_exp_f32_e32 v33, v33
	v_cvt_i32_f32_e32 v41, v52
	v_cmp_ngt_f32_e32 vcc, s69, v32
	v_ldexp_f32 v33, v33, v41
	v_mul_f32_e32 v41, 0x3fb8aa3b, v37
	v_fma_f32 v52, v37, s47, -v41
	v_rndne_f32_e32 v53, v41
	v_fmac_f32_e32 v52, 0x32a5705f, v37
	v_sub_f32_e32 v41, v41, v53
	v_add_f32_e32 v41, v41, v52
	v_exp_f32_e32 v41, v41
	v_cvt_i32_f32_e32 v52, v53
	v_cndmask_b32_e32 v33, 0, v33, vcc
	v_cmp_nlt_f32_e32 vcc, s93, v32
	v_ldexp_f32 v41, v41, v52
	s_nop 0
	v_cndmask_b32_e32 v33, v215, v33, vcc
	v_cmp_ngt_f32_e32 vcc, s69, v37
	v_add_f32_e32 v32, v30, v33
	v_cvt_pk_f16_f32 v138, v30, v33
	v_cndmask_b32_e32 v41, 0, v41, vcc
	v_cmp_nlt_f32_e32 vcc, s93, v37
	s_nop 1
	v_cndmask_b32_e32 v37, v215, v41, vcc
	v_mul_f32_e32 v41, 0x3fb8aa3b, v40
	v_fma_f32 v52, v40, s47, -v41
	v_rndne_f32_e32 v53, v41
	v_fmac_f32_e32 v52, 0x32a5705f, v40
	v_sub_f32_e32 v41, v41, v53
	v_add_f32_e32 v41, v41, v52
	v_exp_f32_e32 v41, v41
	v_cvt_i32_f32_e32 v52, v53
	v_cmp_ngt_f32_e32 vcc, s69, v40
	v_add_f32_e32 v32, v37, v32
	v_ldexp_f32 v41, v41, v52
	v_cndmask_b32_e32 v41, 0, v41, vcc
	v_cmp_nlt_f32_e32 vcc, s93, v40
	v_sub_f32_e32 v40, v44, v141
	v_mul_f32_e32 v44, 0x3fb8aa3b, v40
	v_fma_f32 v52, v40, s47, -v44
	v_rndne_f32_e32 v53, v44
	v_fmac_f32_e32 v52, 0x32a5705f, v40
	v_sub_f32_e32 v44, v44, v53
	v_add_f32_e32 v44, v44, v52
	v_exp_f32_e32 v44, v44
	v_cvt_i32_f32_e32 v52, v53
	v_cndmask_b32_e32 v41, v215, v41, vcc
	v_cmp_ngt_f32_e32 vcc, s69, v40
	v_add_f32_e32 v32, v41, v32
	v_ldexp_f32 v44, v44, v52
	v_cndmask_b32_e32 v44, 0, v44, vcc
	v_cmp_nlt_f32_e32 vcc, s93, v40
	v_cvt_pk_f16_f32 v139, v37, v41
	s_nop 0
	v_cndmask_b32_e32 v40, v215, v44, vcc
	v_sub_f32_e32 v44, v45, v141
	v_mul_f32_e32 v45, 0x3fb8aa3b, v44
	v_fma_f32 v52, v44, s47, -v45
	v_rndne_f32_e32 v53, v45
	v_fmac_f32_e32 v52, 0x32a5705f, v44
	v_sub_f32_e32 v45, v45, v53
	v_add_f32_e32 v45, v45, v52
	v_exp_f32_e32 v45, v45
	v_cvt_i32_f32_e32 v52, v53
	v_cmp_ngt_f32_e32 vcc, s69, v44
	v_add_f32_e32 v32, v40, v32
	v_ldexp_f32 v45, v45, v52
	v_cndmask_b32_e32 v45, 0, v45, vcc
	v_cmp_nlt_f32_e32 vcc, s93, v44
	s_nop 1
	v_cndmask_b32_e32 v44, v215, v45, vcc
	v_sub_f32_e32 v45, v48, v141
	v_mul_f32_e32 v48, 0x3fb8aa3b, v45
	v_fma_f32 v52, v45, s47, -v48
	v_rndne_f32_e32 v53, v48
	v_fmac_f32_e32 v52, 0x32a5705f, v45
	v_sub_f32_e32 v48, v48, v53
	v_add_f32_e32 v48, v48, v52
	v_exp_f32_e32 v48, v48
	v_cvt_i32_f32_e32 v52, v53
	v_cmp_ngt_f32_e32 vcc, s69, v45
	v_add_f32_e32 v32, v44, v32
	v_ldexp_f32 v48, v48, v52
	v_cndmask_b32_e32 v48, 0, v48, vcc
	v_cmp_nlt_f32_e32 vcc, s93, v45
	;; [unrolled: 16-line block ×3, first 2 shown]
	s_nop 1
	v_cndmask_b32_e32 v48, v215, v49, vcc
	v_add_f32_e32 v140, v48, v32
	v_mul_f32_e32 v32, 0x3fb8aa3b, v29
	v_fma_f32 v49, v29, s47, -v32
	v_rndne_f32_e32 v52, v32
	v_fmac_f32_e32 v49, 0x32a5705f, v29
	v_sub_f32_e32 v32, v32, v52
	v_add_f32_e32 v32, v32, v49
	v_exp_f32_e32 v32, v32
	v_cvt_i32_f32_e32 v49, v52
	v_cmp_ngt_f32_e32 vcc, s69, v29
	v_ldexp_f32 v32, v32, v49
	s_nop 0
	v_cndmask_b32_e32 v32, 0, v32, vcc
	v_cmp_nlt_f32_e32 vcc, s93, v29
	s_nop 1
	v_cndmask_b32_e32 v32, v215, v32, vcc
	v_cmp_le_f32_e32 vcc, s94, v29
	s_nop 1
	v_cndmask_b32_e32 v29, 0, v32, vcc
	v_fmac_f32_e32 v140, v28, v29
	v_cvt_f16_f32_e32 v28, v29
	v_mul_u32_u24_e32 v28, 0x10001, v28
	v_pk_mul_f16 v52, v27, v28
	v_pk_mul_f16 v49, v26, v28
	v_lshl_add_u64 v[26:27], v[130:131], 0, v[68:69]
	v_pk_mul_f16 v32, v36, v28
	v_pk_mul_f16 v31, v31, v28
	;; [unrolled: 1-line block ×14, first 2 shown]
	global_load_dwordx4 v[26:29], v[26:27], off
	v_lshl_add_u64 v[136:137], v[132:133], 0, v[68:69]
	v_cvt_f32_f16_e32 v222, v31
	v_cvt_f32_f16_sdwa v223, v31 dst_sel:DWORD dst_unused:UNUSED_PAD src0_sel:WORD_1
	v_cvt_f32_f16_e32 v220, v32
	v_cvt_f32_f16_sdwa v221, v32 dst_sel:DWORD dst_unused:UNUSED_PAD src0_sel:WORD_1
	v_lshl_add_u64 v[130:131], v[130:131], 0, s[70:71]
	v_lshl_add_u64 v[132:133], v[132:133], 0, s[70:71]
	s_waitcnt vmcnt(0)
	ds_write_b128 v154, v[26:29]
	global_load_dwordx4 v[26:29], v[136:137], off
	v_cvt_pk_f16_f32 v137, v45, v48
	v_cvt_pk_f16_f32 v136, v40, v44
	s_waitcnt vmcnt(0)
	ds_write_b128 v189, v[26:29]
	s_waitcnt lgkmcnt(0)
	s_barrier
	ds_read_u16 v36, v147 offset:272
	ds_read_u16 v53, v147 offset:544
	v_cvt_f32_f16_e32 v28, v49
	v_cvt_f32_f16_sdwa v29, v49 dst_sel:DWORD dst_unused:UNUSED_PAD src0_sel:WORD_1
	ds_read_u16 v49, v148
	ds_read_u16 v224, v148 offset:32
	v_cvt_f32_f16_e32 v26, v52
	v_cvt_f32_f16_sdwa v27, v52 dst_sel:DWORD dst_unused:UNUSED_PAD src0_sel:WORD_1
	s_waitcnt lgkmcnt(1)
	v_perm_b32 v53, v49, v53, s95
	ds_read_u16 v49, v147
	ds_read_u16 v225, v147 offset:32
	s_waitcnt lgkmcnt(1)
	v_perm_b32 v52, v36, v49, s95
	ds_read_u16 v30, v147 offset:8704
	ds_read_u16 v33, v147 offset:8976
	;; [unrolled: 1-line block ×4, first 2 shown]
	v_mfma_f32_16x16x16_f16 v[26:29], v[52:53], v[138:139], v[26:29]
	s_waitcnt lgkmcnt(0)
	v_perm_b32 v37, v37, v36, s95
	v_perm_b32 v36, v33, v30, s95
	ds_read_u16 v30, v147 offset:304
	ds_read_u16 v33, v147 offset:576
	s_nop 2
	v_cvt_f16_f32_e32 v26, v26
	v_cvt_f16_f32_e32 v27, v27
	;; [unrolled: 1-line block ×4, first 2 shown]
	s_waitcnt lgkmcnt(0)
	v_perm_b32 v31, v224, v33, s95
	v_perm_b32 v30, v30, v225, s95
	v_cvt_f32_f16_e32 v26, v26
	v_cvt_f32_f16_e32 v27, v27
	;; [unrolled: 1-line block ×4, first 2 shown]
	v_mfma_f32_16x16x16_f16 v[30:33], v[30:31], v[138:139], v[220:223]
	s_nop 0
	v_mfma_f32_16x16x16_f16 v[26:29], v[36:37], v[136:137], v[26:29]
	ds_read_u16 v36, v147 offset:8736
	ds_read_u16 v40, v147 offset:9008
	;; [unrolled: 1-line block ×4, first 2 shown]
	s_nop 1
	v_cvt_f16_f32_e32 v30, v30
	v_cvt_f16_f32_e32 v31, v31
	;; [unrolled: 1-line block ×4, first 2 shown]
	s_waitcnt lgkmcnt(0)
	v_perm_b32 v37, v41, v37, s95
	v_perm_b32 v36, v40, v36, s95
	v_cvt_f32_f16_e32 v30, v30
	v_cvt_f32_f16_e32 v31, v31
	;; [unrolled: 1-line block ×5, first 2 shown]
	v_cvt_f32_f16_sdwa v221, v35 dst_sel:DWORD dst_unused:UNUSED_PAD src0_sel:WORD_1
	v_mfma_f32_16x16x16_f16 v[30:33], v[36:37], v[136:137], v[30:33]
	ds_read_u16 v36, v147 offset:64
	ds_read_u16 v37, v147 offset:336
	;; [unrolled: 1-line block ×4, first 2 shown]
	v_cvt_f32_f16_e32 v222, v34
	v_cvt_f32_f16_sdwa v223, v34 dst_sel:DWORD dst_unused:UNUSED_PAD src0_sel:WORD_1
	s_waitcnt lgkmcnt(2)
	v_perm_b32 v34, v37, v36, s95
	v_cvt_pk_f16_f32 v27, v26, v27
	s_waitcnt lgkmcnt(0)
	v_perm_b32 v35, v41, v40, s95
	ds_read_u16 v40, v147 offset:8768
	ds_read_u16 v44, v147 offset:9040
	ds_read_u16 v41, v147 offset:9312
	ds_read_u16 v45, v148 offset:8768
	v_mfma_f32_16x16x16_f16 v[34:37], v[34:35], v[138:139], v[220:223]
	s_waitcnt lgkmcnt(0)
	v_perm_b32 v41, v45, v41, s95
	v_perm_b32 v40, v44, v40, s95
	v_cvt_f32_f16_e32 v220, v39
	s_nop 3
	v_cvt_f16_f32_e32 v34, v34
	v_cvt_f16_f32_e32 v35, v35
	v_cvt_f16_f32_e32 v36, v36
	v_cvt_f16_f32_e32 v37, v37
	v_cvt_f32_f16_e32 v34, v34
	v_cvt_f32_f16_e32 v35, v35
	v_cvt_f32_f16_e32 v36, v36
	v_cvt_f32_f16_e32 v37, v37
	v_cvt_f32_f16_sdwa v221, v39 dst_sel:DWORD dst_unused:UNUSED_PAD src0_sel:WORD_1
	v_cvt_f32_f16_e32 v222, v38
	v_mfma_f32_16x16x16_f16 v[34:37], v[40:41], v[136:137], v[34:37]
	ds_read_u16 v40, v147 offset:96
	ds_read_u16 v41, v147 offset:368
	ds_read_u16 v44, v147 offset:640
	ds_read_u16 v45, v148 offset:96
	v_cvt_f32_f16_sdwa v223, v38 dst_sel:DWORD dst_unused:UNUSED_PAD src0_sel:WORD_1
	v_cvt_pk_f16_f32 v26, v28, v29
	s_waitcnt lgkmcnt(2)
	v_perm_b32 v38, v41, v40, s95
	v_cvt_pk_f16_f32 v35, v34, v35
	s_waitcnt lgkmcnt(0)
	v_perm_b32 v39, v45, v44, s95
	ds_read_u16 v44, v147 offset:8800
	ds_read_u16 v48, v147 offset:9072
	ds_read_u16 v45, v147 offset:9344
	ds_read_u16 v49, v148 offset:8800
	v_mfma_f32_16x16x16_f16 v[38:41], v[38:39], v[138:139], v[220:223]
	s_waitcnt lgkmcnt(0)
	v_perm_b32 v45, v49, v45, s95
	v_perm_b32 v44, v48, v44, s95
	v_cvt_f32_f16_e32 v220, v43
	s_nop 3
	v_cvt_f16_f32_e32 v38, v38
	v_cvt_f16_f32_e32 v39, v39
	v_cvt_f16_f32_e32 v40, v40
	v_cvt_f16_f32_e32 v41, v41
	v_cvt_f32_f16_e32 v38, v38
	v_cvt_f32_f16_e32 v39, v39
	v_cvt_f32_f16_e32 v40, v40
	v_cvt_f32_f16_e32 v41, v41
	v_cvt_f32_f16_sdwa v221, v43 dst_sel:DWORD dst_unused:UNUSED_PAD src0_sel:WORD_1
	v_cvt_f32_f16_e32 v222, v42
	v_mfma_f32_16x16x16_f16 v[38:41], v[44:45], v[136:137], v[38:41]
	ds_read_u16 v44, v147 offset:128
	ds_read_u16 v45, v147 offset:400
	ds_read_u16 v48, v147 offset:672
	ds_read_u16 v49, v148 offset:128
	v_cvt_f32_f16_sdwa v223, v42 dst_sel:DWORD dst_unused:UNUSED_PAD src0_sel:WORD_1
	v_cvt_pk_f16_f32 v34, v36, v37
	;; [unrolled: 32-line block ×3, first 2 shown]
	s_waitcnt lgkmcnt(2)
	v_perm_b32 v46, v49, v48, s95
	v_cvt_pk_f16_f32 v43, v42, v43
	s_waitcnt lgkmcnt(0)
	v_perm_b32 v47, v53, v52, s95
	v_cvt_pk_f16_f32 v42, v44, v45
	v_cvt_pk_f16_f32 v36, v30, v31
	v_mfma_f32_16x16x16_f16 v[46:49], v[46:47], v[138:139], v[220:223]
	ds_read_u16 v52, v147 offset:8864
	s_nop 1
	ds_read_u16 v220, v147 offset:9136
	ds_read_u16 v53, v147 offset:9408
	;; [unrolled: 1-line block ×3, first 2 shown]
	v_cvt_f32_f16_e32 v222, v50
	v_cvt_f32_f16_sdwa v223, v50 dst_sel:DWORD dst_unused:UNUSED_PAD src0_sel:WORD_1
	v_cvt_f16_f32_e32 v46, v46
	v_cvt_f16_f32_e32 v47, v47
	;; [unrolled: 1-line block ×4, first 2 shown]
	s_waitcnt lgkmcnt(0)
	v_perm_b32 v53, v221, v53, s95
	v_perm_b32 v52, v220, v52, s95
	v_cvt_f32_f16_e32 v46, v46
	v_cvt_f32_f16_e32 v47, v47
	;; [unrolled: 1-line block ×5, first 2 shown]
	v_cvt_f32_f16_sdwa v221, v51 dst_sel:DWORD dst_unused:UNUSED_PAD src0_sel:WORD_1
	v_mfma_f32_16x16x16_f16 v[46:49], v[52:53], v[136:137], v[46:49]
	ds_read_u16 v52, v147 offset:192
	ds_read_u16 v53, v147 offset:464
	;; [unrolled: 1-line block ×4, first 2 shown]
	v_cvt_pk_f16_f32 v31, v32, v33
	s_waitcnt lgkmcnt(2)
	v_perm_b32 v50, v53, v52, s95
	s_nop 0
	v_cvt_pk_f16_f32 v47, v46, v47
	s_waitcnt lgkmcnt(0)
	v_perm_b32 v51, v225, v224, s95
	v_cvt_pk_f16_f32 v46, v48, v49
	s_nop 0
	v_mfma_f32_16x16x16_f16 v[50:53], v[50:51], v[138:139], v[220:223]
	s_nop 2
	ds_read_u16 v220, v147 offset:8896
	ds_read_u16 v222, v147 offset:9168
	;; [unrolled: 1-line block ×8, first 2 shown]
	v_cvt_f16_f32_e32 v50, v50
	v_cvt_f16_f32_e32 v51, v51
	;; [unrolled: 1-line block ×4, first 2 shown]
	s_waitcnt lgkmcnt(4)
	v_perm_b32 v221, v223, v221, s95
	v_perm_b32 v220, v222, v220, s95
	v_cvt_f32_f16_e32 v50, v50
	v_cvt_f32_f16_e32 v51, v51
	;; [unrolled: 1-line block ×5, first 2 shown]
	v_cvt_f32_f16_sdwa v223, v218 dst_sel:DWORD dst_unused:UNUSED_PAD src0_sel:WORD_1
	v_mfma_f32_16x16x16_f16 v[50:53], v[220:221], v[136:137], v[50:53]
	v_cvt_f32_f16_e32 v220, v219
	v_cvt_f32_f16_sdwa v221, v219 dst_sel:DWORD dst_unused:UNUSED_PAD src0_sel:WORD_1
	s_waitcnt lgkmcnt(0)
	v_perm_b32 v219, v227, v226, s95
	v_perm_b32 v218, v225, v224, s95
	s_nop 2
	v_cvt_pk_f16_f32 v51, v50, v51
	v_cvt_pk_f16_f32 v50, v52, v53
	v_mfma_f32_16x16x16_f16 v[218:221], v[218:219], v[138:139], v[220:223]
	s_nop 2
	ds_read_u16 v222, v147 offset:8928
	ds_read_u16 v223, v147 offset:9200
	;; [unrolled: 1-line block ×4, first 2 shown]
	s_waitcnt lgkmcnt(0)
	s_barrier
	v_cvt_f16_f32_e32 v138, v218
	v_cvt_f16_f32_e32 v139, v219
	;; [unrolled: 1-line block ×4, first 2 shown]
	v_cvt_f32_f16_e32 v218, v138
	v_cvt_f32_f16_e32 v219, v139
	v_perm_b32 v139, v225, v224, s95
	v_perm_b32 v138, v223, v222, s95
	v_cvt_f32_f16_e32 v220, v220
	v_cvt_f32_f16_e32 v221, v221
	s_nop 1
	v_mfma_f32_16x16x16_f16 v[136:139], v[138:139], v[136:137], v[218:221]
	s_nop 7
	v_cvt_pk_f16_f32 v136, v136, v137
	v_cvt_pk_f16_f32 v137, v138, v139
	s_cbranch_scc0 .LBB29_215
; %bb.213:                              ;   in Loop: Header=BB29_212 Depth=2
	v_mov_b32_e32 v28, v140
	v_mov_b32_e32 v29, v141
	s_and_saveexec_b64 s[10:11], s[4:5]
	s_cbranch_execnz .LBB29_211
	s_branch .LBB29_212
.LBB29_214:                             ;   in Loop: Header=BB29_10 Depth=1
	v_mov_b32_e32 v141, 0xfeffffff
	v_mov_b32_e32 v140, 0
	s_mov_b64 s[10:11], 0
	v_mov_b32_e32 v26, 0
	v_mov_b32_e32 v27, 0
	;; [unrolled: 1-line block ×16, first 2 shown]
	s_and_saveexec_b64 s[14:15], s[4:5]
	s_cbranch_execnz .LBB29_216
	s_branch .LBB29_217
.LBB29_215:                             ;   in Loop: Header=BB29_10 Depth=1
	s_lshl_b32 s62, s14, 6
	s_mov_b64 s[10:11], s[62:63]
	s_and_saveexec_b64 s[14:15], s[4:5]
	s_cbranch_execz .LBB29_217
.LBB29_216:                             ;   in Loop: Header=BB29_10 Depth=1
	v_or_b32_e32 v30, v216, v101
	v_mul_hi_u32 v32, s44, v30
	v_add_u32_e32 v32, v30, v32
	v_lshrrev_b32_e32 v32, s45, v32
	v_mul_lo_u32 v32, v32, s36
	s_lshl_b64 s[76:77], s[10:11], 1
	v_sub_u32_e32 v30, v30, v32
	v_lshl_add_u64 v[28:29], v[122:123], 0, s[76:77]
	v_mad_i64_i32 v[32:33], s[76:77], v30, s46, 0
	v_lshl_add_u64 v[28:29], v[32:33], 1, v[28:29]
	v_lshlrev_b32_e32 v60, 1, v56
	v_lshl_add_u64 v[28:29], v[28:29], 0, v[60:61]
	global_load_dword v28, v[28:29], off
	s_waitcnt vmcnt(0)
	ds_write_b32 v142, v28 offset:17408
.LBB29_217:                             ;   in Loop: Header=BB29_10 Depth=1
	s_or_b64 exec, exec, s[14:15]
	s_mul_i32 s11, s10, s39
	s_mul_hi_u32 s14, s10, s38
	s_add_i32 s15, s14, s11
	s_mul_i32 s14, s10, s38
	s_lshl_b64 s[14:15], s[14:15], 2
	v_lshl_add_u64 v[28:29], v[120:121], 0, s[14:15]
	v_lshl_add_u64 v[32:33], v[66:67], 2, v[28:29]
	v_lshlrev_b32_e32 v60, 2, v58
	v_lshl_add_u64 v[32:33], v[32:33], 0, v[60:61]
	global_load_dwordx4 v[120:123], v[32:33], off offset:256
	v_add_u32_e32 v30, 0x2000, v145
	v_lshl_add_u64 v[32:33], v[62:63], 2, v[28:29]
	v_lshlrev_b32_e32 v60, 2, v84
	v_lshl_add_u64 v[28:29], v[64:65], 2, v[28:29]
	v_lshl_add_u64 v[32:33], v[32:33], 0, v[60:61]
	;; [unrolled: 1-line block ×3, first 2 shown]
	s_mul_i32 s11, s10, s35
	s_mul_hi_u32 s14, s10, s34
	s_mul_i32 s10, s10, s34
	s_add_i32 s11, s14, s11
	s_lshl_b64 s[10:11], s[10:11], 2
	s_waitcnt vmcnt(0)
	ds_write_b128 v143, v[120:123]
	s_waitcnt lgkmcnt(0)
	s_barrier
	ds_read2_b64 v[120:123], v145 offset1:4
	ds_read2_b64 v[128:131], v30 offset0:64 offset1:68
	s_waitcnt lgkmcnt(1)
	v_mfma_f32_16x16x16_f16 v[124:127], v[120:121], v[22:23], 0
	v_mfma_f32_16x16x16_f16 v[120:123], v[122:123], v[24:25], v[124:127]
	s_nop 6
	ds_read2_b64 v[124:127], v145 offset0:8 offset1:12
	s_waitcnt lgkmcnt(1)
	v_mfma_f32_16x16x16_f16 v[132:135], v[128:129], v[22:23], 0
	s_waitcnt lgkmcnt(0)
	v_mfma_f32_16x16x16_f16 v[120:123], v[124:125], v[18:19], v[120:123]
	v_mfma_f32_16x16x16_f16 v[22:25], v[130:131], v[24:25], v[132:135]
	ds_read2_b64 v[128:131], v30 offset0:72 offset1:76
	s_waitcnt lgkmcnt(0)
	s_barrier
	v_mfma_f32_16x16x16_f16 v[120:123], v[126:127], v[20:21], v[120:123]
	global_load_dwordx4 v[124:127], v[32:33], off
	global_load_dwordx4 v[132:135], v[28:29], off
	v_add_u32_e32 v28, 0x4400, v146
	v_and_b32_e32 v29, 64, v214
	v_mfma_f32_16x16x16_f16 v[22:25], v[128:129], v[18:19], v[22:25]
	v_xor_b32_e32 v32, 32, v214
	v_add_u32_e32 v29, 64, v29
	v_xor_b32_e32 v33, 16, v214
	v_mfma_f32_16x16x16_f16 v[18:21], v[130:131], v[20:21], v[22:25]
	v_cmp_lt_i32_e32 vcc, v32, v29
	s_waitcnt vmcnt(1)
	ds_write_b128 v154, v[124:127]
	s_waitcnt vmcnt(0)
	ds_write_b128 v189, v[132:135]
	s_waitcnt lgkmcnt(0)
	s_barrier
	ds_read2_b64 v[22:25], v145 offset1:4
	ds_read2_b64 v[124:127], v30 offset0:64 offset1:68
	s_waitcnt lgkmcnt(1)
	v_mfma_f32_16x16x16_f16 v[120:123], v[22:23], v[14:15], v[120:123]
	v_cndmask_b32_e32 v32, v214, v32, vcc
	v_cmp_lt_i32_e32 vcc, v33, v29
	s_waitcnt lgkmcnt(0)
	v_mfma_f32_16x16x16_f16 v[18:21], v[124:125], v[14:15], v[18:21]
	v_cndmask_b32_e32 v29, v214, v33, vcc
	v_lshlrev_b32_e32 v33, 2, v32
	v_lshlrev_b32_e32 v32, 2, v29
	v_mfma_f32_16x16x16_f16 v[22:25], v[24:25], v[16:17], v[120:123]
	v_mfma_f32_16x16x16_f16 v[14:17], v[126:127], v[16:17], v[18:21]
	s_nop 1
	ds_read2_b64 v[120:123], v30 offset0:72 offset1:76
	ds_read2_b64 v[124:127], v145 offset0:16 offset1:20
	;; [unrolled: 1-line block ×3, first 2 shown]
	s_waitcnt lgkmcnt(0)
	v_mfma_f32_16x16x16_f16 v[22:25], v[18:19], v[10:11], v[22:25]
	v_mfma_f32_16x16x16_f16 v[18:21], v[20:21], v[12:13], v[22:25]
	s_nop 6
	ds_read2_b64 v[22:25], v30 offset0:80 offset1:84
	v_mfma_f32_16x16x16_f16 v[14:17], v[120:121], v[10:11], v[14:17]
	v_mfma_f32_16x16x16_f16 v[10:13], v[122:123], v[12:13], v[14:17]
	ds_read2_b64 v[120:123], v30 offset0:88 offset1:92
	v_mfma_f32_16x16x16_f16 v[14:17], v[124:125], v[6:7], v[18:21]
	s_nop 2
	ds_read2_b64 v[18:21], v145 offset0:24 offset1:28
	s_waitcnt lgkmcnt(2)
	v_mfma_f32_16x16x16_f16 v[10:13], v[22:23], v[6:7], v[10:13]
	s_waitcnt lgkmcnt(0)
	s_barrier
	v_mfma_f32_16x16x16_f16 v[14:17], v[126:127], v[8:9], v[14:17]
	ds_read2_b32 v[22:23], v28 offset1:1
	v_mfma_f32_16x16x16_f16 v[6:9], v[24:25], v[8:9], v[10:13]
	v_mfma_f32_16x16x16_f16 v[10:13], v[18:19], v[2:3], v[14:17]
	s_nop 4
	ds_read_b32 v14, v155 offset:17408
	ds_read_b32 v15, v156 offset:17408
	s_waitcnt lgkmcnt(2)
	v_cvt_f32_f16_e32 v16, v22
	v_cvt_f32_f16_sdwa v17, v22 dst_sel:DWORD dst_unused:UNUSED_PAD src0_sel:WORD_1
	v_mfma_f32_16x16x16_f16 v[6:9], v[120:121], v[2:3], v[6:9]
	v_cvt_f32_f16_e32 v18, v23
	v_cvt_f32_f16_sdwa v19, v23 dst_sel:DWORD dst_unused:UNUSED_PAD src0_sel:WORD_1
	s_waitcnt lgkmcnt(1)
	v_cvt_f32_f16_e32 v22, v14
	v_mfma_f32_16x16x16_f16 v[10:13], v[20:21], v[4:5], v[10:13]
	v_cvt_f32_f16_sdwa v14, v14 dst_sel:DWORD dst_unused:UNUSED_PAD src0_sel:WORD_1
	s_waitcnt lgkmcnt(0)
	v_cvt_f32_f16_e32 v20, v15
	v_cvt_f32_f16_sdwa v15, v15 dst_sel:DWORD dst_unused:UNUSED_PAD src0_sel:WORD_1
	v_mfma_f32_16x16x16_f16 v[2:5], v[122:123], v[4:5], v[6:9]
	s_nop 2
	v_add_f32_e32 v10, v10, v16
	v_add_f32_e32 v11, v11, v17
	;; [unrolled: 1-line block ×4, first 2 shown]
	s_nop 0
	v_add_f32_e32 v16, v2, v22
	v_add_f32_e32 v14, v3, v14
	;; [unrolled: 1-line block ×8, first 2 shown]
	v_max3_f32 v2, v141, v2, v3
	v_add_f32_e32 v6, 0x40051340, v16
	v_add_f32_e32 v7, 0x40051340, v14
	v_max3_f32 v2, v2, v4, v5
	v_add_f32_e32 v8, 0x40051340, v17
	v_add_f32_e32 v9, 0x40051340, v15
	v_max3_f32 v2, v2, v6, v7
	v_max3_f32 v6, v2, v8, v9
	ds_bpermute_b32 v7, v33, v6
	v_lshl_add_u64 v[2:3], v[118:119], 0, s[10:11]
	v_lshl_add_u64 v[4:5], v[70:71], 2, v[2:3]
	;; [unrolled: 1-line block ×4, first 2 shown]
	s_waitcnt lgkmcnt(0)
	v_max_f32_e32 v7, v7, v7
	v_max_f32_e32 v18, v6, v7
	v_lshl_add_u64 v[6:7], v[2:3], 0, v[60:61]
	global_load_dwordx4 v[2:5], v[4:5], off
	s_nop 0
	global_load_dwordx4 v[6:9], v[6:7], off
	ds_bpermute_b32 v19, v32, v18
	s_waitcnt vmcnt(1)
	ds_write_b128 v154, v[2:5]
	s_waitcnt vmcnt(0)
	ds_write_b128 v189, v[6:9]
	s_waitcnt lgkmcnt(2)
	v_max_f32_e32 v19, v19, v19
	v_max_f32_e32 v30, v18, v19
	v_sub_f32_e32 v10, v10, v30
	v_sub_f32_e32 v11, v11, v30
	v_mul_f32_e32 v19, 0x3fb8aa3b, v10
	v_sub_f32_e32 v12, v12, v30
	v_mul_f32_e32 v20, 0x3fb8aa3b, v11
	v_fma_f32 v37, v10, s47, -v19
	v_rndne_f32_e32 v40, v19
	v_sub_f32_e32 v13, v13, v30
	v_mul_f32_e32 v21, 0x3fb8aa3b, v12
	v_fma_f32 v41, v11, s47, -v20
	v_rndne_f32_e32 v44, v20
	v_fmac_f32_e32 v37, 0x32a5705f, v10
	v_sub_f32_e32 v19, v19, v40
	v_sub_f32_e32 v16, v16, v30
	v_mul_f32_e32 v22, 0x3fb8aa3b, v13
	v_fma_f32 v45, v12, s47, -v21
	v_rndne_f32_e32 v48, v21
	v_fmac_f32_e32 v41, 0x32a5705f, v11
	v_sub_f32_e32 v20, v20, v44
	v_add_f32_e32 v19, v19, v37
	v_sub_f32_e32 v14, v14, v30
	v_mul_f32_e32 v23, 0x3fb8aa3b, v16
	v_fma_f32 v49, v13, s47, -v22
	v_rndne_f32_e32 v52, v22
	v_cvt_i32_f32_e32 v40, v40
	v_fmac_f32_e32 v45, 0x32a5705f, v12
	v_sub_f32_e32 v21, v21, v48
	v_add_f32_e32 v20, v20, v41
	v_exp_f32_e32 v19, v19
	v_sub_f32_e32 v17, v17, v30
	v_mul_f32_e32 v24, 0x3fb8aa3b, v14
	v_fma_f32 v53, v16, s47, -v23
	v_rndne_f32_e32 v60, v23
	v_cvt_i32_f32_e32 v44, v44
	v_fmac_f32_e32 v49, 0x32a5705f, v13
	v_sub_f32_e32 v22, v22, v52
	v_add_f32_e32 v21, v21, v45
	v_exp_f32_e32 v20, v20
	v_mul_f32_e32 v25, 0x3fb8aa3b, v17
	v_fma_f32 v118, v14, s47, -v24
	v_rndne_f32_e32 v119, v24
	v_cvt_i32_f32_e32 v48, v48
	v_fmac_f32_e32 v53, 0x32a5705f, v16
	v_sub_f32_e32 v23, v23, v60
	v_add_f32_e32 v22, v22, v49
	v_exp_f32_e32 v21, v21
	v_fma_f32 v120, v17, s47, -v25
	v_rndne_f32_e32 v121, v25
	v_cvt_i32_f32_e32 v52, v52
	v_fmac_f32_e32 v118, 0x32a5705f, v14
	v_sub_f32_e32 v24, v24, v119
	v_add_f32_e32 v23, v23, v53
	v_exp_f32_e32 v22, v22
	v_cvt_i32_f32_e32 v60, v60
	v_fmac_f32_e32 v120, 0x32a5705f, v17
	v_sub_f32_e32 v25, v25, v121
	v_add_f32_e32 v24, v24, v118
	v_exp_f32_e32 v23, v23
	v_ldexp_f32 v19, v19, v40
	v_cmp_ngt_f32_e32 vcc, s69, v10
	v_cvt_i32_f32_e32 v119, v119
	v_add_f32_e32 v25, v25, v120
	v_exp_f32_e32 v24, v24
	v_ldexp_f32 v20, v20, v44
	v_cndmask_b32_e32 v19, 0, v19, vcc
	v_cmp_ngt_f32_e32 vcc, s69, v11
	v_cvt_i32_f32_e32 v121, v121
	v_exp_f32_e32 v25, v25
	v_ldexp_f32 v21, v21, v48
	v_cndmask_b32_e32 v20, 0, v20, vcc
	v_cmp_ngt_f32_e32 vcc, s69, v12
	v_ldexp_f32 v22, v22, v52
	v_ldexp_f32 v23, v23, v60
	v_cndmask_b32_e32 v21, 0, v21, vcc
	v_cmp_ngt_f32_e32 vcc, s69, v13
	v_ldexp_f32 v24, v24, v119
	v_sub_f32_e32 v15, v15, v30
	v_cndmask_b32_e32 v22, 0, v22, vcc
	v_cmp_ngt_f32_e32 vcc, s69, v16
	v_ldexp_f32 v25, v25, v121
	v_sub_f32_e32 v18, v141, v30
	v_cndmask_b32_e32 v23, 0, v23, vcc
	v_cmp_ngt_f32_e32 vcc, s69, v14
	v_mul_f32_e32 v28, 0x3fb8aa3b, v15
	v_mul_f32_e32 v29, 0x3fb8aa3b, v18
	v_cndmask_b32_e32 v24, 0, v24, vcc
	v_cmp_ngt_f32_e32 vcc, s69, v17
	v_fma_f32 v122, v15, s47, -v28
	v_rndne_f32_e32 v123, v28
	v_cndmask_b32_e32 v25, 0, v25, vcc
	v_cmp_nlt_f32_e32 vcc, s93, v10
	v_fma_f32 v124, v18, s47, -v29
	v_fmac_f32_e32 v122, 0x32a5705f, v15
	v_cndmask_b32_e32 v10, v215, v19, vcc
	v_cmp_nlt_f32_e32 vcc, s93, v11
	v_sub_f32_e32 v28, v28, v123
	v_add_f32_e32 v28, v28, v122
	v_cndmask_b32_e32 v11, v215, v20, vcc
	v_cmp_nlt_f32_e32 vcc, s93, v12
	v_rndne_f32_e32 v20, v29
	v_fmac_f32_e32 v124, 0x32a5705f, v18
	v_cndmask_b32_e32 v12, v215, v21, vcc
	v_sub_f32_e32 v21, v29, v20
	v_cvt_i32_f32_e32 v123, v123
	v_exp_f32_e32 v28, v28
	v_cmp_nlt_f32_e32 vcc, s93, v13
	v_add_f32_e32 v21, v21, v124
	v_exp_f32_e32 v21, v21
	v_cndmask_b32_e32 v13, v215, v22, vcc
	v_cmp_nlt_f32_e32 vcc, s93, v16
	v_cvt_i32_f32_e32 v20, v20
	v_ldexp_f32 v22, v28, v123
	v_cndmask_b32_e32 v16, v215, v23, vcc
	v_cmp_nlt_f32_e32 vcc, s93, v14
	v_ldexp_f32 v20, v21, v20
	v_add_f32_e32 v19, v10, v11
	v_cndmask_b32_e32 v14, v215, v24, vcc
	v_cmp_nlt_f32_e32 vcc, s93, v17
	v_add_f32_e32 v19, v12, v19
	v_add_f32_e32 v19, v13, v19
	v_cndmask_b32_e32 v17, v215, v25, vcc
	v_cmp_ngt_f32_e32 vcc, s69, v15
	v_add_f32_e32 v19, v16, v19
	v_add_f32_e32 v19, v14, v19
	v_cndmask_b32_e32 v22, 0, v22, vcc
	v_cmp_ngt_f32_e32 vcc, s69, v18
	v_add_f32_e32 v19, v17, v19
	s_waitcnt lgkmcnt(0)
	v_cndmask_b32_e32 v20, 0, v20, vcc
	v_cmp_nlt_f32_e32 vcc, s93, v18
	s_barrier
	s_nop 0
	v_cndmask_b32_e32 v20, v215, v20, vcc
	v_cmp_le_f32_e32 vcc, s94, v18
	s_nop 1
	v_cndmask_b32_e32 v18, 0, v20, vcc
	v_cvt_f16_f32_e32 v20, v18
	v_cmp_nlt_f32_e32 vcc, s93, v15
	s_nop 1
	v_cndmask_b32_e32 v15, v215, v22, vcc
	v_add_f32_e32 v37, v15, v19
	v_fmac_f32_e32 v37, v140, v18
	v_mul_u32_u24_e32 v18, 0x10001, v20
	v_pk_mul_f16 v19, v27, v18
	v_pk_mul_f16 v20, v26, v18
	;; [unrolled: 1-line block ×4, first 2 shown]
	v_cvt_f32_f16_e32 v2, v19
	v_cvt_f32_f16_sdwa v3, v19 dst_sel:DWORD dst_unused:UNUSED_PAD src0_sel:WORD_1
	ds_read_u16 v5, v147 offset:544
	ds_read_u16 v9, v147 offset:576
	;; [unrolled: 1-line block ×8, first 2 shown]
	ds_read_u16 v6, v148
	ds_read_u16 v29, v148 offset:32
	ds_read_u16 v40, v148 offset:64
	;; [unrolled: 1-line block ×7, first 2 shown]
	s_waitcnt lgkmcnt(7)
	v_perm_b32 v7, v6, v5, s95
	ds_read_u16 v5, v147
	ds_read_u16 v52, v147 offset:32
	ds_read_u16 v53, v147 offset:64
	;; [unrolled: 1-line block ×15, first 2 shown]
	s_waitcnt lgkmcnt(7)
	v_perm_b32 v6, v6, v5, s95
	v_cvt_f32_f16_e32 v4, v20
	v_cvt_f32_f16_sdwa v5, v20 dst_sel:DWORD dst_unused:UNUSED_PAD src0_sel:WORD_1
	v_pk_mul_f16 v23, v35, v18
	v_pk_mul_f16 v24, v34, v18
	v_cvt_pk_f16_f32 v35, v12, v13
	v_cvt_pk_f16_f32 v34, v10, v11
	v_pk_mul_f16 v25, v39, v18
	v_pk_mul_f16 v20, v38, v18
	v_mfma_f32_16x16x16_f16 v[2:5], v[6:7], v[34:35], v[2:5]
	ds_read_u16 v6, v147 offset:9248
	ds_read_u16 v12, v147 offset:9280
	;; [unrolled: 1-line block ×16, first 2 shown]
	s_waitcnt lgkmcnt(7)
	v_perm_b32 v7, v7, v6, s95
	ds_read_u16 v6, v147 offset:8704
	ds_read_u16 v218, v147 offset:8736
	;; [unrolled: 1-line block ×16, first 2 shown]
	v_cvt_f16_f32_e32 v2, v2
	v_cvt_f16_f32_e32 v3, v3
	;; [unrolled: 1-line block ×4, first 2 shown]
	s_waitcnt lgkmcnt(7)
	v_perm_b32 v6, v8, v6, s95
	v_cvt_f32_f16_e32 v2, v2
	v_cvt_f32_f16_e32 v3, v3
	;; [unrolled: 1-line block ×4, first 2 shown]
	v_cvt_pk_f16_f32 v39, v17, v15
	v_cvt_pk_f16_f32 v38, v16, v14
	v_perm_b32 v11, v29, v9, s95
	v_perm_b32 v10, v122, v52, s95
	v_mfma_f32_16x16x16_f16 v[2:5], v[6:7], v[38:39], v[2:5]
	v_cvt_f32_f16_e32 v6, v21
	v_cvt_f32_f16_sdwa v7, v21 dst_sel:DWORD dst_unused:UNUSED_PAD src0_sel:WORD_1
	v_cvt_f32_f16_e32 v8, v22
	v_cvt_f32_f16_sdwa v9, v22 dst_sel:DWORD dst_unused:UNUSED_PAD src0_sel:WORD_1
	v_perm_b32 v15, v40, v19, s95
	v_perm_b32 v14, v123, v53, s95
	v_mfma_f32_16x16x16_f16 v[6:9], v[10:11], v[34:35], v[6:9]
	v_perm_b32 v11, v13, v12, s95
	s_waitcnt lgkmcnt(6)
	v_perm_b32 v10, v225, v218, s95
	v_cvt_f32_f16_e32 v12, v24
	v_cvt_f32_f16_sdwa v13, v24 dst_sel:DWORD dst_unused:UNUSED_PAD src0_sel:WORD_1
	s_nop 2
	v_cvt_f16_f32_e32 v6, v6
	v_cvt_f16_f32_e32 v7, v7
	v_cvt_f16_f32_e32 v8, v8
	v_cvt_f16_f32_e32 v9, v9
	v_cvt_f32_f16_e32 v6, v6
	v_cvt_f32_f16_e32 v7, v7
	;; [unrolled: 1-line block ×4, first 2 shown]
	v_pk_mul_f16 v43, v43, v18
	v_pk_mul_f16 v21, v42, v18
	v_mfma_f32_16x16x16_f16 v[6:9], v[10:11], v[38:39], v[6:9]
	v_cvt_f32_f16_e32 v10, v23
	v_cvt_f32_f16_sdwa v11, v23 dst_sel:DWORD dst_unused:UNUSED_PAD src0_sel:WORD_1
	v_pk_mul_f16 v29, v47, v18
	v_pk_mul_f16 v42, v46, v18
	v_mfma_f32_16x16x16_f16 v[10:13], v[14:15], v[34:35], v[10:13]
	v_perm_b32 v15, v135, v129, s95
	s_waitcnt lgkmcnt(5)
	v_perm_b32 v14, v226, v219, s95
	v_pk_mul_f16 v46, v51, v18
	v_pk_mul_f16 v47, v50, v18
	s_nop 2
	v_cvt_f16_f32_e32 v10, v10
	v_cvt_f16_f32_e32 v11, v11
	;; [unrolled: 1-line block ×4, first 2 shown]
	v_cvt_f32_f16_e32 v10, v10
	v_cvt_f32_f16_e32 v11, v11
	v_cvt_f32_f16_e32 v12, v12
	v_cvt_f32_f16_e32 v13, v13
	v_pk_mul_f16 v50, v136, v18
	v_pk_mul_f16 v40, v137, v18
	v_perm_b32 v19, v41, v26, s95
	v_perm_b32 v18, v124, v60, s95
	v_mfma_f32_16x16x16_f16 v[10:13], v[14:15], v[38:39], v[10:13]
	v_cvt_f32_f16_e32 v14, v25
	v_cvt_f32_f16_sdwa v15, v25 dst_sel:DWORD dst_unused:UNUSED_PAD src0_sel:WORD_1
	v_cvt_f32_f16_e32 v16, v20
	v_cvt_f32_f16_sdwa v17, v20 dst_sel:DWORD dst_unused:UNUSED_PAD src0_sel:WORD_1
	v_cvt_f16_f32_e32 v4, v4
	v_cvt_f16_f32_e32 v5, v5
	v_mfma_f32_16x16x16_f16 v[14:17], v[18:19], v[34:35], v[14:17]
	v_cvt_f16_f32_e32 v20, v9
	v_perm_b32 v4, v5, v4, s95
	v_cvt_f16_f32_e32 v5, v8
	v_cvt_f32_f16_e32 v18, v43
	s_nop 3
	v_cvt_f16_f32_e32 v8, v14
	v_cvt_f16_f32_e32 v9, v15
	;; [unrolled: 1-line block ×4, first 2 shown]
	v_cvt_f32_f16_e32 v14, v8
	v_cvt_f32_f16_e32 v15, v9
	v_perm_b32 v9, v138, v130, s95
	s_waitcnt lgkmcnt(4)
	v_perm_b32 v8, v227, v220, s95
	v_cvt_f32_f16_e32 v16, v16
	v_cvt_f32_f16_e32 v17, v17
	v_perm_b32 v5, v20, v5, s95
	v_cvt_f32_f16_sdwa v19, v43 dst_sel:DWORD dst_unused:UNUSED_PAD src0_sel:WORD_1
	v_mfma_f32_16x16x16_f16 v[14:17], v[8:9], v[38:39], v[14:17]
	v_perm_b32 v9, v44, v27, s95
	v_perm_b32 v8, v125, v118, s95
	v_cvt_f32_f16_e32 v20, v21
	v_cvt_f32_f16_sdwa v21, v21 dst_sel:DWORD dst_unused:UNUSED_PAD src0_sel:WORD_1
	v_cvt_f16_f32_e32 v22, v12
	v_cvt_f16_f32_e32 v23, v13
	v_mfma_f32_16x16x16_f16 v[18:21], v[8:9], v[34:35], v[18:21]
	v_perm_b32 v13, v139, v131, s95
	v_cvt_f16_f32_e32 v24, v17
	v_cvt_f32_f16_sdwa v17, v29 dst_sel:DWORD dst_unused:UNUSED_PAD src0_sel:WORD_1
	v_cvt_f16_f32_e32 v51, v2
	s_nop 3
	v_cvt_f16_f32_e32 v12, v20
	v_cvt_f16_f32_e32 v8, v18
	;; [unrolled: 1-line block ×4, first 2 shown]
	v_cvt_f32_f16_e32 v20, v12
	s_waitcnt lgkmcnt(3)
	v_perm_b32 v12, v228, v221, s95
	v_cvt_f32_f16_e32 v18, v8
	v_cvt_f32_f16_e32 v19, v9
	;; [unrolled: 1-line block ×3, first 2 shown]
	v_perm_b32 v8, v23, v22, s95
	v_cvt_f16_f32_e32 v9, v16
	v_mfma_f32_16x16x16_f16 v[20:23], v[12:13], v[38:39], v[18:21]
	v_perm_b32 v13, v45, v28, s95
	v_perm_b32 v12, v126, v119, s95
	v_cvt_f32_f16_e32 v16, v29
	v_cvt_f32_f16_e32 v18, v42
	v_cvt_f32_f16_sdwa v19, v42 dst_sel:DWORD dst_unused:UNUSED_PAD src0_sel:WORD_1
	v_perm_b32 v9, v24, v9, s95
	s_nop 1
	v_cvt_f16_f32_e32 v24, v22
	v_mfma_f32_16x16x16_f16 v[16:19], v[12:13], v[34:35], v[16:19]
	v_cvt_f16_f32_e32 v25, v23
	v_perm_b32 v23, v48, v31, s95
	v_perm_b32 v22, v127, v120, s95
	v_cvt_f16_f32_e32 v52, v3
	s_nop 3
	v_cvt_f16_f32_e32 v12, v16
	v_cvt_f16_f32_e32 v13, v17
	;; [unrolled: 1-line block ×4, first 2 shown]
	v_cvt_f32_f16_e32 v16, v12
	v_cvt_f32_f16_e32 v17, v13
	v_perm_b32 v13, v140, v132, s95
	s_waitcnt lgkmcnt(2)
	v_perm_b32 v12, v229, v222, s95
	v_cvt_f32_f16_e32 v18, v18
	v_cvt_f32_f16_e32 v19, v19
	v_cvt_f16_f32_e32 v41, v6
	v_cvt_f16_f32_e32 v53, v7
	v_mfma_f32_16x16x16_f16 v[26:29], v[12:13], v[38:39], v[16:19]
	v_perm_b32 v12, v25, v24, s95
	v_cvt_f32_f16_e32 v24, v40
	s_nop 0
	v_cvt_f32_f16_e32 v16, v46
	v_cvt_f32_f16_sdwa v17, v46 dst_sel:DWORD dst_unused:UNUSED_PAD src0_sel:WORD_1
	v_cvt_f32_f16_e32 v18, v47
	v_cvt_f32_f16_sdwa v19, v47 dst_sel:DWORD dst_unused:UNUSED_PAD src0_sel:WORD_1
	s_nop 0
	v_cvt_f16_f32_e32 v31, v29
	v_perm_b32 v29, v49, v36, s95
	v_mfma_f32_16x16x16_f16 v[16:19], v[22:23], v[34:35], v[16:19]
	v_perm_b32 v23, v141, v133, s95
	s_waitcnt lgkmcnt(1)
	v_perm_b32 v22, v230, v223, s95
	v_cvt_f32_f16_sdwa v25, v40 dst_sel:DWORD dst_unused:UNUSED_PAD src0_sel:WORD_1
	v_cvt_f16_f32_e32 v60, v10
	s_nop 2
	v_cvt_f16_f32_e32 v13, v16
	v_cvt_f16_f32_e32 v17, v17
	;; [unrolled: 1-line block ×4, first 2 shown]
	v_cvt_f32_f16_e32 v16, v13
	v_cvt_f32_f16_e32 v17, v17
	;; [unrolled: 1-line block ×4, first 2 shown]
	v_cvt_f16_f32_e32 v13, v28
	v_perm_b32 v28, v128, v121, s95
	v_mfma_f32_16x16x16_f16 v[16:19], v[22:23], v[38:39], v[16:19]
	v_cvt_f32_f16_e32 v22, v50
	v_cvt_f32_f16_sdwa v23, v50 dst_sel:DWORD dst_unused:UNUSED_PAD src0_sel:WORD_1
	v_perm_b32 v13, v31, v13, s95
	v_cvt_f16_f32_e32 v43, v11
	v_mfma_f32_16x16x16_f16 v[22:25], v[28:29], v[34:35], v[22:25]
	s_nop 2
	v_cvt_f16_f32_e32 v18, v18
	v_cvt_f16_f32_e32 v19, v19
	v_perm_b32 v29, v217, v134, s95
	s_waitcnt lgkmcnt(0)
	v_perm_b32 v28, v231, v224, s95
	v_cvt_f16_f32_e32 v22, v22
	v_cvt_f16_f32_e32 v23, v23
	v_cvt_f16_f32_e32 v24, v24
	v_cvt_f16_f32_e32 v25, v25
	v_cvt_f32_f16_e32 v22, v22
	v_cvt_f32_f16_e32 v23, v23
	;; [unrolled: 1-line block ×4, first 2 shown]
	v_perm_b32 v18, v19, v18, s95
	ds_bpermute_b32 v19, v33, v37
	v_mfma_f32_16x16x16_f16 v[22:25], v[28:29], v[38:39], v[22:25]
	v_cvt_f16_f32_e32 v42, v14
	v_cvt_f16_f32_e32 v44, v15
	s_waitcnt lgkmcnt(0)
	v_add_f32_e32 v31, v37, v19
	ds_bpermute_b32 v33, v32, v31
	v_cvt_f16_f32_e32 v45, v20
	v_cvt_f16_f32_e32 v46, v21
	;; [unrolled: 1-line block ×10, first 2 shown]
	v_cmp_ne_u64_e32 vcc, 0, v[116:117]
	s_waitcnt lgkmcnt(0)
	v_add_f32_e32 v31, v31, v33
	v_perm_b32 v19, v25, v24, s95
	s_and_b64 s[14:15], s[0:1], vcc
	v_perm_b32 v24, v29, v28, s95
	v_perm_b32 v25, v35, v34, s95
	;; [unrolled: 1-line block ×8, first 2 shown]
	s_barrier
	s_and_saveexec_b64 s[10:11], s[14:15]
	s_cbranch_execz .LBB29_219
; %bb.218:                              ;   in Loop: Header=BB29_10 Depth=1
	v_lshlrev_b32_e32 v24, 2, v78
	v_readfirstlane_b32 s14, v116
	v_readfirstlane_b32 s15, v117
	v_cvt_pk_f16_f32 v25, v2, v3
	v_max_f32_e32 v2, v30, v30
	v_cvt_pk_f16_f32 v6, v6, v7
	v_cvt_pk_f16_f32 v7, v10, v11
	;; [unrolled: 1-line block ×3, first 2 shown]
	global_load_dword v24, v24, s[14:15]
	v_cvt_pk_f16_f32 v11, v20, v21
	v_cvt_pk_f16_f32 v14, v26, v27
	;; [unrolled: 1-line block ×4, first 2 shown]
	s_waitcnt vmcnt(0)
	v_max_f32_e32 v3, v24, v24
	v_max_f32_e32 v2, v2, v3
	v_sub_f32_e32 v3, v30, v2
	v_sub_f32_e32 v15, v24, v2
	v_mul_f32_e32 v20, 0x3fb8aa3b, v3
	v_mul_f32_e32 v21, 0x3fb8aa3b, v15
	v_fma_f32 v24, v3, s47, -v20
	v_rndne_f32_e32 v26, v20
	v_fma_f32 v27, v15, s47, -v21
	v_rndne_f32_e32 v28, v21
	v_fmac_f32_e32 v24, 0x32a5705f, v3
	v_sub_f32_e32 v20, v20, v26
	v_fmac_f32_e32 v27, 0x32a5705f, v15
	v_sub_f32_e32 v21, v21, v28
	v_add_f32_e32 v20, v20, v24
	v_cvt_i32_f32_e32 v26, v26
	v_add_f32_e32 v21, v21, v27
	v_exp_f32_e32 v20, v20
	v_cvt_i32_f32_e32 v28, v28
	v_exp_f32_e32 v21, v21
	v_cmp_ngt_f32_e32 vcc, s69, v3
	v_ldexp_f32 v20, v20, v26
	v_ldexp_f32 v21, v21, v28
	v_cndmask_b32_e32 v20, 0, v20, vcc
	v_cmp_ngt_f32_e32 vcc, s69, v15
	s_nop 1
	v_cndmask_b32_e32 v21, 0, v21, vcc
	v_cmp_nlt_f32_e32 vcc, s93, v3
	s_nop 1
	v_cndmask_b32_e32 v20, v215, v20, vcc
	v_cmp_le_f32_e32 vcc, s94, v3
	s_nop 1
	v_cndmask_b32_e32 v20, 0, v20, vcc
	v_cvt_f16_f32_e32 v22, v20
	v_cmp_nlt_f32_e32 vcc, s93, v15
	v_mul_u32_u24_e32 v15, 0x10001, v22
	s_nop 0
	v_cndmask_b32_e32 v3, v215, v21, vcc
	v_fmac_f32_e32 v3, v31, v20
	v_pk_mul_f16 v36, v25, v15
	v_pk_mul_f16 v4, v4, v15
	;; [unrolled: 1-line block ×16, first 2 shown]
	v_mov_b64_e32 v[30:31], v[2:3]
.LBB29_219:                             ;   in Loop: Header=BB29_10 Depth=1
	s_or_b64 exec, exec, s[10:11]
	s_and_saveexec_b64 s[10:11], s[6:7]
; %bb.220:                              ;   in Loop: Header=BB29_10 Depth=1
	v_add_u32_e32 v2, 0, v157
	ds_write2_b32 v2, v30, v31 offset0:64 offset1:65
; %bb.221:                              ;   in Loop: Header=BB29_10 Depth=1
	s_or_b64 exec, exec, s[10:11]
	s_waitcnt lgkmcnt(0)
	s_barrier
	s_and_saveexec_b64 s[10:11], s[12:13]
	s_xor_b64 s[10:11], exec, s[10:11]
	s_cbranch_execz .LBB29_223
; %bb.222:                              ;   in Loop: Header=BB29_10 Depth=1
	s_barrier
                                        ; implicit-def: $vgpr32
.LBB29_223:                             ;   in Loop: Header=BB29_10 Depth=1
	s_andn2_saveexec_b64 s[10:11], s[10:11]
	s_cbranch_execz .LBB29_227
; %bb.224:                              ;   in Loop: Header=BB29_10 Depth=1
	v_add_u32_e32 v6, 0, v158
	ds_read_b64 v[2:3], v6 offset:256
	s_waitcnt lgkmcnt(0)
	s_barrier
	ds_bpermute_b32 v7, v32, v2
	v_max_f32_e32 v10, v2, v2
	s_waitcnt lgkmcnt(0)
	v_max_f32_e32 v7, v7, v7
	v_max_f32_e32 v7, v10, v7
	v_sub_f32_e32 v2, v2, v7
	v_mul_f32_e32 v7, 0x3fb8aa3b, v2
	v_fma_f32 v10, v2, s47, -v7
	v_rndne_f32_e32 v11, v7
	v_fmac_f32_e32 v10, 0x32a5705f, v2
	v_sub_f32_e32 v7, v7, v11
	v_add_f32_e32 v7, v7, v10
	v_cvt_i32_f32_e32 v11, v11
	v_exp_f32_e32 v7, v7
	v_cmp_ngt_f32_e32 vcc, s69, v2
	v_ldexp_f32 v7, v7, v11
	s_nop 0
	v_cndmask_b32_e32 v7, 0, v7, vcc
	v_cmp_nlt_f32_e32 vcc, s93, v2
	s_nop 1
	v_cndmask_b32_e32 v2, v215, v7, vcc
	v_mul_f32_e32 v3, v3, v2
	ds_bpermute_b32 v7, v32, v3
	s_and_saveexec_b64 s[14:15], s[8:9]
	s_cbranch_execz .LBB29_226
; %bb.225:                              ;   in Loop: Header=BB29_10 Depth=1
	s_waitcnt lgkmcnt(0)
	v_add_f32_e32 v3, v3, v7
	ds_write_b64 v6, v[2:3] offset:256
.LBB29_226:                             ;   in Loop: Header=BB29_10 Depth=1
	s_or_b64 exec, exec, s[14:15]
.LBB29_227:                             ;   in Loop: Header=BB29_10 Depth=1
	s_or_b64 exec, exec, s[10:11]
	v_add_u32_e32 v2, v144, v159
	ds_write2_b32 v2, v36, v4 offset1:1
	ds_write2_b32 v2, v35, v5 offset0:8 offset1:9
	ds_write2_b32 v2, v34, v8 offset0:16 offset1:17
	;; [unrolled: 1-line block ×7, first 2 shown]
	s_waitcnt lgkmcnt(0)
	s_barrier
	s_and_saveexec_b64 s[76:77], s[0:1]
	s_cbranch_execz .LBB29_8
; %bb.228:                              ;   in Loop: Header=BB29_10 Depth=1
	v_add_u32_e32 v2, v205, v216
	v_or_b32_e32 v3, v104, v103
	v_cmp_gt_i32_e32 vcc, s36, v2
	v_cmp_gt_i32_e64 s[10:11], s3, v3
	s_and_b64 s[78:79], vcc, s[10:11]
	v_mov_b32_e32 v3, 0x47
	s_and_saveexec_b64 s[14:15], s[78:79]
	s_cbranch_execz .LBB29_230
; %bb.229:                              ;   in Loop: Header=BB29_10 Depth=1
	v_add_u32_e32 v3, v153, v163
	ds_read2st64_b32 v[4:5], v3 offset1:17
	v_add_u32_e32 v3, 0, v163
	ds_read2_b32 v[6:7], v3 offset0:64 offset1:65
	ds_read_b32 v8, v3 offset:4608
	v_mad_u64_u32 v[2:3], s[78:79], v2, s37, v[104:105]
	s_waitcnt lgkmcnt(2)
	v_cvt_f32_f16_e32 v10, v4
	v_cvt_f32_f16_sdwa v11, v4 dst_sel:DWORD dst_unused:UNUSED_PAD src0_sel:WORD_1
	v_cvt_f32_f16_e32 v4, v5
	v_cvt_f32_f16_sdwa v5, v5 dst_sel:DWORD dst_unused:UNUSED_PAD src0_sel:WORD_1
	v_lshl_add_u32 v2, v2, 6, v54
	s_waitcnt lgkmcnt(1)
	v_pk_fma_f32 v[10:11], v[6:7], v[10:11], 0 op_sel_hi:[0,1,0]
	v_ashrrev_i32_e32 v3, 31, v2
	s_waitcnt lgkmcnt(0)
	v_pk_fma_f32 v[4:5], v[8:9], v[4:5], v[10:11] op_sel_hi:[0,1,1]
	v_div_scale_f32 v6, s[78:79], v7, v7, v5
	v_rcp_f32_e32 v8, v6
	v_lshl_add_u64 v[2:3], v[2:3], 3, v[114:115]
	v_fma_f32 v9, -v6, v8, 1.0
	v_fmac_f32_e32 v8, v9, v8
	v_div_scale_f32 v9, vcc, v5, v7, v5
	v_mul_f32_e32 v10, v9, v8
	v_fma_f32 v11, -v6, v10, v9
	v_fmac_f32_e32 v10, v11, v8
	v_fma_f32 v6, -v6, v10, v9
	v_div_scale_f32 v9, s[78:79], v7, v7, v4
	v_rcp_f32_e32 v11, v9
	v_div_fmas_f32 v6, v6, v8, v10
	v_div_fixup_f32 v5, v6, v7, v5
	v_fma_f32 v6, -v9, v11, 1.0
	v_fmac_f32_e32 v11, v6, v11
	v_div_scale_f32 v6, vcc, v4, v7, v4
	v_mul_f32_e32 v8, v6, v11
	v_fma_f32 v10, -v9, v8, v6
	v_fmac_f32_e32 v8, v10, v11
	v_fma_f32 v6, -v9, v8, v6
	v_div_fmas_f32 v6, v6, v11, v8
	v_div_fixup_f32 v4, v6, v7, v4
	global_store_dwordx2 v[2:3], v[4:5], off
	v_mov_b32_e32 v3, 0
.LBB29_230:                             ;   in Loop: Header=BB29_10 Depth=1
	s_or_b64 exec, exec, s[14:15]
	v_cmp_gt_i32_e32 vcc, s96, v3
	s_mov_b64 s[14:15], -1
	s_and_saveexec_b64 s[78:79], vcc
; %bb.231:                              ;   in Loop: Header=BB29_10 Depth=1
	v_cmp_eq_u32_e32 vcc, 0, v3
	s_orn2_b64 s[14:15], vcc, exec
; %bb.232:                              ;   in Loop: Header=BB29_10 Depth=1
	s_or_b64 exec, exec, s[78:79]
	s_and_b64 exec, exec, s[14:15]
	s_cbranch_execz .LBB29_8
; %bb.233:                              ;   in Loop: Header=BB29_10 Depth=1
	v_add_u32_e32 v2, v206, v216
	v_or_b32_e32 v3, v86, v103
	v_cmp_gt_i32_e32 vcc, s36, v2
	v_cmp_gt_i32_e64 s[14:15], s3, v3
	s_and_b64 s[78:79], vcc, s[14:15]
	v_mov_b32_e32 v3, 0x47
	s_and_saveexec_b64 s[14:15], s[78:79]
	s_cbranch_execz .LBB29_235
; %bb.234:                              ;   in Loop: Header=BB29_10 Depth=1
	v_add_u32_e32 v3, v153, v164
	ds_read2st64_b32 v[4:5], v3 offset1:17
	v_add_u32_e32 v3, 0, v164
	ds_read2_b32 v[6:7], v3 offset0:64 offset1:65
	ds_read_b32 v8, v3 offset:4608
	v_mad_u64_u32 v[2:3], s[78:79], v2, s37, v[86:87]
	s_waitcnt lgkmcnt(2)
	v_cvt_f32_f16_e32 v10, v4
	v_cvt_f32_f16_sdwa v11, v4 dst_sel:DWORD dst_unused:UNUSED_PAD src0_sel:WORD_1
	v_cvt_f32_f16_e32 v4, v5
	v_cvt_f32_f16_sdwa v5, v5 dst_sel:DWORD dst_unused:UNUSED_PAD src0_sel:WORD_1
	v_lshl_add_u32 v2, v2, 6, v54
	s_waitcnt lgkmcnt(1)
	v_pk_fma_f32 v[10:11], v[6:7], v[10:11], 0 op_sel_hi:[0,1,0]
	v_ashrrev_i32_e32 v3, 31, v2
	s_waitcnt lgkmcnt(0)
	v_pk_fma_f32 v[4:5], v[8:9], v[4:5], v[10:11] op_sel_hi:[0,1,1]
	v_div_scale_f32 v6, s[78:79], v7, v7, v5
	v_rcp_f32_e32 v8, v6
	v_lshl_add_u64 v[2:3], v[2:3], 3, v[114:115]
	v_fma_f32 v9, -v6, v8, 1.0
	v_fmac_f32_e32 v8, v9, v8
	v_div_scale_f32 v9, vcc, v5, v7, v5
	v_mul_f32_e32 v10, v9, v8
	v_fma_f32 v11, -v6, v10, v9
	v_fmac_f32_e32 v10, v11, v8
	v_fma_f32 v6, -v6, v10, v9
	v_div_scale_f32 v9, s[78:79], v7, v7, v4
	v_rcp_f32_e32 v11, v9
	v_div_fmas_f32 v6, v6, v8, v10
	v_div_fixup_f32 v5, v6, v7, v5
	v_fma_f32 v6, -v9, v11, 1.0
	v_fmac_f32_e32 v11, v6, v11
	v_div_scale_f32 v6, vcc, v4, v7, v4
	v_mul_f32_e32 v8, v6, v11
	v_fma_f32 v10, -v9, v8, v6
	v_fmac_f32_e32 v8, v10, v11
	v_fma_f32 v6, -v9, v8, v6
	v_div_fmas_f32 v6, v6, v11, v8
	v_div_fixup_f32 v4, v6, v7, v4
	global_store_dwordx2 v[2:3], v[4:5], off
	v_mov_b32_e32 v3, 0
.LBB29_235:                             ;   in Loop: Header=BB29_10 Depth=1
	s_or_b64 exec, exec, s[14:15]
	v_cmp_gt_i32_e32 vcc, s96, v3
	s_mov_b64 s[14:15], -1
	s_and_saveexec_b64 s[78:79], vcc
; %bb.236:                              ;   in Loop: Header=BB29_10 Depth=1
	v_cmp_eq_u32_e32 vcc, 0, v3
	s_orn2_b64 s[14:15], vcc, exec
; %bb.237:                              ;   in Loop: Header=BB29_10 Depth=1
	s_or_b64 exec, exec, s[78:79]
	s_and_b64 exec, exec, s[14:15]
	s_cbranch_execz .LBB29_8
; %bb.238:                              ;   in Loop: Header=BB29_10 Depth=1
	v_add_u32_e32 v2, v165, v216
	v_cmp_gt_i32_e32 vcc, s36, v2
	s_and_b64 s[78:79], vcc, s[10:11]
	v_mov_b32_e32 v3, 0x47
	s_and_saveexec_b64 s[14:15], s[78:79]
	s_cbranch_execz .LBB29_240
; %bb.239:                              ;   in Loop: Header=BB29_10 Depth=1
	v_add_u32_e32 v3, v153, v166
	ds_read2st64_b32 v[4:5], v3 offset1:17
	v_add_u32_e32 v3, 0, v166
	ds_read2_b32 v[6:7], v3 offset0:64 offset1:65
	ds_read_b32 v8, v3 offset:4608
	v_mad_u64_u32 v[2:3], s[78:79], v2, s37, v[104:105]
	s_waitcnt lgkmcnt(2)
	v_cvt_f32_f16_e32 v10, v4
	v_cvt_f32_f16_sdwa v11, v4 dst_sel:DWORD dst_unused:UNUSED_PAD src0_sel:WORD_1
	v_cvt_f32_f16_e32 v4, v5
	v_cvt_f32_f16_sdwa v5, v5 dst_sel:DWORD dst_unused:UNUSED_PAD src0_sel:WORD_1
	v_lshl_add_u32 v2, v2, 6, v54
	s_waitcnt lgkmcnt(1)
	v_pk_fma_f32 v[10:11], v[6:7], v[10:11], 0 op_sel_hi:[0,1,0]
	v_ashrrev_i32_e32 v3, 31, v2
	s_waitcnt lgkmcnt(0)
	v_pk_fma_f32 v[4:5], v[8:9], v[4:5], v[10:11] op_sel_hi:[0,1,1]
	v_div_scale_f32 v6, s[78:79], v7, v7, v5
	v_rcp_f32_e32 v8, v6
	v_lshl_add_u64 v[2:3], v[2:3], 3, v[114:115]
	v_fma_f32 v9, -v6, v8, 1.0
	v_fmac_f32_e32 v8, v9, v8
	v_div_scale_f32 v9, vcc, v5, v7, v5
	v_mul_f32_e32 v10, v9, v8
	v_fma_f32 v11, -v6, v10, v9
	v_fmac_f32_e32 v10, v11, v8
	v_fma_f32 v6, -v6, v10, v9
	v_div_scale_f32 v9, s[78:79], v7, v7, v4
	v_rcp_f32_e32 v11, v9
	v_div_fmas_f32 v6, v6, v8, v10
	v_div_fixup_f32 v5, v6, v7, v5
	v_fma_f32 v6, -v9, v11, 1.0
	v_fmac_f32_e32 v11, v6, v11
	v_div_scale_f32 v6, vcc, v4, v7, v4
	v_mul_f32_e32 v8, v6, v11
	v_fma_f32 v10, -v9, v8, v6
	v_fmac_f32_e32 v8, v10, v11
	v_fma_f32 v6, -v9, v8, v6
	v_div_fmas_f32 v6, v6, v11, v8
	v_div_fixup_f32 v4, v6, v7, v4
	global_store_dwordx2 v[2:3], v[4:5], off
	v_mov_b32_e32 v3, 0
.LBB29_240:                             ;   in Loop: Header=BB29_10 Depth=1
	s_or_b64 exec, exec, s[14:15]
	v_cmp_gt_i32_e32 vcc, s96, v3
	s_mov_b64 s[14:15], -1
	s_and_saveexec_b64 s[78:79], vcc
; %bb.241:                              ;   in Loop: Header=BB29_10 Depth=1
	v_cmp_eq_u32_e32 vcc, 0, v3
	s_orn2_b64 s[14:15], vcc, exec
; %bb.242:                              ;   in Loop: Header=BB29_10 Depth=1
	s_or_b64 exec, exec, s[78:79]
	s_and_b64 exec, exec, s[14:15]
	s_cbranch_execz .LBB29_8
; %bb.243:                              ;   in Loop: Header=BB29_10 Depth=1
	v_add_u32_e32 v2, v207, v216
	v_or_b32_e32 v3, v88, v103
	v_cmp_gt_i32_e32 vcc, s36, v2
	v_cmp_gt_i32_e64 s[14:15], s3, v3
	s_and_b64 s[78:79], vcc, s[14:15]
	v_mov_b32_e32 v3, 0x47
	s_and_saveexec_b64 s[14:15], s[78:79]
	s_cbranch_execz .LBB29_245
; %bb.244:                              ;   in Loop: Header=BB29_10 Depth=1
	v_add_u32_e32 v3, v153, v167
	ds_read2st64_b32 v[4:5], v3 offset1:17
	v_add_u32_e32 v3, 0, v167
	ds_read2_b32 v[6:7], v3 offset0:64 offset1:65
	ds_read_b32 v8, v3 offset:4608
	v_mad_u64_u32 v[2:3], s[78:79], v2, s37, v[88:89]
	s_waitcnt lgkmcnt(2)
	v_cvt_f32_f16_e32 v10, v4
	v_cvt_f32_f16_sdwa v11, v4 dst_sel:DWORD dst_unused:UNUSED_PAD src0_sel:WORD_1
	v_cvt_f32_f16_e32 v4, v5
	v_cvt_f32_f16_sdwa v5, v5 dst_sel:DWORD dst_unused:UNUSED_PAD src0_sel:WORD_1
	v_lshl_add_u32 v2, v2, 6, v54
	s_waitcnt lgkmcnt(1)
	v_pk_fma_f32 v[10:11], v[6:7], v[10:11], 0 op_sel_hi:[0,1,0]
	v_ashrrev_i32_e32 v3, 31, v2
	s_waitcnt lgkmcnt(0)
	v_pk_fma_f32 v[4:5], v[8:9], v[4:5], v[10:11] op_sel_hi:[0,1,1]
	v_div_scale_f32 v6, s[78:79], v7, v7, v5
	v_rcp_f32_e32 v8, v6
	v_lshl_add_u64 v[2:3], v[2:3], 3, v[114:115]
	v_fma_f32 v9, -v6, v8, 1.0
	v_fmac_f32_e32 v8, v9, v8
	v_div_scale_f32 v9, vcc, v5, v7, v5
	v_mul_f32_e32 v10, v9, v8
	v_fma_f32 v11, -v6, v10, v9
	v_fmac_f32_e32 v10, v11, v8
	v_fma_f32 v6, -v6, v10, v9
	v_div_scale_f32 v9, s[78:79], v7, v7, v4
	v_rcp_f32_e32 v11, v9
	v_div_fmas_f32 v6, v6, v8, v10
	v_div_fixup_f32 v5, v6, v7, v5
	v_fma_f32 v6, -v9, v11, 1.0
	v_fmac_f32_e32 v11, v6, v11
	v_div_scale_f32 v6, vcc, v4, v7, v4
	v_mul_f32_e32 v8, v6, v11
	v_fma_f32 v10, -v9, v8, v6
	v_fmac_f32_e32 v8, v10, v11
	v_fma_f32 v6, -v9, v8, v6
	v_div_fmas_f32 v6, v6, v11, v8
	v_div_fixup_f32 v4, v6, v7, v4
	global_store_dwordx2 v[2:3], v[4:5], off
	v_mov_b32_e32 v3, 0
.LBB29_245:                             ;   in Loop: Header=BB29_10 Depth=1
	s_or_b64 exec, exec, s[14:15]
	v_cmp_gt_i32_e32 vcc, s96, v3
	s_mov_b64 s[14:15], -1
	s_and_saveexec_b64 s[78:79], vcc
; %bb.246:                              ;   in Loop: Header=BB29_10 Depth=1
	v_cmp_eq_u32_e32 vcc, 0, v3
	s_orn2_b64 s[14:15], vcc, exec
; %bb.247:                              ;   in Loop: Header=BB29_10 Depth=1
	s_or_b64 exec, exec, s[78:79]
	s_and_b64 exec, exec, s[14:15]
	s_cbranch_execz .LBB29_8
; %bb.248:                              ;   in Loop: Header=BB29_10 Depth=1
	v_add_u32_e32 v2, v168, v216
	v_cmp_gt_i32_e32 vcc, s36, v2
	s_and_b64 s[78:79], vcc, s[10:11]
	v_mov_b32_e32 v3, 0x47
	s_and_saveexec_b64 s[14:15], s[78:79]
	s_cbranch_execz .LBB29_250
; %bb.249:                              ;   in Loop: Header=BB29_10 Depth=1
	v_add_u32_e32 v3, v153, v169
	ds_read2st64_b32 v[4:5], v3 offset1:17
	v_add_u32_e32 v3, 0, v169
	ds_read2_b32 v[6:7], v3 offset0:64 offset1:65
	ds_read_b32 v8, v3 offset:4608
	v_mad_u64_u32 v[2:3], s[78:79], v2, s37, v[104:105]
	s_waitcnt lgkmcnt(2)
	v_cvt_f32_f16_e32 v10, v4
	v_cvt_f32_f16_sdwa v11, v4 dst_sel:DWORD dst_unused:UNUSED_PAD src0_sel:WORD_1
	v_cvt_f32_f16_e32 v4, v5
	v_cvt_f32_f16_sdwa v5, v5 dst_sel:DWORD dst_unused:UNUSED_PAD src0_sel:WORD_1
	v_lshl_add_u32 v2, v2, 6, v54
	s_waitcnt lgkmcnt(1)
	v_pk_fma_f32 v[10:11], v[6:7], v[10:11], 0 op_sel_hi:[0,1,0]
	v_ashrrev_i32_e32 v3, 31, v2
	s_waitcnt lgkmcnt(0)
	v_pk_fma_f32 v[4:5], v[8:9], v[4:5], v[10:11] op_sel_hi:[0,1,1]
	v_div_scale_f32 v6, s[78:79], v7, v7, v5
	v_rcp_f32_e32 v8, v6
	v_lshl_add_u64 v[2:3], v[2:3], 3, v[114:115]
	v_fma_f32 v9, -v6, v8, 1.0
	v_fmac_f32_e32 v8, v9, v8
	v_div_scale_f32 v9, vcc, v5, v7, v5
	v_mul_f32_e32 v10, v9, v8
	v_fma_f32 v11, -v6, v10, v9
	v_fmac_f32_e32 v10, v11, v8
	v_fma_f32 v6, -v6, v10, v9
	v_div_scale_f32 v9, s[78:79], v7, v7, v4
	v_rcp_f32_e32 v11, v9
	v_div_fmas_f32 v6, v6, v8, v10
	v_div_fixup_f32 v5, v6, v7, v5
	v_fma_f32 v6, -v9, v11, 1.0
	v_fmac_f32_e32 v11, v6, v11
	v_div_scale_f32 v6, vcc, v4, v7, v4
	v_mul_f32_e32 v8, v6, v11
	v_fma_f32 v10, -v9, v8, v6
	v_fmac_f32_e32 v8, v10, v11
	v_fma_f32 v6, -v9, v8, v6
	v_div_fmas_f32 v6, v6, v11, v8
	v_div_fixup_f32 v4, v6, v7, v4
	global_store_dwordx2 v[2:3], v[4:5], off
	v_mov_b32_e32 v3, 0
.LBB29_250:                             ;   in Loop: Header=BB29_10 Depth=1
	s_or_b64 exec, exec, s[14:15]
	v_cmp_gt_i32_e32 vcc, s96, v3
	s_mov_b64 s[14:15], -1
	s_and_saveexec_b64 s[78:79], vcc
; %bb.251:                              ;   in Loop: Header=BB29_10 Depth=1
	v_cmp_eq_u32_e32 vcc, 0, v3
	s_orn2_b64 s[14:15], vcc, exec
; %bb.252:                              ;   in Loop: Header=BB29_10 Depth=1
	s_or_b64 exec, exec, s[78:79]
	s_and_b64 exec, exec, s[14:15]
	s_cbranch_execz .LBB29_8
; %bb.253:                              ;   in Loop: Header=BB29_10 Depth=1
	v_add_u32_e32 v2, v208, v216
	v_or_b32_e32 v3, v90, v103
	v_cmp_gt_i32_e32 vcc, s36, v2
	v_cmp_gt_i32_e64 s[14:15], s3, v3
	s_and_b64 s[78:79], vcc, s[14:15]
	v_mov_b32_e32 v3, 0x47
	s_and_saveexec_b64 s[14:15], s[78:79]
	s_cbranch_execz .LBB29_255
; %bb.254:                              ;   in Loop: Header=BB29_10 Depth=1
	v_add_u32_e32 v3, v153, v170
	ds_read2st64_b32 v[4:5], v3 offset1:17
	v_add_u32_e32 v3, 0, v170
	ds_read2_b32 v[6:7], v3 offset0:64 offset1:65
	ds_read_b32 v8, v3 offset:4608
	v_mad_u64_u32 v[2:3], s[78:79], v2, s37, v[90:91]
	s_waitcnt lgkmcnt(2)
	v_cvt_f32_f16_e32 v10, v4
	v_cvt_f32_f16_sdwa v11, v4 dst_sel:DWORD dst_unused:UNUSED_PAD src0_sel:WORD_1
	v_cvt_f32_f16_e32 v4, v5
	v_cvt_f32_f16_sdwa v5, v5 dst_sel:DWORD dst_unused:UNUSED_PAD src0_sel:WORD_1
	v_lshl_add_u32 v2, v2, 6, v54
	s_waitcnt lgkmcnt(1)
	v_pk_fma_f32 v[10:11], v[6:7], v[10:11], 0 op_sel_hi:[0,1,0]
	v_ashrrev_i32_e32 v3, 31, v2
	s_waitcnt lgkmcnt(0)
	v_pk_fma_f32 v[4:5], v[8:9], v[4:5], v[10:11] op_sel_hi:[0,1,1]
	v_div_scale_f32 v6, s[78:79], v7, v7, v5
	v_rcp_f32_e32 v8, v6
	v_lshl_add_u64 v[2:3], v[2:3], 3, v[114:115]
	v_fma_f32 v9, -v6, v8, 1.0
	v_fmac_f32_e32 v8, v9, v8
	v_div_scale_f32 v9, vcc, v5, v7, v5
	v_mul_f32_e32 v10, v9, v8
	v_fma_f32 v11, -v6, v10, v9
	v_fmac_f32_e32 v10, v11, v8
	v_fma_f32 v6, -v6, v10, v9
	v_div_scale_f32 v9, s[78:79], v7, v7, v4
	v_rcp_f32_e32 v11, v9
	v_div_fmas_f32 v6, v6, v8, v10
	v_div_fixup_f32 v5, v6, v7, v5
	v_fma_f32 v6, -v9, v11, 1.0
	v_fmac_f32_e32 v11, v6, v11
	v_div_scale_f32 v6, vcc, v4, v7, v4
	v_mul_f32_e32 v8, v6, v11
	v_fma_f32 v10, -v9, v8, v6
	v_fmac_f32_e32 v8, v10, v11
	v_fma_f32 v6, -v9, v8, v6
	v_div_fmas_f32 v6, v6, v11, v8
	v_div_fixup_f32 v4, v6, v7, v4
	global_store_dwordx2 v[2:3], v[4:5], off
	v_mov_b32_e32 v3, 0
.LBB29_255:                             ;   in Loop: Header=BB29_10 Depth=1
	s_or_b64 exec, exec, s[14:15]
	v_cmp_gt_i32_e32 vcc, s96, v3
	s_mov_b64 s[14:15], -1
	s_and_saveexec_b64 s[78:79], vcc
; %bb.256:                              ;   in Loop: Header=BB29_10 Depth=1
	v_cmp_eq_u32_e32 vcc, 0, v3
	s_orn2_b64 s[14:15], vcc, exec
; %bb.257:                              ;   in Loop: Header=BB29_10 Depth=1
	s_or_b64 exec, exec, s[78:79]
	s_and_b64 exec, exec, s[14:15]
	s_cbranch_execz .LBB29_8
; %bb.258:                              ;   in Loop: Header=BB29_10 Depth=1
	v_add_u32_e32 v2, v171, v216
	v_cmp_gt_i32_e32 vcc, s36, v2
	s_and_b64 s[78:79], vcc, s[10:11]
	v_mov_b32_e32 v3, 0x47
	s_and_saveexec_b64 s[14:15], s[78:79]
	s_cbranch_execz .LBB29_260
; %bb.259:                              ;   in Loop: Header=BB29_10 Depth=1
	v_add_u32_e32 v3, v153, v172
	ds_read2st64_b32 v[4:5], v3 offset1:17
	v_add_u32_e32 v3, 0, v172
	ds_read2_b32 v[6:7], v3 offset0:64 offset1:65
	ds_read_b32 v8, v3 offset:4608
	v_mad_u64_u32 v[2:3], s[78:79], v2, s37, v[104:105]
	s_waitcnt lgkmcnt(2)
	v_cvt_f32_f16_e32 v10, v4
	v_cvt_f32_f16_sdwa v11, v4 dst_sel:DWORD dst_unused:UNUSED_PAD src0_sel:WORD_1
	v_cvt_f32_f16_e32 v4, v5
	v_cvt_f32_f16_sdwa v5, v5 dst_sel:DWORD dst_unused:UNUSED_PAD src0_sel:WORD_1
	v_lshl_add_u32 v2, v2, 6, v54
	s_waitcnt lgkmcnt(1)
	v_pk_fma_f32 v[10:11], v[6:7], v[10:11], 0 op_sel_hi:[0,1,0]
	v_ashrrev_i32_e32 v3, 31, v2
	s_waitcnt lgkmcnt(0)
	v_pk_fma_f32 v[4:5], v[8:9], v[4:5], v[10:11] op_sel_hi:[0,1,1]
	v_div_scale_f32 v6, s[78:79], v7, v7, v5
	v_rcp_f32_e32 v8, v6
	v_lshl_add_u64 v[2:3], v[2:3], 3, v[114:115]
	v_fma_f32 v9, -v6, v8, 1.0
	v_fmac_f32_e32 v8, v9, v8
	v_div_scale_f32 v9, vcc, v5, v7, v5
	v_mul_f32_e32 v10, v9, v8
	v_fma_f32 v11, -v6, v10, v9
	v_fmac_f32_e32 v10, v11, v8
	v_fma_f32 v6, -v6, v10, v9
	v_div_scale_f32 v9, s[78:79], v7, v7, v4
	v_rcp_f32_e32 v11, v9
	v_div_fmas_f32 v6, v6, v8, v10
	v_div_fixup_f32 v5, v6, v7, v5
	v_fma_f32 v6, -v9, v11, 1.0
	v_fmac_f32_e32 v11, v6, v11
	v_div_scale_f32 v6, vcc, v4, v7, v4
	v_mul_f32_e32 v8, v6, v11
	v_fma_f32 v10, -v9, v8, v6
	v_fmac_f32_e32 v8, v10, v11
	v_fma_f32 v6, -v9, v8, v6
	v_div_fmas_f32 v6, v6, v11, v8
	v_div_fixup_f32 v4, v6, v7, v4
	global_store_dwordx2 v[2:3], v[4:5], off
	v_mov_b32_e32 v3, 0
.LBB29_260:                             ;   in Loop: Header=BB29_10 Depth=1
	s_or_b64 exec, exec, s[14:15]
	v_cmp_gt_i32_e32 vcc, s96, v3
	s_mov_b64 s[14:15], -1
	s_and_saveexec_b64 s[78:79], vcc
; %bb.261:                              ;   in Loop: Header=BB29_10 Depth=1
	v_cmp_eq_u32_e32 vcc, 0, v3
	s_orn2_b64 s[14:15], vcc, exec
; %bb.262:                              ;   in Loop: Header=BB29_10 Depth=1
	s_or_b64 exec, exec, s[78:79]
	s_and_b64 exec, exec, s[14:15]
	s_cbranch_execz .LBB29_8
; %bb.263:                              ;   in Loop: Header=BB29_10 Depth=1
	v_add_u32_e32 v2, v209, v216
	v_or_b32_e32 v3, v92, v103
	v_cmp_gt_i32_e32 vcc, s36, v2
	v_cmp_gt_i32_e64 s[14:15], s3, v3
	s_and_b64 s[78:79], vcc, s[14:15]
	v_mov_b32_e32 v3, 0x47
	s_and_saveexec_b64 s[14:15], s[78:79]
	s_cbranch_execz .LBB29_265
; %bb.264:                              ;   in Loop: Header=BB29_10 Depth=1
	v_add_u32_e32 v3, v153, v173
	ds_read2st64_b32 v[4:5], v3 offset1:17
	v_add_u32_e32 v3, 0, v173
	ds_read2_b32 v[6:7], v3 offset0:64 offset1:65
	ds_read_b32 v8, v3 offset:4608
	v_mad_u64_u32 v[2:3], s[78:79], v2, s37, v[92:93]
	s_waitcnt lgkmcnt(2)
	v_cvt_f32_f16_e32 v10, v4
	v_cvt_f32_f16_sdwa v11, v4 dst_sel:DWORD dst_unused:UNUSED_PAD src0_sel:WORD_1
	v_cvt_f32_f16_e32 v4, v5
	v_cvt_f32_f16_sdwa v5, v5 dst_sel:DWORD dst_unused:UNUSED_PAD src0_sel:WORD_1
	v_lshl_add_u32 v2, v2, 6, v54
	s_waitcnt lgkmcnt(1)
	v_pk_fma_f32 v[10:11], v[6:7], v[10:11], 0 op_sel_hi:[0,1,0]
	v_ashrrev_i32_e32 v3, 31, v2
	s_waitcnt lgkmcnt(0)
	v_pk_fma_f32 v[4:5], v[8:9], v[4:5], v[10:11] op_sel_hi:[0,1,1]
	v_div_scale_f32 v6, s[78:79], v7, v7, v5
	v_rcp_f32_e32 v8, v6
	v_lshl_add_u64 v[2:3], v[2:3], 3, v[114:115]
	v_fma_f32 v9, -v6, v8, 1.0
	v_fmac_f32_e32 v8, v9, v8
	v_div_scale_f32 v9, vcc, v5, v7, v5
	v_mul_f32_e32 v10, v9, v8
	v_fma_f32 v11, -v6, v10, v9
	v_fmac_f32_e32 v10, v11, v8
	v_fma_f32 v6, -v6, v10, v9
	v_div_scale_f32 v9, s[78:79], v7, v7, v4
	v_rcp_f32_e32 v11, v9
	v_div_fmas_f32 v6, v6, v8, v10
	v_div_fixup_f32 v5, v6, v7, v5
	v_fma_f32 v6, -v9, v11, 1.0
	v_fmac_f32_e32 v11, v6, v11
	v_div_scale_f32 v6, vcc, v4, v7, v4
	v_mul_f32_e32 v8, v6, v11
	v_fma_f32 v10, -v9, v8, v6
	v_fmac_f32_e32 v8, v10, v11
	v_fma_f32 v6, -v9, v8, v6
	v_div_fmas_f32 v6, v6, v11, v8
	v_div_fixup_f32 v4, v6, v7, v4
	global_store_dwordx2 v[2:3], v[4:5], off
	v_mov_b32_e32 v3, 0
.LBB29_265:                             ;   in Loop: Header=BB29_10 Depth=1
	s_or_b64 exec, exec, s[14:15]
	v_cmp_gt_i32_e32 vcc, s96, v3
	s_mov_b64 s[14:15], -1
	s_and_saveexec_b64 s[78:79], vcc
; %bb.266:                              ;   in Loop: Header=BB29_10 Depth=1
	v_cmp_eq_u32_e32 vcc, 0, v3
	s_orn2_b64 s[14:15], vcc, exec
; %bb.267:                              ;   in Loop: Header=BB29_10 Depth=1
	s_or_b64 exec, exec, s[78:79]
	s_and_b64 exec, exec, s[14:15]
	s_cbranch_execz .LBB29_8
; %bb.268:                              ;   in Loop: Header=BB29_10 Depth=1
	v_add_u32_e32 v2, v174, v216
	v_cmp_gt_i32_e32 vcc, s36, v2
	s_and_b64 s[78:79], vcc, s[10:11]
	v_mov_b32_e32 v3, 0x47
	s_and_saveexec_b64 s[14:15], s[78:79]
	s_cbranch_execz .LBB29_270
; %bb.269:                              ;   in Loop: Header=BB29_10 Depth=1
	v_add_u32_e32 v3, v153, v175
	ds_read2st64_b32 v[4:5], v3 offset1:17
	v_add_u32_e32 v3, 0, v175
	ds_read2_b32 v[6:7], v3 offset0:64 offset1:65
	ds_read_b32 v8, v3 offset:4608
	v_mad_u64_u32 v[2:3], s[78:79], v2, s37, v[104:105]
	s_waitcnt lgkmcnt(2)
	v_cvt_f32_f16_e32 v10, v4
	v_cvt_f32_f16_sdwa v11, v4 dst_sel:DWORD dst_unused:UNUSED_PAD src0_sel:WORD_1
	v_cvt_f32_f16_e32 v4, v5
	v_cvt_f32_f16_sdwa v5, v5 dst_sel:DWORD dst_unused:UNUSED_PAD src0_sel:WORD_1
	v_lshl_add_u32 v2, v2, 6, v54
	s_waitcnt lgkmcnt(1)
	v_pk_fma_f32 v[10:11], v[6:7], v[10:11], 0 op_sel_hi:[0,1,0]
	v_ashrrev_i32_e32 v3, 31, v2
	s_waitcnt lgkmcnt(0)
	v_pk_fma_f32 v[4:5], v[8:9], v[4:5], v[10:11] op_sel_hi:[0,1,1]
	v_div_scale_f32 v6, s[78:79], v7, v7, v5
	v_rcp_f32_e32 v8, v6
	v_lshl_add_u64 v[2:3], v[2:3], 3, v[114:115]
	v_fma_f32 v9, -v6, v8, 1.0
	v_fmac_f32_e32 v8, v9, v8
	v_div_scale_f32 v9, vcc, v5, v7, v5
	v_mul_f32_e32 v10, v9, v8
	v_fma_f32 v11, -v6, v10, v9
	v_fmac_f32_e32 v10, v11, v8
	v_fma_f32 v6, -v6, v10, v9
	v_div_scale_f32 v9, s[78:79], v7, v7, v4
	v_rcp_f32_e32 v11, v9
	v_div_fmas_f32 v6, v6, v8, v10
	v_div_fixup_f32 v5, v6, v7, v5
	v_fma_f32 v6, -v9, v11, 1.0
	v_fmac_f32_e32 v11, v6, v11
	v_div_scale_f32 v6, vcc, v4, v7, v4
	v_mul_f32_e32 v8, v6, v11
	v_fma_f32 v10, -v9, v8, v6
	v_fmac_f32_e32 v8, v10, v11
	v_fma_f32 v6, -v9, v8, v6
	v_div_fmas_f32 v6, v6, v11, v8
	v_div_fixup_f32 v4, v6, v7, v4
	global_store_dwordx2 v[2:3], v[4:5], off
	v_mov_b32_e32 v3, 0
.LBB29_270:                             ;   in Loop: Header=BB29_10 Depth=1
	s_or_b64 exec, exec, s[14:15]
	v_cmp_gt_i32_e32 vcc, s96, v3
	s_mov_b64 s[14:15], -1
	s_and_saveexec_b64 s[78:79], vcc
; %bb.271:                              ;   in Loop: Header=BB29_10 Depth=1
	v_cmp_eq_u32_e32 vcc, 0, v3
	s_orn2_b64 s[14:15], vcc, exec
; %bb.272:                              ;   in Loop: Header=BB29_10 Depth=1
	s_or_b64 exec, exec, s[78:79]
	s_and_b64 exec, exec, s[14:15]
	s_cbranch_execz .LBB29_8
; %bb.273:                              ;   in Loop: Header=BB29_10 Depth=1
	v_add_u32_e32 v2, v210, v216
	v_or_b32_e32 v3, v94, v103
	v_cmp_gt_i32_e32 vcc, s36, v2
	v_cmp_gt_i32_e64 s[14:15], s3, v3
	s_and_b64 s[78:79], vcc, s[14:15]
	v_mov_b32_e32 v3, 0x47
	s_and_saveexec_b64 s[14:15], s[78:79]
	s_cbranch_execz .LBB29_275
; %bb.274:                              ;   in Loop: Header=BB29_10 Depth=1
	v_add_u32_e32 v3, v153, v176
	ds_read2st64_b32 v[4:5], v3 offset1:17
	v_add_u32_e32 v3, 0, v176
	ds_read2_b32 v[6:7], v3 offset0:64 offset1:65
	ds_read_b32 v8, v3 offset:4608
	v_mad_u64_u32 v[2:3], s[78:79], v2, s37, v[94:95]
	s_waitcnt lgkmcnt(2)
	v_cvt_f32_f16_e32 v10, v4
	v_cvt_f32_f16_sdwa v11, v4 dst_sel:DWORD dst_unused:UNUSED_PAD src0_sel:WORD_1
	v_cvt_f32_f16_e32 v4, v5
	v_cvt_f32_f16_sdwa v5, v5 dst_sel:DWORD dst_unused:UNUSED_PAD src0_sel:WORD_1
	v_lshl_add_u32 v2, v2, 6, v54
	s_waitcnt lgkmcnt(1)
	v_pk_fma_f32 v[10:11], v[6:7], v[10:11], 0 op_sel_hi:[0,1,0]
	v_ashrrev_i32_e32 v3, 31, v2
	s_waitcnt lgkmcnt(0)
	v_pk_fma_f32 v[4:5], v[8:9], v[4:5], v[10:11] op_sel_hi:[0,1,1]
	v_div_scale_f32 v6, s[78:79], v7, v7, v5
	v_rcp_f32_e32 v8, v6
	v_lshl_add_u64 v[2:3], v[2:3], 3, v[114:115]
	v_fma_f32 v9, -v6, v8, 1.0
	v_fmac_f32_e32 v8, v9, v8
	v_div_scale_f32 v9, vcc, v5, v7, v5
	v_mul_f32_e32 v10, v9, v8
	v_fma_f32 v11, -v6, v10, v9
	v_fmac_f32_e32 v10, v11, v8
	v_fma_f32 v6, -v6, v10, v9
	v_div_scale_f32 v9, s[78:79], v7, v7, v4
	v_rcp_f32_e32 v11, v9
	v_div_fmas_f32 v6, v6, v8, v10
	v_div_fixup_f32 v5, v6, v7, v5
	v_fma_f32 v6, -v9, v11, 1.0
	v_fmac_f32_e32 v11, v6, v11
	v_div_scale_f32 v6, vcc, v4, v7, v4
	v_mul_f32_e32 v8, v6, v11
	v_fma_f32 v10, -v9, v8, v6
	v_fmac_f32_e32 v8, v10, v11
	v_fma_f32 v6, -v9, v8, v6
	v_div_fmas_f32 v6, v6, v11, v8
	v_div_fixup_f32 v4, v6, v7, v4
	global_store_dwordx2 v[2:3], v[4:5], off
	v_mov_b32_e32 v3, 0
.LBB29_275:                             ;   in Loop: Header=BB29_10 Depth=1
	s_or_b64 exec, exec, s[14:15]
	v_cmp_gt_i32_e32 vcc, s96, v3
	s_mov_b64 s[14:15], -1
	s_and_saveexec_b64 s[78:79], vcc
; %bb.276:                              ;   in Loop: Header=BB29_10 Depth=1
	v_cmp_eq_u32_e32 vcc, 0, v3
	s_orn2_b64 s[14:15], vcc, exec
; %bb.277:                              ;   in Loop: Header=BB29_10 Depth=1
	s_or_b64 exec, exec, s[78:79]
	s_and_b64 exec, exec, s[14:15]
	s_cbranch_execz .LBB29_8
; %bb.278:                              ;   in Loop: Header=BB29_10 Depth=1
	v_add_u32_e32 v2, v177, v216
	v_cmp_gt_i32_e32 vcc, s36, v2
	s_and_b64 s[78:79], vcc, s[10:11]
	v_mov_b32_e32 v3, 0x47
	s_and_saveexec_b64 s[14:15], s[78:79]
	s_cbranch_execz .LBB29_280
; %bb.279:                              ;   in Loop: Header=BB29_10 Depth=1
	v_add_u32_e32 v3, v153, v178
	ds_read2st64_b32 v[4:5], v3 offset1:17
	v_add_u32_e32 v3, 0, v178
	ds_read2_b32 v[6:7], v3 offset0:64 offset1:65
	ds_read_b32 v8, v3 offset:4608
	v_mad_u64_u32 v[2:3], s[78:79], v2, s37, v[104:105]
	s_waitcnt lgkmcnt(2)
	v_cvt_f32_f16_e32 v10, v4
	v_cvt_f32_f16_sdwa v11, v4 dst_sel:DWORD dst_unused:UNUSED_PAD src0_sel:WORD_1
	v_cvt_f32_f16_e32 v4, v5
	v_cvt_f32_f16_sdwa v5, v5 dst_sel:DWORD dst_unused:UNUSED_PAD src0_sel:WORD_1
	v_lshl_add_u32 v2, v2, 6, v54
	s_waitcnt lgkmcnt(1)
	v_pk_fma_f32 v[10:11], v[6:7], v[10:11], 0 op_sel_hi:[0,1,0]
	v_ashrrev_i32_e32 v3, 31, v2
	s_waitcnt lgkmcnt(0)
	v_pk_fma_f32 v[4:5], v[8:9], v[4:5], v[10:11] op_sel_hi:[0,1,1]
	v_div_scale_f32 v6, s[78:79], v7, v7, v5
	v_rcp_f32_e32 v8, v6
	v_lshl_add_u64 v[2:3], v[2:3], 3, v[114:115]
	v_fma_f32 v9, -v6, v8, 1.0
	v_fmac_f32_e32 v8, v9, v8
	v_div_scale_f32 v9, vcc, v5, v7, v5
	v_mul_f32_e32 v10, v9, v8
	v_fma_f32 v11, -v6, v10, v9
	v_fmac_f32_e32 v10, v11, v8
	v_fma_f32 v6, -v6, v10, v9
	v_div_scale_f32 v9, s[78:79], v7, v7, v4
	v_rcp_f32_e32 v11, v9
	v_div_fmas_f32 v6, v6, v8, v10
	v_div_fixup_f32 v5, v6, v7, v5
	v_fma_f32 v6, -v9, v11, 1.0
	v_fmac_f32_e32 v11, v6, v11
	v_div_scale_f32 v6, vcc, v4, v7, v4
	v_mul_f32_e32 v8, v6, v11
	v_fma_f32 v10, -v9, v8, v6
	v_fmac_f32_e32 v8, v10, v11
	v_fma_f32 v6, -v9, v8, v6
	v_div_fmas_f32 v6, v6, v11, v8
	v_div_fixup_f32 v4, v6, v7, v4
	global_store_dwordx2 v[2:3], v[4:5], off
	v_mov_b32_e32 v3, 0
.LBB29_280:                             ;   in Loop: Header=BB29_10 Depth=1
	s_or_b64 exec, exec, s[14:15]
	v_cmp_gt_i32_e32 vcc, s96, v3
	s_mov_b64 s[14:15], -1
	s_and_saveexec_b64 s[78:79], vcc
; %bb.281:                              ;   in Loop: Header=BB29_10 Depth=1
	v_cmp_eq_u32_e32 vcc, 0, v3
	s_orn2_b64 s[14:15], vcc, exec
; %bb.282:                              ;   in Loop: Header=BB29_10 Depth=1
	s_or_b64 exec, exec, s[78:79]
	s_and_b64 exec, exec, s[14:15]
	s_cbranch_execz .LBB29_8
; %bb.283:                              ;   in Loop: Header=BB29_10 Depth=1
	v_add_u32_e32 v2, v211, v216
	v_or_b32_e32 v3, v96, v103
	v_cmp_gt_i32_e32 vcc, s36, v2
	v_cmp_gt_i32_e64 s[14:15], s3, v3
	s_and_b64 s[78:79], vcc, s[14:15]
	v_mov_b32_e32 v3, 0x47
	s_and_saveexec_b64 s[14:15], s[78:79]
	s_cbranch_execz .LBB29_285
; %bb.284:                              ;   in Loop: Header=BB29_10 Depth=1
	v_add_u32_e32 v3, v153, v179
	ds_read2st64_b32 v[4:5], v3 offset1:17
	v_add_u32_e32 v3, 0, v179
	ds_read2_b32 v[6:7], v3 offset0:64 offset1:65
	ds_read_b32 v8, v3 offset:4608
	v_mad_u64_u32 v[2:3], s[78:79], v2, s37, v[96:97]
	s_waitcnt lgkmcnt(2)
	v_cvt_f32_f16_e32 v10, v4
	v_cvt_f32_f16_sdwa v11, v4 dst_sel:DWORD dst_unused:UNUSED_PAD src0_sel:WORD_1
	v_cvt_f32_f16_e32 v4, v5
	v_cvt_f32_f16_sdwa v5, v5 dst_sel:DWORD dst_unused:UNUSED_PAD src0_sel:WORD_1
	v_lshl_add_u32 v2, v2, 6, v54
	s_waitcnt lgkmcnt(1)
	v_pk_fma_f32 v[10:11], v[6:7], v[10:11], 0 op_sel_hi:[0,1,0]
	v_ashrrev_i32_e32 v3, 31, v2
	s_waitcnt lgkmcnt(0)
	v_pk_fma_f32 v[4:5], v[8:9], v[4:5], v[10:11] op_sel_hi:[0,1,1]
	v_div_scale_f32 v6, s[78:79], v7, v7, v5
	v_rcp_f32_e32 v8, v6
	v_lshl_add_u64 v[2:3], v[2:3], 3, v[114:115]
	v_fma_f32 v9, -v6, v8, 1.0
	v_fmac_f32_e32 v8, v9, v8
	v_div_scale_f32 v9, vcc, v5, v7, v5
	v_mul_f32_e32 v10, v9, v8
	v_fma_f32 v11, -v6, v10, v9
	v_fmac_f32_e32 v10, v11, v8
	v_fma_f32 v6, -v6, v10, v9
	v_div_scale_f32 v9, s[78:79], v7, v7, v4
	v_rcp_f32_e32 v11, v9
	v_div_fmas_f32 v6, v6, v8, v10
	v_div_fixup_f32 v5, v6, v7, v5
	v_fma_f32 v6, -v9, v11, 1.0
	v_fmac_f32_e32 v11, v6, v11
	v_div_scale_f32 v6, vcc, v4, v7, v4
	v_mul_f32_e32 v8, v6, v11
	v_fma_f32 v10, -v9, v8, v6
	v_fmac_f32_e32 v8, v10, v11
	v_fma_f32 v6, -v9, v8, v6
	v_div_fmas_f32 v6, v6, v11, v8
	v_div_fixup_f32 v4, v6, v7, v4
	global_store_dwordx2 v[2:3], v[4:5], off
	v_mov_b32_e32 v3, 0
.LBB29_285:                             ;   in Loop: Header=BB29_10 Depth=1
	s_or_b64 exec, exec, s[14:15]
	v_cmp_gt_i32_e32 vcc, s96, v3
	s_mov_b64 s[14:15], -1
	s_and_saveexec_b64 s[78:79], vcc
; %bb.286:                              ;   in Loop: Header=BB29_10 Depth=1
	v_cmp_eq_u32_e32 vcc, 0, v3
	s_orn2_b64 s[14:15], vcc, exec
; %bb.287:                              ;   in Loop: Header=BB29_10 Depth=1
	s_or_b64 exec, exec, s[78:79]
	s_and_b64 exec, exec, s[14:15]
	s_cbranch_execz .LBB29_8
; %bb.288:                              ;   in Loop: Header=BB29_10 Depth=1
	v_add_u32_e32 v2, v180, v216
	v_cmp_gt_i32_e32 vcc, s36, v2
	s_and_b64 s[78:79], vcc, s[10:11]
	v_mov_b32_e32 v3, 0x47
	s_and_saveexec_b64 s[14:15], s[78:79]
	s_cbranch_execz .LBB29_290
; %bb.289:                              ;   in Loop: Header=BB29_10 Depth=1
	v_add_u32_e32 v3, v153, v181
	ds_read2st64_b32 v[4:5], v3 offset1:17
	v_add_u32_e32 v3, 0, v181
	ds_read2_b32 v[6:7], v3 offset0:64 offset1:65
	ds_read_b32 v8, v3 offset:4608
	v_mad_u64_u32 v[2:3], s[78:79], v2, s37, v[104:105]
	s_waitcnt lgkmcnt(2)
	v_cvt_f32_f16_e32 v10, v4
	v_cvt_f32_f16_sdwa v11, v4 dst_sel:DWORD dst_unused:UNUSED_PAD src0_sel:WORD_1
	v_cvt_f32_f16_e32 v4, v5
	v_cvt_f32_f16_sdwa v5, v5 dst_sel:DWORD dst_unused:UNUSED_PAD src0_sel:WORD_1
	v_lshl_add_u32 v2, v2, 6, v54
	s_waitcnt lgkmcnt(1)
	v_pk_fma_f32 v[10:11], v[6:7], v[10:11], 0 op_sel_hi:[0,1,0]
	v_ashrrev_i32_e32 v3, 31, v2
	s_waitcnt lgkmcnt(0)
	v_pk_fma_f32 v[4:5], v[8:9], v[4:5], v[10:11] op_sel_hi:[0,1,1]
	v_div_scale_f32 v6, s[78:79], v7, v7, v5
	v_rcp_f32_e32 v8, v6
	v_lshl_add_u64 v[2:3], v[2:3], 3, v[114:115]
	v_fma_f32 v9, -v6, v8, 1.0
	v_fmac_f32_e32 v8, v9, v8
	v_div_scale_f32 v9, vcc, v5, v7, v5
	v_mul_f32_e32 v10, v9, v8
	v_fma_f32 v11, -v6, v10, v9
	v_fmac_f32_e32 v10, v11, v8
	v_fma_f32 v6, -v6, v10, v9
	v_div_scale_f32 v9, s[78:79], v7, v7, v4
	v_rcp_f32_e32 v11, v9
	v_div_fmas_f32 v6, v6, v8, v10
	v_div_fixup_f32 v5, v6, v7, v5
	v_fma_f32 v6, -v9, v11, 1.0
	v_fmac_f32_e32 v11, v6, v11
	v_div_scale_f32 v6, vcc, v4, v7, v4
	v_mul_f32_e32 v8, v6, v11
	v_fma_f32 v10, -v9, v8, v6
	v_fmac_f32_e32 v8, v10, v11
	v_fma_f32 v6, -v9, v8, v6
	v_div_fmas_f32 v6, v6, v11, v8
	v_div_fixup_f32 v4, v6, v7, v4
	global_store_dwordx2 v[2:3], v[4:5], off
	v_mov_b32_e32 v3, 0
.LBB29_290:                             ;   in Loop: Header=BB29_10 Depth=1
	s_or_b64 exec, exec, s[14:15]
	v_cmp_gt_i32_e32 vcc, s96, v3
	s_mov_b64 s[14:15], -1
	s_and_saveexec_b64 s[78:79], vcc
; %bb.291:                              ;   in Loop: Header=BB29_10 Depth=1
	v_cmp_eq_u32_e32 vcc, 0, v3
	s_orn2_b64 s[14:15], vcc, exec
; %bb.292:                              ;   in Loop: Header=BB29_10 Depth=1
	s_or_b64 exec, exec, s[78:79]
	s_and_b64 exec, exec, s[14:15]
	s_cbranch_execz .LBB29_8
; %bb.293:                              ;   in Loop: Header=BB29_10 Depth=1
	v_add_u32_e32 v2, v212, v216
	v_or_b32_e32 v3, v98, v103
	v_cmp_gt_i32_e32 vcc, s36, v2
	v_cmp_gt_i32_e64 s[14:15], s3, v3
	s_and_b64 s[78:79], vcc, s[14:15]
	v_mov_b32_e32 v3, 0x47
	s_and_saveexec_b64 s[14:15], s[78:79]
	s_cbranch_execz .LBB29_295
; %bb.294:                              ;   in Loop: Header=BB29_10 Depth=1
	v_add_u32_e32 v3, v153, v182
	ds_read2st64_b32 v[4:5], v3 offset1:17
	v_add_u32_e32 v3, 0, v182
	ds_read2_b32 v[6:7], v3 offset0:64 offset1:65
	ds_read_b32 v8, v3 offset:4608
	v_mad_u64_u32 v[2:3], s[78:79], v2, s37, v[98:99]
	s_waitcnt lgkmcnt(2)
	v_cvt_f32_f16_e32 v10, v4
	v_cvt_f32_f16_sdwa v11, v4 dst_sel:DWORD dst_unused:UNUSED_PAD src0_sel:WORD_1
	v_cvt_f32_f16_e32 v4, v5
	v_cvt_f32_f16_sdwa v5, v5 dst_sel:DWORD dst_unused:UNUSED_PAD src0_sel:WORD_1
	v_lshl_add_u32 v2, v2, 6, v54
	s_waitcnt lgkmcnt(1)
	v_pk_fma_f32 v[10:11], v[6:7], v[10:11], 0 op_sel_hi:[0,1,0]
	v_ashrrev_i32_e32 v3, 31, v2
	s_waitcnt lgkmcnt(0)
	v_pk_fma_f32 v[4:5], v[8:9], v[4:5], v[10:11] op_sel_hi:[0,1,1]
	v_div_scale_f32 v6, s[78:79], v7, v7, v5
	v_rcp_f32_e32 v8, v6
	v_lshl_add_u64 v[2:3], v[2:3], 3, v[114:115]
	v_fma_f32 v9, -v6, v8, 1.0
	v_fmac_f32_e32 v8, v9, v8
	v_div_scale_f32 v9, vcc, v5, v7, v5
	v_mul_f32_e32 v10, v9, v8
	v_fma_f32 v11, -v6, v10, v9
	v_fmac_f32_e32 v10, v11, v8
	v_fma_f32 v6, -v6, v10, v9
	v_div_scale_f32 v9, s[78:79], v7, v7, v4
	v_rcp_f32_e32 v11, v9
	v_div_fmas_f32 v6, v6, v8, v10
	v_div_fixup_f32 v5, v6, v7, v5
	v_fma_f32 v6, -v9, v11, 1.0
	v_fmac_f32_e32 v11, v6, v11
	v_div_scale_f32 v6, vcc, v4, v7, v4
	v_mul_f32_e32 v8, v6, v11
	v_fma_f32 v10, -v9, v8, v6
	v_fmac_f32_e32 v8, v10, v11
	v_fma_f32 v6, -v9, v8, v6
	v_div_fmas_f32 v6, v6, v11, v8
	v_div_fixup_f32 v4, v6, v7, v4
	global_store_dwordx2 v[2:3], v[4:5], off
	v_mov_b32_e32 v3, 0
.LBB29_295:                             ;   in Loop: Header=BB29_10 Depth=1
	s_or_b64 exec, exec, s[14:15]
	v_cmp_gt_i32_e32 vcc, s96, v3
	s_mov_b64 s[14:15], -1
	s_and_saveexec_b64 s[78:79], vcc
; %bb.296:                              ;   in Loop: Header=BB29_10 Depth=1
	v_cmp_eq_u32_e32 vcc, 0, v3
	s_orn2_b64 s[14:15], vcc, exec
; %bb.297:                              ;   in Loop: Header=BB29_10 Depth=1
	s_or_b64 exec, exec, s[78:79]
	s_and_b64 exec, exec, s[14:15]
	s_cbranch_execz .LBB29_8
; %bb.298:                              ;   in Loop: Header=BB29_10 Depth=1
	v_add_u32_e32 v2, v183, v216
	v_cmp_gt_i32_e32 vcc, s36, v2
	s_and_b64 s[14:15], vcc, s[10:11]
	v_mov_b32_e32 v3, 0x47
	s_and_saveexec_b64 s[10:11], s[14:15]
	s_cbranch_execz .LBB29_300
; %bb.299:                              ;   in Loop: Header=BB29_10 Depth=1
	v_add_u32_e32 v3, v153, v184
	ds_read2st64_b32 v[4:5], v3 offset1:17
	v_add_u32_e32 v3, 0, v184
	ds_read2_b32 v[6:7], v3 offset0:64 offset1:65
	ds_read_b32 v8, v3 offset:4608
	v_mad_u64_u32 v[2:3], s[14:15], v2, s37, v[104:105]
	s_waitcnt lgkmcnt(2)
	v_cvt_f32_f16_e32 v10, v4
	v_cvt_f32_f16_sdwa v11, v4 dst_sel:DWORD dst_unused:UNUSED_PAD src0_sel:WORD_1
	v_cvt_f32_f16_e32 v4, v5
	v_cvt_f32_f16_sdwa v5, v5 dst_sel:DWORD dst_unused:UNUSED_PAD src0_sel:WORD_1
	v_lshl_add_u32 v2, v2, 6, v54
	s_waitcnt lgkmcnt(1)
	v_pk_fma_f32 v[10:11], v[6:7], v[10:11], 0 op_sel_hi:[0,1,0]
	v_ashrrev_i32_e32 v3, 31, v2
	s_waitcnt lgkmcnt(0)
	v_pk_fma_f32 v[4:5], v[8:9], v[4:5], v[10:11] op_sel_hi:[0,1,1]
	v_div_scale_f32 v6, s[14:15], v7, v7, v5
	v_rcp_f32_e32 v8, v6
	v_lshl_add_u64 v[2:3], v[2:3], 3, v[114:115]
	v_fma_f32 v9, -v6, v8, 1.0
	v_fmac_f32_e32 v8, v9, v8
	v_div_scale_f32 v9, vcc, v5, v7, v5
	v_mul_f32_e32 v10, v9, v8
	v_fma_f32 v11, -v6, v10, v9
	v_fmac_f32_e32 v10, v11, v8
	v_fma_f32 v6, -v6, v10, v9
	v_div_scale_f32 v9, s[14:15], v7, v7, v4
	v_rcp_f32_e32 v11, v9
	v_div_fmas_f32 v6, v6, v8, v10
	v_div_fixup_f32 v5, v6, v7, v5
	v_fma_f32 v6, -v9, v11, 1.0
	v_fmac_f32_e32 v11, v6, v11
	v_div_scale_f32 v6, vcc, v4, v7, v4
	v_mul_f32_e32 v8, v6, v11
	v_fma_f32 v10, -v9, v8, v6
	v_fmac_f32_e32 v8, v10, v11
	v_fma_f32 v6, -v9, v8, v6
	v_div_fmas_f32 v6, v6, v11, v8
	v_div_fixup_f32 v4, v6, v7, v4
	global_store_dwordx2 v[2:3], v[4:5], off
	v_mov_b32_e32 v3, 0
.LBB29_300:                             ;   in Loop: Header=BB29_10 Depth=1
	s_or_b64 exec, exec, s[10:11]
	v_cmp_gt_i32_e32 vcc, s96, v3
	s_mov_b64 s[10:11], -1
	s_and_saveexec_b64 s[14:15], vcc
; %bb.301:                              ;   in Loop: Header=BB29_10 Depth=1
	v_cmp_eq_u32_e32 vcc, 0, v3
	s_orn2_b64 s[10:11], vcc, exec
; %bb.302:                              ;   in Loop: Header=BB29_10 Depth=1
	s_or_b64 exec, exec, s[14:15]
	s_and_b64 exec, exec, s[10:11]
	s_cbranch_execz .LBB29_8
; %bb.303:                              ;   in Loop: Header=BB29_10 Depth=1
	v_add_u32_e32 v2, v213, v216
	v_or_b32_e32 v3, v100, v103
	v_cmp_gt_i32_e32 vcc, s36, v2
	v_cmp_gt_i32_e64 s[10:11], s3, v3
	s_and_b64 s[10:11], vcc, s[10:11]
	s_and_b64 exec, exec, s[10:11]
	s_cbranch_execz .LBB29_8
; %bb.304:                              ;   in Loop: Header=BB29_10 Depth=1
	v_add_u32_e32 v3, v153, v185
	ds_read2st64_b32 v[4:5], v3 offset1:17
	v_add_u32_e32 v3, 0, v185
	ds_read2_b32 v[6:7], v3 offset0:64 offset1:65
	ds_read_b32 v8, v3 offset:4608
	v_mad_u64_u32 v[2:3], s[10:11], v2, s37, v[100:101]
	s_waitcnt lgkmcnt(2)
	v_cvt_f32_f16_e32 v10, v4
	v_cvt_f32_f16_sdwa v11, v4 dst_sel:DWORD dst_unused:UNUSED_PAD src0_sel:WORD_1
	v_cvt_f32_f16_e32 v4, v5
	v_cvt_f32_f16_sdwa v5, v5 dst_sel:DWORD dst_unused:UNUSED_PAD src0_sel:WORD_1
	v_lshl_add_u32 v2, v2, 6, v54
	s_waitcnt lgkmcnt(1)
	v_pk_fma_f32 v[10:11], v[6:7], v[10:11], 0 op_sel_hi:[0,1,0]
	v_ashrrev_i32_e32 v3, 31, v2
	s_waitcnt lgkmcnt(0)
	v_pk_fma_f32 v[4:5], v[8:9], v[4:5], v[10:11] op_sel_hi:[0,1,1]
	v_div_scale_f32 v6, s[10:11], v7, v7, v5
	v_rcp_f32_e32 v8, v6
	v_lshl_add_u64 v[2:3], v[2:3], 3, v[114:115]
	v_fma_f32 v9, -v6, v8, 1.0
	v_fmac_f32_e32 v8, v9, v8
	v_div_scale_f32 v9, vcc, v5, v7, v5
	v_mul_f32_e32 v10, v9, v8
	v_fma_f32 v11, -v6, v10, v9
	v_fmac_f32_e32 v10, v11, v8
	v_fma_f32 v6, -v6, v10, v9
	v_div_scale_f32 v9, s[10:11], v7, v7, v4
	v_rcp_f32_e32 v11, v9
	v_div_fmas_f32 v6, v6, v8, v10
	v_div_fixup_f32 v5, v6, v7, v5
	v_fma_f32 v6, -v9, v11, 1.0
	v_fmac_f32_e32 v11, v6, v11
	v_div_scale_f32 v6, vcc, v4, v7, v4
	v_mul_f32_e32 v8, v6, v11
	v_fma_f32 v10, -v9, v8, v6
	v_fmac_f32_e32 v8, v10, v11
	v_fma_f32 v6, -v9, v8, v6
	v_div_fmas_f32 v6, v6, v11, v8
	v_div_fixup_f32 v4, v6, v7, v4
	global_store_dwordx2 v[2:3], v[4:5], off
	s_branch .LBB29_8
.LBB29_305:
	s_andn2_b64 vcc, exec, s[10:11]
	s_cbranch_vccnz .LBB29_379
; %bb.306:
	s_abs_i32 s0, s83
	v_cvt_f32_u32_e32 v2, s0
	s_sub_i32 s5, 0, s0
	s_abs_i32 s4, s56
	s_xor_b32 s1, s56, s83
	v_rcp_iflag_f32_e32 v2, v2
	s_ashr_i32 s1, s1, 31
	v_mov_b32_e32 v24, s97
	v_mul_f32_e32 v2, 0x4f7ffffe, v2
	v_cvt_u32_f32_e32 v2, v2
	s_nop 0
	v_readfirstlane_b32 s6, v2
	s_mul_i32 s5, s5, s6
	s_mul_hi_u32 s5, s6, s5
	s_add_i32 s6, s6, s5
	s_mul_hi_u32 s5, s4, s6
	s_mul_i32 s6, s5, s0
	s_sub_i32 s4, s4, s6
	s_add_i32 s7, s5, 1
	s_sub_i32 s6, s4, s0
	s_cmp_ge_u32 s4, s0
	s_cselect_b32 s5, s7, s5
	s_cselect_b32 s4, s6, s4
	s_add_i32 s6, s5, 1
	s_cmp_ge_u32 s4, s0
	s_cselect_b32 s0, s6, s5
	s_abs_i32 s4, s82
	v_cvt_f32_u32_e32 v2, s4
	s_xor_b32 s0, s0, s1
	s_sub_i32 s5, 0, s4
	s_sub_i32 s8, s0, s1
	v_rcp_iflag_f32_e32 v2, v2
	s_mul_i32 s0, s8, s83
	s_sub_i32 s0, s56, s0
	s_abs_i32 s6, s0
	v_mul_f32_e32 v2, 0x4f7ffffe, v2
	v_cvt_u32_f32_e32 v2, v2
	s_xor_b32 s1, s0, s82
	s_ashr_i32 s1, s1, 31
	v_readfirstlane_b32 s7, v2
	s_mul_i32 s5, s5, s7
	s_mul_hi_u32 s5, s7, s5
	s_add_i32 s7, s7, s5
	s_mul_hi_u32 s5, s6, s7
	s_mul_i32 s7, s5, s4
	s_sub_i32 s6, s6, s7
	s_add_i32 s9, s5, 1
	s_sub_i32 s7, s6, s4
	s_cmp_ge_u32 s6, s4
	s_cselect_b32 s5, s9, s5
	s_cselect_b32 s6, s7, s6
	s_add_i32 s7, s5, 1
	s_cmp_ge_u32 s6, s4
	s_cselect_b32 s4, s7, s5
	s_abs_i32 s5, s81
	v_cvt_f32_u32_e32 v2, s5
	s_xor_b32 s4, s4, s1
	s_sub_i32 s6, 0, s5
	s_sub_i32 s9, s4, s1
	v_rcp_iflag_f32_e32 v2, v2
	s_mul_i32 s1, s9, s82
	s_sub_i32 s1, s0, s1
	s_abs_i32 s4, s1
	v_mul_f32_e32 v2, 0x4f7ffffe, v2
	v_cvt_u32_f32_e32 v2, v2
	s_xor_b32 s0, s1, s81
	s_ashr_i32 s0, s0, 31
	v_readfirstlane_b32 s7, v2
	s_mul_i32 s6, s6, s7
	s_mul_hi_u32 s6, s7, s6
	s_add_i32 s7, s7, s6
	s_mul_hi_u32 s6, s4, s7
	s_mul_i32 s7, s6, s5
	s_sub_i32 s4, s4, s7
	s_add_i32 s10, s6, 1
	s_sub_i32 s7, s4, s5
	s_cmp_ge_u32 s4, s5
	s_cselect_b32 s6, s10, s6
	s_cselect_b32 s4, s7, s4
	s_add_i32 s7, s6, 1
	s_cmp_ge_u32 s4, s5
	s_cselect_b32 s4, s7, s6
	s_xor_b32 s4, s4, s0
	s_sub_i32 s0, s4, s0
	s_mul_i32 s4, s0, s81
	s_sub_i32 s1, s1, s4
	s_ashr_i32 s4, s1, 31
	s_abs_i32 s1, s1
	s_mul_hi_u32 s5, s1, s52
	s_mul_i32 s6, s5, s85
	s_sub_i32 s1, s1, s6
	s_xor_b32 s4, s4, s42
	s_add_i32 s6, s5, 1
	s_sub_i32 s7, s1, s85
	s_cmp_ge_u32 s1, s85
	s_cselect_b32 s5, s6, s5
	s_cselect_b32 s1, s7, s1
	s_add_i32 s6, s5, 1
	s_cmp_ge_u32 s1, s85
	s_cselect_b32 s1, s6, s5
	s_abs_i32 s11, s58
	v_cvt_f32_u32_e32 v2, s11
	s_xor_b32 s1, s1, s4
	s_sub_i32 s1, s1, s4
	s_cmp_eq_u64 s[26:27], 0
	v_rcp_iflag_f32_e32 v2, v2
	s_nop 0
	v_mul_f32_e32 v2, 0x4f7ffffe, v2
	v_cvt_u32_f32_e32 v2, v2
	s_nop 0
	v_readfirstlane_b32 s12, v2
	s_cbranch_scc1 .LBB29_308
; %bb.307:
	s_mul_i32 s4, s8, s80
	s_add_i32 s4, s1, s4
	s_ashr_i32 s5, s4, 31
	s_lshl_b64 s[4:5], s[4:5], 2
	s_add_u32 s4, s26, s4
	s_addc_u32 s5, s27, s5
	v_mov_b32_e32 v2, 0
	global_load_dword v2, v2, s[4:5]
	s_waitcnt vmcnt(0)
	v_ashrrev_i32_e32 v3, 31, v2
	v_lshrrev_b32_e32 v3, 26, v3
	v_add_u32_e32 v2, v2, v3
	v_ashrrev_i32_e32 v2, 6, v2
	v_min_i32_e32 v24, s97, v2
.LBB29_308:
	s_mul_i32 s4, s9, s3
	s_lshl_b32 s13, s0, 3
	s_add_i32 s0, s13, s4
	s_mul_i32 s4, s8, s55
	s_ashr_i32 s5, s4, 31
	s_add_u32 s4, s16, s4
	s_mul_i32 s0, s0, s54
	s_addc_u32 s5, s17, s5
	s_ashr_i32 s7, s0, 31
	s_add_u32 s6, s4, s0
	s_addc_u32 s7, s5, s7
	v_and_b32_e32 v46, 0x3ff, v0
	s_lshl_b32 s10, s1, 3
	v_bfe_u32 v0, v99, 3, 7
	v_add_u32_e32 v2, s10, v0
	v_or_b32_e32 v0, s13, v79
	v_cmp_le_i32_e64 s[0:1], s36, v2
	v_cmp_le_i32_e64 s[4:5], s3, v0
	s_mov_b32 s14, 0x10001
	v_lshl_add_u32 v47, v46, 2, 0
	v_cmp_gt_i32_e32 vcc, s3, v0
	s_or_b64 s[0:1], s[0:1], s[4:5]
	s_and_saveexec_b64 s[4:5], s[0:1]
	s_xor_b64 s[0:1], exec, s[4:5]
; %bb.309:
	s_movk_i32 s4, 0x190
	v_mad_u32_u24 v0, v55, s4, v47
	v_mov_b32_e32 v2, 0
	ds_write_b32 v0, v2
                                        ; implicit-def: $vgpr2
; %bb.310:
	s_or_saveexec_b64 s[0:1], s[0:1]
	v_mul_lo_u32 v0, v97, s14
	s_xor_b64 exec, exec, s[0:1]
	s_cbranch_execz .LBB29_312
; %bb.311:
	v_mul_lo_u32 v2, v2, s57
	v_mul_lo_u32 v3, v79, s61
	v_add3_u32 v2, v3, v46, v2
	v_ashrrev_i32_e32 v3, 31, v2
	v_lshl_add_u64 v[2:3], v[2:3], 3, s[6:7]
	global_load_dwordx2 v[2:3], v[2:3], off
	s_movk_i32 s4, 0x190
	s_waitcnt vmcnt(0)
	v_cvt_pk_f16_f32 v2, v2, v3
	v_pk_mul_f16 v2, v2, v0
	v_mad_u32_u24 v3, v55, s4, v47
	ds_write_b32 v3, v2
.LBB29_312:
	s_or_b64 exec, exec, s[0:1]
	v_lshrrev_b32_e32 v2, 3, v95
	v_add_u32_e32 v2, s10, v2
	v_cmp_le_i32_e64 s[0:1], s36, v2
	s_xor_b64 s[4:5], vcc, -1
	s_or_b64 s[0:1], s[0:1], s[4:5]
	s_and_saveexec_b64 s[14:15], s[0:1]
	s_xor_b64 s[0:1], exec, s[14:15]
; %bb.313:
	s_movk_i32 s14, 0x190
	v_mad_u32_u24 v2, v95, s14, v47
	v_mov_b32_e32 v3, 0
	ds_write_b32 v2, v3
                                        ; implicit-def: $vgpr2
                                        ; implicit-def: $vgpr95
; %bb.314:
	s_andn2_saveexec_b64 s[0:1], s[0:1]
	s_cbranch_execz .LBB29_316
; %bb.315:
	v_mul_lo_u32 v2, v2, s57
	v_mul_lo_u32 v3, v79, s61
	v_add3_u32 v2, v3, v46, v2
	v_ashrrev_i32_e32 v3, 31, v2
	v_lshl_add_u64 v[2:3], v[2:3], 3, s[6:7]
	global_load_dwordx2 v[2:3], v[2:3], off
	s_movk_i32 s14, 0x190
	s_waitcnt vmcnt(0)
	v_cvt_pk_f16_f32 v2, v2, v3
	v_pk_mul_f16 v2, v2, v0
	v_mad_u32_u24 v3, v95, s14, v47
	ds_write_b32 v3, v2
.LBB29_316:
	s_or_b64 exec, exec, s[0:1]
	v_lshrrev_b32_e32 v2, 3, v93
	v_add_u32_e32 v2, s10, v2
	v_cmp_le_i32_e32 vcc, s36, v2
	s_or_b64 s[0:1], vcc, s[4:5]
	s_and_saveexec_b64 s[14:15], s[0:1]
	s_xor_b64 s[0:1], exec, s[14:15]
; %bb.317:
	s_movk_i32 s14, 0x190
	v_mad_u32_u24 v2, v93, s14, v47
	v_mov_b32_e32 v3, 0
	ds_write_b32 v2, v3
                                        ; implicit-def: $vgpr2
                                        ; implicit-def: $vgpr93
; %bb.318:
	s_andn2_saveexec_b64 s[0:1], s[0:1]
	s_cbranch_execz .LBB29_320
; %bb.319:
	v_mul_lo_u32 v2, v2, s57
	v_mul_lo_u32 v3, v79, s61
	v_add3_u32 v2, v3, v46, v2
	v_ashrrev_i32_e32 v3, 31, v2
	v_lshl_add_u64 v[2:3], v[2:3], 3, s[6:7]
	global_load_dwordx2 v[2:3], v[2:3], off
	s_movk_i32 s14, 0x190
	s_waitcnt vmcnt(0)
	v_cvt_pk_f16_f32 v2, v2, v3
	v_pk_mul_f16 v2, v2, v0
	v_mad_u32_u24 v3, v93, s14, v47
	ds_write_b32 v3, v2
.LBB29_320:
	s_or_b64 exec, exec, s[0:1]
	v_lshrrev_b32_e32 v2, 3, v91
	v_add_u32_e32 v2, s10, v2
	v_cmp_le_i32_e32 vcc, s36, v2
	s_or_b64 s[0:1], vcc, s[4:5]
	s_and_saveexec_b64 s[14:15], s[0:1]
	s_xor_b64 s[0:1], exec, s[14:15]
; %bb.321:
	s_movk_i32 s14, 0x190
	v_mad_u32_u24 v2, v91, s14, v47
	v_mov_b32_e32 v3, 0
	ds_write_b32 v2, v3
                                        ; implicit-def: $vgpr2
                                        ; implicit-def: $vgpr91
; %bb.322:
	s_andn2_saveexec_b64 s[0:1], s[0:1]
	s_cbranch_execz .LBB29_324
; %bb.323:
	v_mul_lo_u32 v2, v2, s57
	v_mul_lo_u32 v3, v79, s61
	v_add3_u32 v2, v3, v46, v2
	v_ashrrev_i32_e32 v3, 31, v2
	v_lshl_add_u64 v[2:3], v[2:3], 3, s[6:7]
	global_load_dwordx2 v[2:3], v[2:3], off
	s_movk_i32 s14, 0x190
	s_waitcnt vmcnt(0)
	v_cvt_pk_f16_f32 v2, v2, v3
	v_pk_mul_f16 v2, v2, v0
	v_mad_u32_u24 v3, v91, s14, v47
	ds_write_b32 v3, v2
.LBB29_324:
	s_or_b64 exec, exec, s[0:1]
	v_lshrrev_b32_e32 v2, 3, v89
	v_add_u32_e32 v2, s10, v2
	v_cmp_le_i32_e32 vcc, s36, v2
	s_or_b64 s[0:1], vcc, s[4:5]
	s_and_saveexec_b64 s[14:15], s[0:1]
	s_xor_b64 s[0:1], exec, s[14:15]
; %bb.325:
	s_movk_i32 s14, 0x190
	v_mad_u32_u24 v2, v89, s14, v47
	v_mov_b32_e32 v3, 0
	ds_write_b32 v2, v3
                                        ; implicit-def: $vgpr2
                                        ; implicit-def: $vgpr89
; %bb.326:
	s_andn2_saveexec_b64 s[0:1], s[0:1]
	s_cbranch_execz .LBB29_328
; %bb.327:
	v_mul_lo_u32 v2, v2, s57
	v_mul_lo_u32 v3, v79, s61
	v_add3_u32 v2, v3, v46, v2
	v_ashrrev_i32_e32 v3, 31, v2
	v_lshl_add_u64 v[2:3], v[2:3], 3, s[6:7]
	global_load_dwordx2 v[2:3], v[2:3], off
	s_movk_i32 s14, 0x190
	s_waitcnt vmcnt(0)
	v_cvt_pk_f16_f32 v2, v2, v3
	v_pk_mul_f16 v2, v2, v0
	v_mad_u32_u24 v3, v89, s14, v47
	ds_write_b32 v3, v2
.LBB29_328:
	s_or_b64 exec, exec, s[0:1]
	v_lshrrev_b32_e32 v2, 3, v87
	v_add_u32_e32 v2, s10, v2
	v_cmp_le_i32_e32 vcc, s36, v2
	s_or_b64 s[0:1], vcc, s[4:5]
	s_and_saveexec_b64 s[14:15], s[0:1]
	s_xor_b64 s[0:1], exec, s[14:15]
; %bb.329:
	s_movk_i32 s14, 0x190
	v_mad_u32_u24 v2, v87, s14, v47
	v_mov_b32_e32 v3, 0
	ds_write_b32 v2, v3
                                        ; implicit-def: $vgpr2
                                        ; implicit-def: $vgpr87
; %bb.330:
	s_andn2_saveexec_b64 s[0:1], s[0:1]
	s_cbranch_execz .LBB29_332
; %bb.331:
	v_mul_lo_u32 v2, v2, s57
	v_mul_lo_u32 v3, v79, s61
	v_add3_u32 v2, v3, v46, v2
	v_ashrrev_i32_e32 v3, 31, v2
	v_lshl_add_u64 v[2:3], v[2:3], 3, s[6:7]
	global_load_dwordx2 v[2:3], v[2:3], off
	s_movk_i32 s14, 0x190
	s_waitcnt vmcnt(0)
	v_cvt_pk_f16_f32 v2, v2, v3
	v_pk_mul_f16 v2, v2, v0
	v_mad_u32_u24 v3, v87, s14, v47
	ds_write_b32 v3, v2
.LBB29_332:
	s_or_b64 exec, exec, s[0:1]
	v_lshrrev_b32_e32 v2, 3, v85
	v_add_u32_e32 v2, s10, v2
	v_cmp_le_i32_e32 vcc, s36, v2
	s_or_b64 s[0:1], vcc, s[4:5]
	s_and_saveexec_b64 s[14:15], s[0:1]
	s_xor_b64 s[0:1], exec, s[14:15]
; %bb.333:
	s_movk_i32 s14, 0x190
	v_mad_u32_u24 v2, v85, s14, v47
	v_mov_b32_e32 v3, 0
	ds_write_b32 v2, v3
                                        ; implicit-def: $vgpr2
                                        ; implicit-def: $vgpr85
; %bb.334:
	s_andn2_saveexec_b64 s[0:1], s[0:1]
	s_cbranch_execz .LBB29_336
; %bb.335:
	v_mul_lo_u32 v2, v2, s57
	v_mul_lo_u32 v3, v79, s61
	v_add3_u32 v2, v3, v46, v2
	v_ashrrev_i32_e32 v3, 31, v2
	v_lshl_add_u64 v[2:3], v[2:3], 3, s[6:7]
	global_load_dwordx2 v[2:3], v[2:3], off
	s_movk_i32 s14, 0x190
	s_waitcnt vmcnt(0)
	v_cvt_pk_f16_f32 v2, v2, v3
	v_pk_mul_f16 v2, v2, v0
	v_mad_u32_u24 v3, v85, s14, v47
	ds_write_b32 v3, v2
.LBB29_336:
	s_or_b64 exec, exec, s[0:1]
	v_lshrrev_b32_e32 v2, 3, v1
	v_add_u32_e32 v2, s10, v2
	v_cmp_le_i32_e32 vcc, s36, v2
	s_or_b64 s[0:1], vcc, s[4:5]
	s_and_saveexec_b64 s[4:5], s[0:1]
	s_xor_b64 s[0:1], exec, s[4:5]
; %bb.337:
	s_movk_i32 s4, 0x190
	v_mad_u32_u24 v1, v1, s4, v47
	v_mov_b32_e32 v2, 0
	ds_write_b32 v1, v2
                                        ; implicit-def: $vgpr2
                                        ; implicit-def: $vgpr79
                                        ; implicit-def: $vgpr1
; %bb.338:
	s_andn2_saveexec_b64 s[0:1], s[0:1]
	s_cbranch_execz .LBB29_340
; %bb.339:
	v_mul_lo_u32 v2, v2, s57
	v_mul_lo_u32 v3, v79, s61
	v_add3_u32 v2, v3, v46, v2
	v_ashrrev_i32_e32 v3, 31, v2
	v_lshl_add_u64 v[2:3], v[2:3], 3, s[6:7]
	global_load_dwordx2 v[2:3], v[2:3], off
	s_movk_i32 s4, 0x190
	v_mad_u32_u24 v1, v1, s4, v47
	s_waitcnt vmcnt(0)
	v_cvt_pk_f16_f32 v2, v2, v3
	v_pk_mul_f16 v2, v2, v0
	ds_write_b32 v1, v2
.LBB29_340:
	s_or_b64 exec, exec, s[0:1]
	v_lshrrev_b32_e32 v1, 5, v46
	v_lshl_add_u32 v29, v55, 1, v1
	v_lshrrev_b32_e32 v2, 3, v29
	v_and_b32_e32 v1, 7, v29
	v_add_u32_e32 v4, s10, v2
	v_or_b32_e32 v2, s13, v1
	v_cmp_le_i32_e64 s[0:1], s36, v4
	v_cmp_le_i32_e64 s[4:5], s3, v2
	v_and_b32_e32 v48, 31, v46
	v_cmp_gt_i32_e32 vcc, s3, v2
	s_or_b64 s[0:1], s[0:1], s[4:5]
	s_and_saveexec_b64 s[4:5], s[0:1]
	s_xor_b64 s[0:1], exec, s[4:5]
; %bb.341:
	v_mul_u32_u24_e32 v2, 0x190, v29
	v_lshlrev_b32_e32 v3, 2, v48
	v_add3_u32 v2, 0, v2, v3
	v_mov_b32_e32 v3, 0
	ds_write_b32 v2, v3 offset:256
                                        ; implicit-def: $vgpr4
; %bb.342:
	s_or_saveexec_b64 s[0:1], s[0:1]
	v_or_b32_e32 v3, 64, v48
	v_lshl_add_u32 v2, v48, 2, 0
	s_xor_b64 exec, exec, s[0:1]
	s_cbranch_execz .LBB29_344
; %bb.343:
	v_mul_lo_u32 v4, v4, s57
	v_mul_lo_u32 v5, v1, s61
	v_add3_u32 v4, v5, v3, v4
	v_ashrrev_i32_e32 v5, 31, v4
	v_lshl_add_u64 v[4:5], v[4:5], 3, s[6:7]
	global_load_dwordx2 v[4:5], v[4:5], off
	s_movk_i32 s3, 0x190
	s_waitcnt vmcnt(0)
	v_cvt_pk_f16_f32 v4, v4, v5
	v_pk_mul_f16 v4, v4, v0
	v_mad_u32_u24 v5, v29, s3, v2
	ds_write_b32 v5, v4 offset:256
.LBB29_344:
	s_or_b64 exec, exec, s[0:1]
	v_add_u32_e32 v4, 16, v29
	v_lshrrev_b32_e32 v5, 3, v4
	v_add_u32_e32 v5, s10, v5
	v_cmp_le_i32_e64 s[0:1], s36, v5
	s_xor_b64 s[4:5], vcc, -1
	s_sub_i32 s3, 0, s11
	s_or_b64 s[0:1], s[0:1], s[4:5]
	s_and_saveexec_b64 s[14:15], s[0:1]
	s_xor_b64 s[0:1], exec, s[14:15]
; %bb.345:
	v_mul_u32_u24_e32 v4, 0x190, v4
	v_lshlrev_b32_e32 v5, 2, v48
	v_add3_u32 v4, 0, v4, v5
	v_mov_b32_e32 v5, 0
	ds_write_b32 v4, v5 offset:256
                                        ; implicit-def: $vgpr5
                                        ; implicit-def: $vgpr4
; %bb.346:
	s_or_saveexec_b64 s[0:1], s[0:1]
	s_mul_i32 s3, s3, s12
	s_xor_b64 exec, exec, s[0:1]
	s_cbranch_execz .LBB29_348
; %bb.347:
	v_mul_lo_u32 v5, v5, s57
	v_mul_lo_u32 v6, v1, s61
	v_add3_u32 v6, v6, v3, v5
	v_ashrrev_i32_e32 v7, 31, v6
	v_lshl_add_u64 v[6:7], v[6:7], 3, s[6:7]
	global_load_dwordx2 v[6:7], v[6:7], off
	s_movk_i32 s13, 0x190
	v_mad_u32_u24 v4, v4, s13, v2
	s_waitcnt vmcnt(0)
	v_cvt_pk_f16_f32 v5, v6, v7
	v_pk_mul_f16 v5, v5, v0
	ds_write_b32 v4, v5 offset:256
.LBB29_348:
	s_or_b64 exec, exec, s[0:1]
	v_add_u32_e32 v4, 32, v29
	v_lshrrev_b32_e32 v5, 3, v4
	v_add_u32_e32 v5, s10, v5
	v_cmp_le_i32_e32 vcc, s36, v5
	s_mul_hi_u32 s13, s12, s3
	s_or_b64 s[0:1], vcc, s[4:5]
	s_and_saveexec_b64 s[14:15], s[0:1]
	s_xor_b64 s[0:1], exec, s[14:15]
; %bb.349:
	v_mul_u32_u24_e32 v4, 0x190, v4
	v_lshlrev_b32_e32 v5, 2, v48
	v_add3_u32 v4, 0, v4, v5
	v_mov_b32_e32 v5, 0
	ds_write_b32 v4, v5 offset:256
                                        ; implicit-def: $vgpr5
                                        ; implicit-def: $vgpr4
; %bb.350:
	s_or_saveexec_b64 s[0:1], s[0:1]
	s_abs_i32 s3, s8
	s_add_i32 s12, s12, s13
	s_xor_b64 exec, exec, s[0:1]
	s_cbranch_execz .LBB29_352
; %bb.351:
	v_mul_lo_u32 v5, v5, s57
	v_mul_lo_u32 v6, v1, s61
	v_add3_u32 v6, v6, v3, v5
	v_ashrrev_i32_e32 v7, 31, v6
	v_lshl_add_u64 v[6:7], v[6:7], 3, s[6:7]
	global_load_dwordx2 v[6:7], v[6:7], off
	s_movk_i32 s13, 0x190
	v_mad_u32_u24 v4, v4, s13, v2
	s_waitcnt vmcnt(0)
	v_cvt_pk_f16_f32 v5, v6, v7
	v_pk_mul_f16 v5, v5, v0
	ds_write_b32 v4, v5 offset:256
.LBB29_352:
	s_or_b64 exec, exec, s[0:1]
	v_add_u32_e32 v4, 48, v29
	v_lshrrev_b32_e32 v5, 3, v4
	v_add_u32_e32 v5, s10, v5
	v_cmp_le_i32_e32 vcc, s36, v5
	s_mul_hi_u32 s14, s3, s12
	s_or_b64 s[0:1], vcc, s[4:5]
	s_and_saveexec_b64 s[4:5], s[0:1]
	s_xor_b64 s[0:1], exec, s[4:5]
; %bb.353:
	v_mul_u32_u24_e32 v0, 0x190, v4
	v_lshlrev_b32_e32 v1, 2, v48
	v_add3_u32 v0, 0, v0, v1
	v_mov_b32_e32 v1, 0
	ds_write_b32 v0, v1 offset:256
                                        ; implicit-def: $vgpr5
                                        ; implicit-def: $vgpr1
                                        ; implicit-def: $vgpr3
                                        ; implicit-def: $vgpr0
                                        ; implicit-def: $vgpr4
                                        ; implicit-def: $vgpr2
; %bb.354:
	s_or_saveexec_b64 s[0:1], s[0:1]
	s_ashr_i32 s15, s8, 31
	s_xor_b64 exec, exec, s[0:1]
	s_cbranch_execz .LBB29_356
; %bb.355:
	v_mul_lo_u32 v5, v5, s57
	v_mul_lo_u32 v1, v1, s61
	v_add3_u32 v6, v1, v3, v5
	v_ashrrev_i32_e32 v7, 31, v6
	v_lshl_add_u64 v[6:7], v[6:7], 3, s[6:7]
	global_load_dwordx2 v[6:7], v[6:7], off
	s_movk_i32 s4, 0x190
	s_waitcnt vmcnt(0)
	v_cvt_pk_f16_f32 v1, v6, v7
	v_pk_mul_f16 v0, v1, v0
	v_mad_u32_u24 v1, v4, s4, v2
	ds_write_b32 v1, v0 offset:256
.LBB29_356:
	s_or_b64 exec, exec, s[0:1]
	s_mul_hi_u32 s0, s40, s8
	s_mul_i32 s1, s40, s15
	s_add_i32 s0, s0, s1
	s_mul_i32 s1, s41, s8
	s_add_i32 s0, s0, s1
	s_mul_i32 s1, s40, s8
	s_add_u32 s1, s18, s1
	s_mul_i32 s4, s9, s53
	s_addc_u32 s0, s19, s0
	s_ashr_i32 s5, s4, 31
	s_add_u32 s12, s1, s4
	s_mul_i32 s14, s14, s11
	s_addc_u32 s13, s0, s5
	s_sub_i32 s0, s3, s14
	s_sub_i32 s1, s0, s11
	s_cmp_ge_u32 s0, s11
	s_cselect_b32 s0, s1, s0
	s_sub_i32 s1, s0, s11
	s_cmp_ge_u32 s0, s11
	s_cselect_b32 s0, s1, s0
	s_xor_b32 s0, s0, s15
	s_sub_i32 s0, s0, s15
	s_ashr_i32 s1, s0, 31
	s_mul_i32 s1, s50, s1
	s_mul_hi_u32 s3, s50, s0
	s_add_i32 s1, s3, s1
	s_mul_i32 s3, s51, s0
	s_add_i32 s1, s1, s3
	s_mul_i32 s0, s50, s0
	s_add_u32 s4, s22, s0
	s_addc_u32 s5, s23, s1
	s_mul_hi_u32 s0, s48, s8
	s_mul_i32 s1, s48, s15
	s_add_i32 s0, s0, s1
	s_mul_i32 s1, s49, s8
	s_add_i32 s0, s0, s1
	s_mul_i32 s1, s48, s8
	s_add_u32 s1, s20, s1
	s_mul_i32 s9, s9, s43
	s_addc_u32 s0, s21, s0
	s_ashr_i32 s6, s9, 31
	s_add_u32 s3, s1, s9
	v_lshrrev_b32_e32 v26, 3, v46
	s_addc_u32 s11, s0, s6
	v_and_b32_e32 v25, 0x1ff0, v59
	s_movk_i32 s0, 0x190
	v_and_b32_e32 v49, 15, v46
	v_and_b32_e32 v2, 0x7e, v26
	v_mad_u32_u24 v0, v25, s0, 0
	v_mul_u32_u24_e32 v1, 0x190, v49
	v_lshlrev_b32_e32 v50, 2, v2
	v_add3_u32 v16, v0, v1, v50
	s_waitcnt lgkmcnt(0)
	s_barrier
	ds_read2_b64 v[12:15], v16 offset1:4
	ds_read2_b64 v[8:11], v16 offset0:8 offset1:12
	ds_read2_b64 v[4:7], v16 offset0:16 offset1:20
	;; [unrolled: 1-line block ×5, first 2 shown]
	v_add_u32_e32 v76, -1, v24
	v_cmp_ge_i32_e32 vcc, s76, v76
	v_add_u32_e32 v73, v59, v26
	s_and_b64 vcc, exec, vcc
	v_cmp_gt_u32_e64 s[0:1], 8, v29
	v_lshrrev_b32_e32 v72, 4, v46
	v_mul_lo_u32 v30, s38, v73
	v_lshlrev_b32_e32 v28, 4, v49
	v_lshrrev_b32_e32 v69, 2, v46
	v_and_or_b32 v71, v46, 8, v25
	v_and_b32_e32 v68, 8, v59
	v_lshlrev_b32_e32 v67, 1, v49
	s_waitcnt lgkmcnt(0)
	s_barrier
	s_cbranch_vccnz .LBB29_363
; %bb.357:
	v_add_u32_e32 v24, s10, v29
	v_mul_hi_u32 v25, s44, v24
	v_add_u32_e32 v25, v24, v25
	v_lshrrev_b32_e32 v25, s45, v25
	v_mul_lo_u32 v25, v25, s36
	v_lshlrev_b32_e32 v26, 2, v46
	v_sub_u32_e32 v24, v24, v25
	v_mul_u32_u24_e32 v25, 0x90, v29
	v_and_b32_e32 v32, 0x7c, v26
	v_add3_u32 v77, 0, v25, v32
	v_mad_i64_i32 v[24:25], s[6:7], v24, s46, 0
	v_lshl_add_u64 v[24:25], v[24:25], 1, s[4:5]
	v_mov_b32_e32 v33, 0
	v_lshl_add_u64 v[34:35], v[24:25], 0, v[32:33]
	v_mul_u32_u24_e32 v24, 0x110, v49
	v_add3_u32 v27, 0, v24, v50
	v_and_b32_e32 v24, 28, v26
	v_lshl_add_u32 v32, v55, 2, v72
	v_mul_u32_u24_e32 v41, 0x110, v73
	v_lshlrev_b32_e32 v26, 2, v24
	s_movk_i32 s8, 0x90
	v_and_b32_e32 v25, 16, v57
	v_mul_u32_u24_e32 v40, 0x110, v32
	v_add3_u32 v78, 0, v41, v26
	v_and_b32_e32 v26, 0xfc, v69
	v_lshrrev_b32_e32 v41, 3, v71
	v_add3_u32 v79, 0, v40, v28
	v_add_u32_e32 v40, v26, v25
	v_mad_u32_u24 v41, v41, s8, 0
	v_mul_u32_u24_e32 v45, 0x110, v25
	v_add_u16_e32 v25, v26, v25
	v_lshl_add_u32 v40, v40, 1, v41
	v_lshrrev_b16_e32 v25, 1, v25
	v_add_u32_e32 v81, 64, v40
	v_add_u32_e32 v82, 0x44, v40
	v_mbcnt_hi_u32_b32 v40, -1, v75
	v_lshl_add_u32 v25, v25, 2, v41
	v_and_b32_e32 v41, 64, v40
	v_add_u32_e32 v41, 64, v41
	v_xor_b32_e32 v42, 32, v40
	v_cmp_lt_i32_e32 vcc, v42, v41
	v_mul_lo_u32 v36, s38, v32
	s_movk_i32 s6, 0x220
	v_cndmask_b32_e32 v42, v40, v42, vcc
	v_lshlrev_b32_e32 v83, 2, v42
	v_xor_b32_e32 v42, 16, v40
	v_cmp_lt_i32_e32 vcc, v42, v41
	v_lshl_add_u32 v38, s38, 5, v36
	v_lshlrev_b32_e32 v44, 2, v49
	v_cndmask_b32_e32 v40, v40, v42, vcc
	v_lshlrev_b32_e32 v84, 2, v40
	v_mul_lo_u32 v40, s34, v32
	v_or_b32_e32 v32, 3, v69
	v_lshl_add_u32 v42, s34, 5, v40
	v_mul_u32_u24_e32 v26, 0x110, v26
	v_mul_u32_u24_e32 v32, 0x110, v32
	v_mad_u32_u24 v51, v68, s6, 0
	v_ashrrev_i32_e32 v37, 31, v36
	v_ashrrev_i32_e32 v39, 31, v38
	;; [unrolled: 1-line block ×3, first 2 shown]
	v_add_u32_e32 v80, 0x2200, v79
	v_ashrrev_i32_e32 v41, 31, v40
	v_ashrrev_i32_e32 v43, 31, v42
	v_add3_u32 v85, v51, v26, v67
	v_add3_u32 v86, v51, v32, v67
	s_lshl_b32 s6, s76, 6
	v_mov_b32_e32 v26, 0xfeffffff
	v_lshlrev_b32_e32 v32, 2, v24
	v_add_u32_e32 v87, v27, v45
	v_lshlrev_b32_e32 v44, 2, v44
	v_add_u32_e32 v88, 0x4400, v25
	s_mov_b32 s14, 0x3fb8aa3b
	s_mov_b32 s15, 0xc2ce8ed0
	s_mov_b32 s16, 0x42b17218
	s_mov_b32 s17, 0xc1a00000
	s_mov_b32 s18, 0x5040100
	v_mov_b32_e32 v89, 0x7f800000
	v_mov_b32_e32 v90, v33
	;; [unrolled: 1-line block ×18, first 2 shown]
	s_ashr_i32 s7, s6, 31
	s_and_saveexec_b64 s[8:9], s[0:1]
	s_cbranch_execz .LBB29_359
.LBB29_358:
	v_lshl_add_u64 v[92:93], s[6:7], 1, v[34:35]
	global_load_dword v27, v[92:93], off
	s_waitcnt vmcnt(0)
	ds_write_b32 v77, v27 offset:17408
.LBB29_359:                             ; =>This Inner Loop Header: Depth=1
	s_or_b64 exec, exec, s[8:9]
	s_mul_hi_i32 s9, s6, s38
	s_mul_i32 s8, s6, s38
	s_lshl_b64 s[8:9], s[8:9], 2
	s_add_u32 s8, s12, s8
	s_addc_u32 s9, s13, s9
	v_lshl_add_u64 v[92:93], v[30:31], 2, s[8:9]
	v_lshl_add_u64 v[92:93], v[92:93], 0, v[32:33]
	global_load_dwordx4 v[92:95], v[92:93], off offset:256
	v_add_u32_e32 v27, 0x2000, v87
	v_mov_b32_e32 v45, v33
	v_lshl_add_u64 v[108:109], v[36:37], 2, s[8:9]
	v_lshl_add_u64 v[112:113], v[108:109], 0, v[44:45]
	s_waitcnt vmcnt(0)
	ds_write_b128 v78, v[92:95]
	s_waitcnt lgkmcnt(0)
	s_barrier
	ds_read2_b64 v[92:95], v87 offset1:4
	ds_read2_b64 v[100:103], v27 offset0:64 offset1:68
	s_waitcnt lgkmcnt(1)
	v_mfma_f32_16x16x16_f16 v[96:99], v[92:93], v[20:21], 0
	v_mfma_f32_16x16x16_f16 v[92:95], v[94:95], v[22:23], v[96:99]
	s_nop 6
	ds_read2_b64 v[96:99], v87 offset0:8 offset1:12
	s_waitcnt lgkmcnt(1)
	v_mfma_f32_16x16x16_f16 v[104:107], v[100:101], v[20:21], 0
	s_waitcnt lgkmcnt(0)
	v_mfma_f32_16x16x16_f16 v[92:95], v[96:97], v[16:17], v[92:95]
	v_lshl_add_u64 v[96:97], v[38:39], 2, s[8:9]
	v_lshl_add_u64 v[114:115], v[96:97], 0, v[44:45]
	s_mul_hi_i32 s9, s6, s34
	v_mfma_f32_16x16x16_f16 v[100:103], v[102:103], v[22:23], v[104:107]
	s_mul_i32 s8, s6, s34
	s_lshl_b64 s[8:9], s[8:9], 2
	s_add_u32 s8, s3, s8
	ds_read2_b64 v[104:107], v27 offset0:72 offset1:76
	s_waitcnt lgkmcnt(0)
	s_barrier
	v_mfma_f32_16x16x16_f16 v[92:95], v[98:99], v[18:19], v[92:95]
	global_load_dwordx4 v[96:99], v[112:113], off
	global_load_dwordx4 v[108:111], v[114:115], off
	s_addc_u32 s9, s11, s9
	s_add_i32 s76, s76, 1
	v_mfma_f32_16x16x16_f16 v[100:103], v[104:105], v[16:17], v[100:103]
	s_add_i32 s6, s6, 64
	s_waitcnt vmcnt(1)
	ds_write_b128 v79, v[96:99]
	s_waitcnt vmcnt(0)
	ds_write_b128 v80, v[108:111]
	v_mfma_f32_16x16x16_f16 v[100:103], v[106:107], v[18:19], v[100:103]
	s_waitcnt lgkmcnt(0)
	s_barrier
	ds_read2_b64 v[96:99], v87 offset1:4
	ds_read2_b64 v[104:107], v27 offset0:64 offset1:68
	s_waitcnt lgkmcnt(1)
	v_mfma_f32_16x16x16_f16 v[92:95], v[96:97], v[12:13], v[92:95]
	ds_read2_b64 v[108:111], v87 offset0:24 offset1:28
	s_waitcnt lgkmcnt(1)
	v_mfma_f32_16x16x16_f16 v[100:103], v[104:105], v[12:13], v[100:103]
	v_mfma_f32_16x16x16_f16 v[92:95], v[98:99], v[14:15], v[92:95]
	;; [unrolled: 1-line block ×3, first 2 shown]
	ds_read2_b64 v[104:107], v27 offset0:72 offset1:76
	s_nop 4
	ds_read2_b64 v[100:103], v87 offset0:8 offset1:12
	s_waitcnt lgkmcnt(0)
	v_mfma_f32_16x16x16_f16 v[92:95], v[100:101], v[8:9], v[92:95]
	v_mfma_f32_16x16x16_f16 v[92:95], v[102:103], v[10:11], v[92:95]
	ds_read2_b64 v[100:103], v87 offset0:16 offset1:20
	v_mfma_f32_16x16x16_f16 v[96:99], v[104:105], v[8:9], v[96:99]
	v_mfma_f32_16x16x16_f16 v[96:99], v[106:107], v[10:11], v[96:99]
	ds_read2_b64 v[104:107], v27 offset0:80 offset1:84
	s_waitcnt lgkmcnt(1)
	v_mfma_f32_16x16x16_f16 v[92:95], v[100:101], v[4:5], v[92:95]
	v_mfma_f32_16x16x16_f16 v[92:95], v[102:103], v[6:7], v[92:95]
	ds_read2_b64 v[100:103], v27 offset0:88 offset1:92
	s_waitcnt lgkmcnt(0)
	s_barrier
	v_mfma_f32_16x16x16_f16 v[96:99], v[104:105], v[4:5], v[96:99]
	ds_read2_b32 v[104:105], v88 offset1:1
	ds_read_b32 v27, v81 offset:17408
	ds_read_b32 v74, v82 offset:17408
	v_mfma_f32_16x16x16_f16 v[96:99], v[106:107], v[6:7], v[96:99]
	s_waitcnt lgkmcnt(2)
	v_cvt_f32_f16_e32 v91, v104
	v_mfma_f32_16x16x16_f16 v[92:95], v[108:109], v[0:1], v[92:95]
	v_cvt_f32_f16_sdwa v104, v104 dst_sel:DWORD dst_unused:UNUSED_PAD src0_sel:WORD_1
	s_waitcnt lgkmcnt(0)
	v_cvt_f32_f16_e32 v106, v74
	v_cvt_f32_f16_sdwa v74, v74 dst_sel:DWORD dst_unused:UNUSED_PAD src0_sel:WORD_1
	v_mfma_f32_16x16x16_f16 v[96:99], v[100:101], v[0:1], v[96:99]
	v_cvt_f32_f16_e32 v100, v105
	v_cvt_f32_f16_sdwa v101, v105 dst_sel:DWORD dst_unused:UNUSED_PAD src0_sel:WORD_1
	v_cvt_f32_f16_e32 v105, v27
	v_mfma_f32_16x16x16_f16 v[92:95], v[110:111], v[2:3], v[92:95]
	v_cvt_f32_f16_sdwa v27, v27 dst_sel:DWORD dst_unused:UNUSED_PAD src0_sel:WORD_1
	v_mfma_f32_16x16x16_f16 v[96:99], v[102:103], v[2:3], v[96:99]
	s_nop 5
	v_add_f32_e32 v91, v92, v91
	v_add_f32_e32 v107, v93, v104
	;; [unrolled: 1-line block ×10, first 2 shown]
	v_max3_f32 v92, v26, v92, v93
	v_add_f32_e32 v97, v98, v106
	v_add_f32_e32 v74, v99, v74
	;; [unrolled: 1-line block ×4, first 2 shown]
	v_max3_f32 v92, v92, v94, v95
	v_add_f32_e32 v100, 0x40051340, v97
	v_add_f32_e32 v101, 0x40051340, v74
	v_max3_f32 v92, v92, v98, v99
	v_max3_f32 v98, v92, v100, v101
	ds_bpermute_b32 v99, v83, v98
	v_lshl_add_u64 v[92:93], v[40:41], 2, s[8:9]
	v_lshl_add_u64 v[94:95], v[42:43], 2, s[8:9]
	;; [unrolled: 1-line block ×4, first 2 shown]
	s_waitcnt lgkmcnt(0)
	v_max_f32_e32 v99, v99, v99
	v_max_f32_e32 v106, v98, v99
	global_load_dwordx4 v[98:101], v[92:93], off
	global_load_dwordx4 v[102:105], v[94:95], off
	ds_bpermute_b32 v110, v84, v106
	s_waitcnt vmcnt(1)
	ds_write_b128 v79, v[98:101]
	s_waitcnt vmcnt(0)
	ds_write_b128 v80, v[102:105]
	s_waitcnt lgkmcnt(2)
	v_max_f32_e32 v45, v110, v110
	v_max_f32_e32 v45, v106, v45
	v_sub_f32_e32 v91, v91, v45
	v_sub_f32_e32 v92, v107, v45
	;; [unrolled: 1-line block ×3, first 2 shown]
	v_mul_f32_e32 v74, 0x3fb8aa3b, v91
	v_sub_f32_e32 v93, v108, v45
	v_sub_f32_e32 v95, v96, v45
	v_mul_f32_e32 v96, 0x3fb8aa3b, v92
	v_fma_f32 v114, v91, s14, -v74
	v_rndne_f32_e32 v115, v74
	v_sub_f32_e32 v94, v109, v45
	v_mul_f32_e32 v107, 0x3fb8aa3b, v93
	v_fma_f32 v116, v92, s14, -v96
	v_rndne_f32_e32 v117, v96
	v_fmac_f32_e32 v114, 0x32a5705f, v91
	v_sub_f32_e32 v74, v74, v115
	v_mul_f32_e32 v108, 0x3fb8aa3b, v94
	v_fma_f32 v118, v93, s14, -v107
	v_rndne_f32_e32 v119, v107
	v_fmac_f32_e32 v116, 0x32a5705f, v92
	v_sub_f32_e32 v96, v96, v117
	v_add_f32_e32 v74, v74, v114
	v_sub_f32_e32 v27, v27, v45
	v_mul_f32_e32 v109, 0x3fb8aa3b, v95
	v_fma_f32 v120, v94, s14, -v108
	v_rndne_f32_e32 v121, v108
	v_cvt_i32_f32_e32 v115, v115
	v_fmac_f32_e32 v118, 0x32a5705f, v93
	v_sub_f32_e32 v107, v107, v119
	v_add_f32_e32 v96, v96, v116
	v_exp_f32_e32 v74, v74
	v_sub_f32_e32 v97, v97, v45
	v_mul_f32_e32 v110, 0x3fb8aa3b, v27
	v_fma_f32 v122, v95, s14, -v109
	v_rndne_f32_e32 v123, v109
	v_cvt_i32_f32_e32 v117, v117
	v_fmac_f32_e32 v120, 0x32a5705f, v94
	v_sub_f32_e32 v108, v108, v121
	v_add_f32_e32 v107, v107, v118
	v_exp_f32_e32 v96, v96
	v_mul_f32_e32 v111, 0x3fb8aa3b, v97
	v_fma_f32 v124, v27, s14, -v110
	v_rndne_f32_e32 v125, v110
	v_cvt_i32_f32_e32 v119, v119
	v_fmac_f32_e32 v122, 0x32a5705f, v95
	v_sub_f32_e32 v109, v109, v123
	v_add_f32_e32 v108, v108, v120
	v_exp_f32_e32 v107, v107
	v_sub_f32_e32 v26, v26, v45
	v_mul_f32_e32 v112, 0x3fb8aa3b, v106
	v_fma_f32 v126, v97, s14, -v111
	v_rndne_f32_e32 v127, v111
	v_cvt_i32_f32_e32 v121, v121
	v_fmac_f32_e32 v124, 0x32a5705f, v27
	v_sub_f32_e32 v110, v110, v125
	v_add_f32_e32 v109, v109, v122
	v_exp_f32_e32 v108, v108
	v_mul_f32_e32 v113, 0x3fb8aa3b, v26
	v_fma_f32 v128, v106, s14, -v112
	v_rndne_f32_e32 v129, v112
	v_cvt_i32_f32_e32 v123, v123
	v_fmac_f32_e32 v126, 0x32a5705f, v97
	v_sub_f32_e32 v111, v111, v127
	v_add_f32_e32 v110, v110, v124
	v_exp_f32_e32 v109, v109
	v_ldexp_f32 v74, v74, v115
	v_cmp_ngt_f32_e32 vcc, s15, v91
	v_fma_f32 v130, v26, s14, -v113
	v_rndne_f32_e32 v131, v113
	v_cvt_i32_f32_e32 v125, v125
	v_fmac_f32_e32 v128, 0x32a5705f, v106
	v_sub_f32_e32 v112, v112, v129
	v_add_f32_e32 v111, v111, v126
	v_exp_f32_e32 v110, v110
	v_ldexp_f32 v96, v96, v117
	v_cndmask_b32_e32 v74, 0, v74, vcc
	v_cmp_ngt_f32_e32 vcc, s15, v92
	v_cvt_i32_f32_e32 v127, v127
	v_fmac_f32_e32 v130, 0x32a5705f, v26
	v_sub_f32_e32 v113, v113, v131
	v_add_f32_e32 v112, v112, v128
	v_exp_f32_e32 v111, v111
	v_ldexp_f32 v107, v107, v119
	v_cndmask_b32_e32 v96, 0, v96, vcc
	v_cmp_ngt_f32_e32 vcc, s15, v93
	v_cvt_i32_f32_e32 v129, v129
	v_add_f32_e32 v113, v113, v130
	v_exp_f32_e32 v112, v112
	v_ldexp_f32 v108, v108, v121
	v_cndmask_b32_e32 v107, 0, v107, vcc
	v_cmp_ngt_f32_e32 vcc, s15, v94
	v_cvt_i32_f32_e32 v131, v131
	v_exp_f32_e32 v113, v113
	v_ldexp_f32 v109, v109, v123
	v_cndmask_b32_e32 v108, 0, v108, vcc
	v_cmp_ngt_f32_e32 vcc, s15, v95
	v_ldexp_f32 v110, v110, v125
	v_ldexp_f32 v111, v111, v127
	v_cndmask_b32_e32 v109, 0, v109, vcc
	v_cmp_ngt_f32_e32 vcc, s15, v27
	v_ldexp_f32 v112, v112, v129
	v_ldexp_f32 v113, v113, v131
	v_cndmask_b32_e32 v110, 0, v110, vcc
	v_cmp_ngt_f32_e32 vcc, s15, v97
	s_waitcnt lgkmcnt(0)
	s_barrier
	v_cndmask_b32_e32 v111, 0, v111, vcc
	v_cmp_ngt_f32_e32 vcc, s15, v106
	s_nop 1
	v_cndmask_b32_e32 v112, 0, v112, vcc
	v_cmp_ngt_f32_e32 vcc, s15, v26
	s_nop 1
	v_cndmask_b32_e32 v113, 0, v113, vcc
	v_cmp_nlt_f32_e32 vcc, s16, v91
	s_nop 1
	v_cndmask_b32_e32 v118, v89, v74, vcc
	v_cmp_nlt_f32_e32 vcc, s16, v92
	;; [unrolled: 3-line block ×3, first 2 shown]
	v_cvt_pk_f16_f32 v122, v118, v119
	s_nop 0
	v_cndmask_b32_e32 v96, v89, v107, vcc
	v_cmp_nlt_f32_e32 vcc, s16, v94
	s_nop 1
	v_cndmask_b32_e32 v93, v89, v108, vcc
	v_cmp_nlt_f32_e32 vcc, s16, v95
	v_cvt_pk_f16_f32 v123, v96, v93
	s_nop 0
	v_cndmask_b32_e32 v94, v89, v109, vcc
	v_cmp_nlt_f32_e32 vcc, s16, v27
	s_nop 1
	v_cndmask_b32_e32 v95, v89, v110, vcc
	v_cmp_nlt_f32_e32 vcc, s16, v26
	v_cvt_pk_f16_f32 v124, v94, v95
	s_nop 0
	v_cndmask_b32_e32 v27, v89, v113, vcc
	v_cmp_le_f32_e32 vcc, s17, v26
	s_nop 1
	v_cndmask_b32_e32 v91, 0, v27, vcc
	v_cvt_f16_f32_e32 v26, v91
	v_cmp_nlt_f32_e32 vcc, s16, v97
	v_mul_u32_u24_e32 v97, 0x10001, v26
	s_nop 0
	v_cndmask_b32_e32 v74, v89, v111, vcc
	v_cmp_nlt_f32_e32 vcc, s16, v106
	ds_read_u16 v98, v85 offset:544
	ds_read_u16 v101, v85 offset:576
	ds_read_u16 v105, v85 offset:608
	ds_read_u16 v106, v85 offset:640
	ds_read_u16 v109, v85 offset:672
	ds_read_u16 v113, v85 offset:704
	ds_read_u16 v117, v85 offset:736
	ds_read_u16 v121, v85 offset:768
	ds_read_u16 v99, v86
	ds_read_u16 v102, v86 offset:32
	ds_read_u16 v107, v86 offset:64
	;; [unrolled: 1-line block ×7, first 2 shown]
	v_cndmask_b32_e32 v92, v89, v112, vcc
	s_waitcnt lgkmcnt(7)
	v_perm_b32 v99, v99, v98, s18
	ds_read_u16 v98, v85
	ds_read_u16 v104, v85 offset:32
	ds_read_u16 v111, v85 offset:64
	;; [unrolled: 1-line block ×15, first 2 shown]
	v_pk_mul_f16 v25, v25, v97
	v_pk_mul_f16 v27, v24, v97
	s_waitcnt lgkmcnt(7)
	v_perm_b32 v98, v100, v98, s18
	v_cvt_f32_f16_e32 v24, v25
	v_cvt_f32_f16_sdwa v25, v25 dst_sel:DWORD dst_unused:UNUSED_PAD src0_sel:WORD_1
	v_cvt_f32_f16_e32 v26, v27
	v_cvt_f32_f16_sdwa v27, v27 dst_sel:DWORD dst_unused:UNUSED_PAD src0_sel:WORD_1
	v_pk_mul_f16 v70, v70, v97
	v_pk_mul_f16 v66, v66, v97
	v_mfma_f32_16x16x16_f16 v[24:27], v[98:99], v[122:123], v[24:27]
	ds_read_u16 v98, v85 offset:9248
	ds_read_u16 v136, v85 offset:9280
	ds_read_u16 v137, v85 offset:9312
	ds_read_u16 v138, v85 offset:9344
	ds_read_u16 v139, v85 offset:9376
	ds_read_u16 v140, v85 offset:9408
	ds_read_u16 v141, v85 offset:9440
	ds_read_u16 v142, v85 offset:9472
	ds_read_u16 v99, v86 offset:8704
	ds_read_u16 v143, v86 offset:8736
	ds_read_u16 v144, v86 offset:8768
	ds_read_u16 v145, v86 offset:8800
	ds_read_u16 v146, v86 offset:8832
	ds_read_u16 v147, v86 offset:8864
	ds_read_u16 v148, v86 offset:8896
	ds_read_u16 v149, v86 offset:8928
	s_waitcnt lgkmcnt(7)
	v_perm_b32 v99, v99, v98, s18
	ds_read_u16 v98, v85 offset:8704
	ds_read_u16 v150, v85 offset:8736
	;; [unrolled: 1-line block ×16, first 2 shown]
	v_cvt_f16_f32_e32 v24, v24
	v_cvt_f16_f32_e32 v25, v25
	;; [unrolled: 1-line block ×4, first 2 shown]
	s_waitcnt lgkmcnt(7)
	v_perm_b32 v98, v100, v98, s18
	v_cvt_f32_f16_e32 v24, v24
	v_cvt_f32_f16_e32 v25, v25
	;; [unrolled: 1-line block ×4, first 2 shown]
	v_cvt_pk_f16_f32 v125, v74, v92
	v_perm_b32 v103, v102, v101, s18
	v_perm_b32 v102, v129, v104, s18
	v_mfma_f32_16x16x16_f16 v[24:27], v[98:99], v[124:125], v[24:27]
	v_cvt_f32_f16_e32 v98, v70
	v_cvt_f32_f16_sdwa v99, v70 dst_sel:DWORD dst_unused:UNUSED_PAD src0_sel:WORD_1
	v_cvt_f32_f16_e32 v100, v66
	v_cvt_f32_f16_sdwa v101, v66 dst_sel:DWORD dst_unused:UNUSED_PAD src0_sel:WORD_1
	v_pk_mul_f16 v65, v65, v97
	v_pk_mul_f16 v63, v63, v97
	v_mfma_f32_16x16x16_f16 v[98:101], v[102:103], v[122:123], v[98:101]
	v_perm_b32 v103, v143, v136, s18
	s_waitcnt lgkmcnt(6)
	v_perm_b32 v102, v157, v150, s18
	v_pk_mul_f16 v61, v61, v97
	v_pk_mul_f16 v58, v58, v97
	s_nop 2
	v_cvt_f16_f32_e32 v66, v98
	v_cvt_f16_f32_e32 v70, v99
	;; [unrolled: 1-line block ×4, first 2 shown]
	v_cvt_f32_f16_e32 v98, v66
	v_cvt_f32_f16_e32 v99, v70
	;; [unrolled: 1-line block ×4, first 2 shown]
	v_pk_mul_f16 v66, v64, v97
	v_perm_b32 v64, v130, v111, s18
	v_mfma_f32_16x16x16_f16 v[98:101], v[102:103], v[124:125], v[98:101]
	v_cvt_f32_f16_e32 v102, v65
	v_cvt_f32_f16_sdwa v103, v65 dst_sel:DWORD dst_unused:UNUSED_PAD src0_sel:WORD_1
	v_perm_b32 v65, v107, v105, s18
	v_cvt_f32_f16_e32 v104, v66
	v_cvt_f32_f16_sdwa v105, v66 dst_sel:DWORD dst_unused:UNUSED_PAD src0_sel:WORD_1
	v_perm_b32 v107, v108, v106, s18
	v_perm_b32 v106, v131, v112, s18
	v_mfma_f32_16x16x16_f16 v[102:105], v[64:65], v[122:123], v[102:105]
	v_pk_mul_f16 v56, v56, v97
	v_cvt_f32_f16_sdwa v111, v58 dst_sel:DWORD dst_unused:UNUSED_PAD src0_sel:WORD_1
	v_cvt_f32_f16_e32 v112, v56
	v_pk_mul_f16 v54, v54, v97
	s_nop 3
	v_cvt_f16_f32_e32 v64, v102
	v_cvt_f16_f32_e32 v65, v103
	;; [unrolled: 1-line block ×4, first 2 shown]
	v_cvt_f32_f16_e32 v102, v64
	v_cvt_f32_f16_e32 v103, v65
	v_perm_b32 v65, v144, v137, s18
	s_waitcnt lgkmcnt(5)
	v_perm_b32 v64, v158, v151, s18
	v_cvt_f32_f16_e32 v104, v66
	v_cvt_f32_f16_e32 v105, v70
	v_pk_mul_f16 v66, v62, v97
	v_cvt_f32_f16_e32 v62, v63
	v_mfma_f32_16x16x16_f16 v[102:105], v[64:65], v[124:125], v[102:105]
	v_cvt_f32_f16_sdwa v63, v63 dst_sel:DWORD dst_unused:UNUSED_PAD src0_sel:WORD_1
	v_cvt_f32_f16_e32 v64, v66
	v_cvt_f32_f16_sdwa v65, v66 dst_sel:DWORD dst_unused:UNUSED_PAD src0_sel:WORD_1
	v_pk_mul_f16 v66, v60, v97
	v_perm_b32 v60, v132, v115, s18
	v_mfma_f32_16x16x16_f16 v[62:65], v[106:107], v[122:123], v[62:65]
	v_perm_b32 v107, v145, v138, s18
	s_waitcnt lgkmcnt(4)
	v_perm_b32 v106, v159, v152, s18
	v_cvt_f32_f16_e32 v108, v66
	v_pk_mul_f16 v53, v53, v97
	s_nop 2
	v_cvt_f16_f32_e32 v62, v62
	v_cvt_f16_f32_e32 v63, v63
	;; [unrolled: 1-line block ×4, first 2 shown]
	v_cvt_f32_f16_e32 v62, v62
	v_cvt_f32_f16_e32 v63, v63
	;; [unrolled: 1-line block ×4, first 2 shown]
	v_cvt_f32_f16_sdwa v115, v54 dst_sel:DWORD dst_unused:UNUSED_PAD src0_sel:WORD_1
	v_pk_mul_f16 v52, v52, v97
	v_mfma_f32_16x16x16_f16 v[62:65], v[106:107], v[124:125], v[62:65]
	v_cvt_f32_f16_e32 v106, v61
	v_cvt_f32_f16_sdwa v107, v61 dst_sel:DWORD dst_unused:UNUSED_PAD src0_sel:WORD_1
	v_perm_b32 v61, v110, v109, s18
	v_cvt_f32_f16_sdwa v109, v66 dst_sel:DWORD dst_unused:UNUSED_PAD src0_sel:WORD_1
	v_cvt_f32_f16_e32 v110, v58
	v_pk_mul_f16 v51, v51, v97
	v_mfma_f32_16x16x16_f16 v[106:109], v[60:61], v[122:123], v[106:109]
	v_cmp_lt_i32_e32 vcc, s76, v76
	v_cvt_pk_f16_f32 v63, v62, v63
	v_cvt_pk_f16_f32 v62, v64, v65
	;; [unrolled: 1-line block ×3, first 2 shown]
	s_nop 3
	v_cvt_f16_f32_e32 v60, v106
	v_cvt_f16_f32_e32 v61, v107
	;; [unrolled: 1-line block ×4, first 2 shown]
	v_cvt_f32_f16_e32 v106, v60
	v_cvt_f32_f16_e32 v107, v61
	v_perm_b32 v61, v146, v139, s18
	s_waitcnt lgkmcnt(3)
	v_perm_b32 v60, v160, v153, s18
	v_cvt_f32_f16_e32 v108, v66
	v_cvt_f32_f16_e32 v109, v70
	v_cvt_pk_f16_f32 v64, v104, v105
	v_cvt_pk_f16_f32 v70, v98, v99
	v_mfma_f32_16x16x16_f16 v[106:109], v[60:61], v[124:125], v[106:109]
	v_perm_b32 v61, v114, v113, s18
	v_perm_b32 v60, v133, v116, s18
	v_cvt_f32_f16_sdwa v113, v56 dst_sel:DWORD dst_unused:UNUSED_PAD src0_sel:WORD_1
	v_cvt_f32_f16_e32 v114, v54
	v_cvt_f32_f16_e32 v116, v53
	v_mfma_f32_16x16x16_f16 v[110:113], v[60:61], v[122:123], v[110:113]
	v_perm_b32 v61, v147, v140, s18
	v_cvt_pk_f16_f32 v25, v24, v25
	v_cvt_pk_f16_f32 v24, v26, v27
	s_and_b64 vcc, exec, vcc
	s_nop 3
	v_cvt_f16_f32_e32 v60, v112
	v_cvt_f16_f32_e32 v56, v110
	;; [unrolled: 1-line block ×4, first 2 shown]
	v_cvt_f32_f16_e32 v112, v60
	s_waitcnt lgkmcnt(2)
	v_perm_b32 v60, v161, v154, s18
	v_cvt_f32_f16_e32 v110, v56
	v_cvt_f32_f16_e32 v111, v58
	;; [unrolled: 1-line block ×3, first 2 shown]
	s_waitcnt lgkmcnt(0)
	s_barrier
	v_mfma_f32_16x16x16_f16 v[110:113], v[60:61], v[124:125], v[110:113]
	v_perm_b32 v61, v120, v117, s18
	v_perm_b32 v60, v134, v127, s18
	v_cvt_f32_f16_sdwa v117, v53 dst_sel:DWORD dst_unused:UNUSED_PAD src0_sel:WORD_1
	v_add_f32_e32 v53, v118, v119
	v_cvt_f32_f16_e32 v118, v52
	v_mfma_f32_16x16x16_f16 v[114:117], v[60:61], v[122:123], v[114:117]
	v_cvt_f32_f16_sdwa v119, v52 dst_sel:DWORD dst_unused:UNUSED_PAD src0_sel:WORD_1
	v_perm_b32 v52, v135, v128, s18
	v_cvt_f32_f16_e32 v120, v51
	v_perm_b32 v61, v148, v141, s18
	s_nop 3
	v_cvt_f16_f32_e32 v54, v114
	v_cvt_f16_f32_e32 v56, v115
	;; [unrolled: 1-line block ×4, first 2 shown]
	v_cvt_f32_f16_e32 v114, v54
	v_add_f32_e32 v54, v96, v53
	v_perm_b32 v53, v126, v121, s18
	v_cvt_f32_f16_sdwa v121, v51 dst_sel:DWORD dst_unused:UNUSED_PAD src0_sel:WORD_1
	v_add_f32_e32 v51, v93, v54
	v_add_f32_e32 v51, v94, v51
	;; [unrolled: 1-line block ×3, first 2 shown]
	v_mfma_f32_16x16x16_f16 v[94:97], v[52:53], v[122:123], v[118:121]
	v_cvt_f32_f16_e32 v115, v56
	v_perm_b32 v60, v162, v155, s18
	v_cvt_f32_f16_e32 v116, v58
	v_cvt_f32_f16_e32 v117, v66
	v_add_f32_e32 v51, v74, v51
	s_nop 2
	v_cvt_f16_f32_e32 v52, v94
	v_cvt_f16_f32_e32 v53, v95
	;; [unrolled: 1-line block ×4, first 2 shown]
	v_cvt_f32_f16_e32 v94, v52
	v_cvt_f32_f16_e32 v95, v53
	v_perm_b32 v53, v149, v142, s18
	v_perm_b32 v52, v163, v156, s18
	v_cvt_f32_f16_e32 v96, v54
	v_cvt_f32_f16_e32 v97, v56
	v_add_f32_e32 v74, v92, v51
	v_mfma_f32_16x16x16_f16 v[114:117], v[60:61], v[124:125], v[114:117]
	v_fmac_f32_e32 v74, v90, v91
	v_cvt_pk_f16_f32 v58, v110, v111
	v_cvt_pk_f16_f32 v56, v112, v113
	v_mfma_f32_16x16x16_f16 v[90:93], v[52:53], v[124:125], v[94:97]
	v_cvt_pk_f16_f32 v61, v106, v107
	s_nop 2
	v_cvt_pk_f16_f32 v54, v114, v115
	v_cvt_pk_f16_f32 v53, v116, v117
	;; [unrolled: 1-line block ×6, first 2 shown]
	s_cbranch_vccz .LBB29_364
; %bb.360:                              ;   in Loop: Header=BB29_359 Depth=1
	v_mov_b32_e32 v90, v74
	v_mov_b32_e32 v26, v45
	s_ashr_i32 s7, s6, 31
	s_and_saveexec_b64 s[8:9], s[0:1]
	s_cbranch_execnz .LBB29_358
	s_branch .LBB29_359
.LBB29_361:
                                        ; implicit-def: $sgpr56_sgpr57
	s_load_dwordx2 s[54:55], s[0:1], 0x74
	v_cvt_f32_u32_e32 v1, s33
	s_branch .LBB29_2
.LBB29_362:
                                        ; implicit-def: $sgpr60_sgpr61
	s_load_dwordx2 s[44:45], s[0:1], 0x5c
	s_branch .LBB29_5
.LBB29_363:
	v_mov_b32_e32 v45, 0xfeffffff
	v_mov_b32_e32 v74, 0
	;; [unrolled: 1-line block ×18, first 2 shown]
.LBB29_364:
	s_lshl_b32 s0, s76, 6
	s_ashr_i32 s1, s0, 31
	v_cmp_gt_u32_e32 vcc, 8, v29
	s_and_saveexec_b64 s[6:7], vcc
	s_cbranch_execz .LBB29_366
; %bb.365:
	v_or_b32_e32 v26, s10, v29
	v_mul_hi_u32 v27, s44, v26
	v_add_u32_e32 v27, v26, v27
	v_lshrrev_b32_e32 v27, s45, v27
	s_lshl_b64 s[8:9], s[0:1], 1
	v_mul_lo_u32 v27, v27, s36
	s_add_u32 s4, s4, s8
	v_sub_u32_e32 v27, v26, v27
	s_addc_u32 s5, s5, s9
	v_lshlrev_b32_e32 v26, 2, v46
	v_mad_i64_i32 v[32:33], s[8:9], v27, s46, 0
	v_and_b32_e32 v26, 0x7c, v26
	v_lshl_add_u64 v[32:33], v[32:33], 1, s[4:5]
	v_mov_b32_e32 v27, 0
	v_lshl_add_u64 v[32:33], v[32:33], 0, v[26:27]
	global_load_dword v27, v[32:33], off
	v_mul_u32_u24_e32 v29, 0x90, v29
	v_add3_u32 v26, 0, v29, v26
	s_waitcnt vmcnt(0)
	ds_write_b32 v26, v27 offset:17408
.LBB29_366:
	s_or_b64 exec, exec, s[6:7]
	s_mul_hi_i32 s5, s0, s38
	s_mul_i32 s4, s0, s38
	s_lshl_b64 s[4:5], s[4:5], 2
	s_add_u32 s4, s12, s4
	s_addc_u32 s5, s13, s5
	v_ashrrev_i32_e32 v31, 31, v30
	v_lshlrev_b32_e32 v29, 4, v46
	v_lshl_add_u64 v[26:27], v[30:31], 2, s[4:5]
	v_and_b32_e32 v38, 0x70, v29
	v_mov_b32_e32 v39, 0
	v_lshl_add_u64 v[26:27], v[26:27], 0, v[38:39]
	global_load_dwordx4 v[30:33], v[26:27], off offset:256
	v_and_b32_e32 v44, 16, v57
	s_movk_i32 s6, 0x110
	v_mad_u32_u24 v27, v49, s6, 0
	v_mul_u32_u24_e32 v29, 0x110, v44
	v_mul_u32_u24_e32 v26, 0x110, v73
	v_add3_u32 v73, v27, v50, v29
	v_add3_u32 v26, 0, v26, v38
	v_add_u32_e32 v88, 0x2000, v73
	v_lshl_add_u32 v72, v55, 2, v72
	v_mov_b32_e32 v29, v39
	s_movk_i32 s8, 0x90
	s_movk_i32 s7, 0x4400
	s_mul_hi_i32 s13, s0, s34
	s_mul_i32 s12, s0, s34
	s_mov_b32 s1, 0xc2ce8ed0
	s_mov_b32 s0, 0xc1a00000
	s_waitcnt vmcnt(0)
	ds_write_b128 v26, v[30:33]
	s_waitcnt lgkmcnt(0)
	s_barrier
	ds_read2_b64 v[30:33], v73 offset1:4
	ds_read2_b64 v[34:37], v88 offset0:64 offset1:68
	v_mul_lo_u32 v26, s38, v72
	s_waitcnt lgkmcnt(1)
	v_mfma_f32_16x16x16_f16 v[38:41], v[30:31], v[20:21], 0
	v_ashrrev_i32_e32 v27, 31, v26
	v_lshl_add_u32 v42, s38, 5, v26
	v_ashrrev_i32_e32 v43, 31, v42
	s_waitcnt lgkmcnt(0)
	v_mfma_f32_16x16x16_f16 v[76:79], v[34:35], v[20:21], 0
	v_lshl_add_u64 v[26:27], v[26:27], 2, s[4:5]
	v_lshl_add_u64 v[30:31], v[42:43], 2, s[4:5]
	;; [unrolled: 1-line block ×4, first 2 shown]
	ds_read2_b64 v[80:83], v73 offset0:8 offset1:12
	ds_read2_b64 v[84:87], v88 offset0:72 offset1:76
	v_mfma_f32_16x16x16_f16 v[30:33], v[32:33], v[22:23], v[38:41]
	s_waitcnt lgkmcnt(0)
	s_barrier
	v_mfma_f32_16x16x16_f16 v[20:23], v[36:37], v[22:23], v[76:79]
	global_load_dwordx4 v[34:37], v[26:27], off
	global_load_dwordx4 v[38:41], v[42:43], off
	v_mul_u32_u24_e32 v27, 0x110, v72
	v_add3_u32 v43, 0, v27, v28
	v_mfma_f32_16x16x16_f16 v[30:33], v[80:81], v[16:17], v[30:33]
	v_and_b32_e32 v42, 0xfc, v69
	v_lshrrev_b32_e32 v26, 3, v71
	v_mbcnt_hi_u32_b32 v71, -1, v75
	v_mfma_f32_16x16x16_f16 v[20:23], v[84:85], v[16:17], v[20:23]
	v_mad_u32_u24 v76, v26, s8, 0
	v_add_u32_e32 v27, v42, v44
	s_lshl_b64 s[8:9], s[12:13], 2
	v_mfma_f32_16x16x16_f16 v[30:33], v[82:83], v[18:19], v[30:33]
	v_mul_lo_u32 v26, s34, v72
	s_add_u32 s8, s3, s8
	s_addc_u32 s9, s11, s9
	v_mfma_f32_16x16x16_f16 v[16:19], v[86:87], v[18:19], v[20:23]
	s_mov_b32 s5, 0x3fb8aa3b
	s_mov_b32 s4, 0x42b17218
	v_mov_b32_e32 v75, 0x7f800000
	s_waitcnt vmcnt(1)
	ds_write_b128 v43, v[34:37]
	s_waitcnt vmcnt(0)
	ds_write_b128 v43, v[38:41] offset:8704
	s_waitcnt lgkmcnt(0)
	s_barrier
	ds_read2_b64 v[34:37], v73 offset1:4
	ds_read2_b64 v[38:41], v88 offset0:64 offset1:68
	s_waitcnt lgkmcnt(1)
	v_mfma_f32_16x16x16_f16 v[20:23], v[34:35], v[12:13], v[30:33]
	s_nop 2
	ds_read2_b64 v[30:33], v73 offset0:8 offset1:12
	v_mfma_f32_16x16x16_f16 v[20:23], v[36:37], v[14:15], v[20:23]
	ds_read2_b64 v[34:37], v88 offset0:72 offset1:76
	s_waitcnt lgkmcnt(2)
	v_mfma_f32_16x16x16_f16 v[16:19], v[38:39], v[12:13], v[16:19]
	v_add_u16_e32 v38, v42, v44
	v_and_b32_e32 v39, 64, v71
	v_lshl_add_u32 v44, v27, 1, v76
	v_mfma_f32_16x16x16_f16 v[12:15], v[40:41], v[14:15], v[16:19]
	v_xor_b32_e32 v40, 32, v71
	v_xor_b32_e32 v41, 16, v71
	v_add_u32_e32 v44, 0x4400, v44
	s_waitcnt lgkmcnt(1)
	v_mfma_f32_16x16x16_f16 v[16:19], v[30:31], v[8:9], v[20:23]
	v_lshrrev_b16_e32 v30, 1, v38
	v_ashrrev_i32_e32 v27, 31, v26
	v_lshl_add_u32 v38, s34, 5, v26
	ds_read2_b64 v[20:23], v73 offset0:16 offset1:20
	s_waitcnt lgkmcnt(1)
	v_mfma_f32_16x16x16_f16 v[12:15], v[34:35], v[8:9], v[12:15]
	v_lshlrev_b32_e32 v35, 2, v30
	v_add_u32_e32 v34, 64, v39
	v_cmp_lt_i32_e32 vcc, v40, v34
	v_mfma_f32_16x16x16_f16 v[16:19], v[32:33], v[10:11], v[16:19]
	ds_read2_b64 v[30:33], v88 offset0:80 offset1:84
	v_cndmask_b32_e32 v40, v71, v40, vcc
	v_cmp_lt_i32_e32 vcc, v41, v34
	v_mfma_f32_16x16x16_f16 v[8:11], v[36:37], v[10:11], v[12:15]
	v_ashrrev_i32_e32 v39, 31, v38
	v_cndmask_b32_e32 v41, v71, v41, vcc
	s_waitcnt lgkmcnt(1)
	v_mfma_f32_16x16x16_f16 v[12:15], v[20:21], v[4:5], v[16:19]
	v_add3_u32 v20, v76, v35, s7
	s_nop 1
	ds_read2_b64 v[16:19], v73 offset0:24 offset1:28
	ds_read2_b64 v[34:37], v88 offset0:88 offset1:92
	s_waitcnt lgkmcnt(0)
	v_mfma_f32_16x16x16_f16 v[8:11], v[30:31], v[4:5], v[8:11]
	s_barrier
	ds_read2_b32 v[20:21], v20 offset1:1
	v_mfma_f32_16x16x16_f16 v[12:15], v[22:23], v[6:7], v[12:15]
	v_lshlrev_b32_e32 v30, 2, v40
	v_mfma_f32_16x16x16_f16 v[4:7], v[32:33], v[6:7], v[8:11]
	v_lshlrev_b32_e32 v33, 2, v41
	v_mfma_f32_16x16x16_f16 v[8:11], v[16:17], v[0:1], v[12:15]
	s_waitcnt lgkmcnt(0)
	v_cvt_f32_f16_e32 v16, v21
	v_cvt_f32_f16_sdwa v17, v21 dst_sel:DWORD dst_unused:UNUSED_PAD src0_sel:WORD_1
	s_nop 0
	ds_read2_b32 v[12:13], v44 offset0:16 offset1:17
	v_mfma_f32_16x16x16_f16 v[4:7], v[34:35], v[0:1], v[4:7]
	v_cvt_f32_f16_e32 v14, v20
	v_cvt_f32_f16_sdwa v15, v20 dst_sel:DWORD dst_unused:UNUSED_PAD src0_sel:WORD_1
	s_waitcnt lgkmcnt(0)
	v_cvt_f32_f16_e32 v20, v12
	v_mfma_f32_16x16x16_f16 v[8:11], v[18:19], v[2:3], v[8:11]
	v_cvt_f32_f16_sdwa v12, v12 dst_sel:DWORD dst_unused:UNUSED_PAD src0_sel:WORD_1
	v_cvt_f32_f16_e32 v18, v13
	v_cvt_f32_f16_sdwa v13, v13 dst_sel:DWORD dst_unused:UNUSED_PAD src0_sel:WORD_1
	v_mfma_f32_16x16x16_f16 v[0:3], v[36:37], v[2:3], v[4:7]
	s_nop 3
	v_add_f32_e32 v14, v8, v14
	v_add_f32_e32 v15, v9, v15
	;; [unrolled: 1-line block ×12, first 2 shown]
	v_max3_f32 v0, v45, v0, v1
	v_add_f32_e32 v4, 0x40051340, v19
	v_add_f32_e32 v5, 0x40051340, v12
	v_max3_f32 v0, v0, v2, v3
	v_add_f32_e32 v6, 0x40051340, v18
	v_add_f32_e32 v7, 0x40051340, v13
	v_max3_f32 v0, v0, v4, v5
	v_max3_f32 v4, v0, v6, v7
	ds_bpermute_b32 v5, v30, v4
	v_lshl_add_u64 v[0:1], v[26:27], 2, s[8:9]
	v_lshl_add_u64 v[2:3], v[38:39], 2, s[8:9]
	;; [unrolled: 1-line block ×4, first 2 shown]
	s_waitcnt lgkmcnt(0)
	v_max_f32_e32 v5, v5, v5
	v_max_f32_e32 v20, v4, v5
	global_load_dwordx4 v[0:3], v[8:9], off
	global_load_dwordx4 v[4:7], v[10:11], off
	ds_bpermute_b32 v21, v33, v20
	s_waitcnt vmcnt(1)
	ds_write_b128 v43, v[0:3]
	s_waitcnt vmcnt(0)
	ds_write_b128 v43, v[4:7] offset:8704
	s_waitcnt lgkmcnt(2)
	v_max_f32_e32 v8, v21, v21
	v_max_f32_e32 v32, v20, v8
	v_sub_f32_e32 v8, v14, v32
	v_sub_f32_e32 v9, v15, v32
	v_mul_f32_e32 v15, 0x3fb8aa3b, v8
	v_sub_f32_e32 v10, v16, v32
	v_mul_f32_e32 v16, 0x3fb8aa3b, v9
	v_fma_f32 v22, v8, s5, -v15
	v_rndne_f32_e32 v23, v15
	v_sub_f32_e32 v11, v17, v32
	v_mul_f32_e32 v17, 0x3fb8aa3b, v10
	v_fma_f32 v26, v9, s5, -v16
	v_rndne_f32_e32 v27, v16
	v_fmac_f32_e32 v22, 0x32a5705f, v8
	v_sub_f32_e32 v15, v15, v23
	v_sub_f32_e32 v14, v19, v32
	v_mul_f32_e32 v19, 0x3fb8aa3b, v11
	v_fma_f32 v28, v10, s5, -v17
	v_rndne_f32_e32 v29, v17
	v_fmac_f32_e32 v26, 0x32a5705f, v9
	v_sub_f32_e32 v16, v16, v27
	v_add_f32_e32 v15, v15, v22
	v_fma_f32 v31, v11, s5, -v19
	v_rndne_f32_e32 v34, v19
	v_cvt_i32_f32_e32 v23, v23
	v_fmac_f32_e32 v28, 0x32a5705f, v10
	v_sub_f32_e32 v17, v17, v29
	v_add_f32_e32 v16, v16, v26
	v_exp_f32_e32 v15, v15
	v_mul_f32_e32 v20, 0x3fb8aa3b, v14
	v_cvt_i32_f32_e32 v27, v27
	v_fmac_f32_e32 v31, 0x32a5705f, v11
	v_sub_f32_e32 v19, v19, v34
	v_add_f32_e32 v17, v17, v28
	v_exp_f32_e32 v16, v16
	v_fma_f32 v35, v14, s5, -v20
	v_rndne_f32_e32 v36, v20
	v_cvt_i32_f32_e32 v29, v29
	v_add_f32_e32 v19, v19, v31
	v_exp_f32_e32 v17, v17
	v_cvt_i32_f32_e32 v34, v34
	v_fmac_f32_e32 v35, 0x32a5705f, v14
	v_sub_f32_e32 v20, v20, v36
	v_exp_f32_e32 v19, v19
	v_add_f32_e32 v20, v20, v35
	v_ldexp_f32 v15, v15, v23
	v_cmp_ngt_f32_e32 vcc, s1, v8
	v_sub_f32_e32 v12, v12, v32
	v_cvt_i32_f32_e32 v36, v36
	v_exp_f32_e32 v20, v20
	v_ldexp_f32 v16, v16, v27
	v_cndmask_b32_e32 v15, 0, v15, vcc
	v_cmp_ngt_f32_e32 vcc, s1, v9
	v_mul_f32_e32 v21, 0x3fb8aa3b, v12
	v_ldexp_f32 v17, v17, v29
	v_cndmask_b32_e32 v16, 0, v16, vcc
	v_cmp_ngt_f32_e32 vcc, s1, v10
	v_fma_f32 v37, v12, s5, -v21
	v_rndne_f32_e32 v38, v21
	v_ldexp_f32 v19, v19, v34
	v_cndmask_b32_e32 v17, 0, v17, vcc
	v_cmp_ngt_f32_e32 vcc, s1, v11
	v_fmac_f32_e32 v37, 0x32a5705f, v12
	v_sub_f32_e32 v21, v21, v38
	v_cndmask_b32_e32 v19, 0, v19, vcc
	v_cmp_nlt_f32_e32 vcc, s4, v8
	v_add_f32_e32 v21, v21, v37
	v_ldexp_f32 v23, v20, v36
	v_cndmask_b32_e32 v20, v75, v15, vcc
	v_cmp_nlt_f32_e32 vcc, s4, v9
	v_exp_f32_e32 v22, v21
	v_sub_f32_e32 v9, v18, v32
	v_cndmask_b32_e32 v21, v75, v16, vcc
	v_cmp_nlt_f32_e32 vcc, s4, v10
	v_mul_f32_e32 v10, 0x3fb8aa3b, v9
	v_cvt_i32_f32_e32 v38, v38
	v_cndmask_b32_e32 v26, v75, v17, vcc
	v_cmp_nlt_f32_e32 vcc, s4, v11
	v_fma_f32 v11, v9, s5, -v10
	v_fmac_f32_e32 v11, 0x32a5705f, v9
	v_cndmask_b32_e32 v27, v75, v19, vcc
	v_cmp_ngt_f32_e32 vcc, s1, v14
	s_waitcnt lgkmcnt(0)
	s_barrier
	v_cndmask_b32_e32 v8, 0, v23, vcc
	v_cmp_nlt_f32_e32 vcc, s4, v14
	v_rndne_f32_e32 v14, v10
	v_sub_f32_e32 v10, v10, v14
	v_add_f32_e32 v10, v10, v11
	v_exp_f32_e32 v10, v10
	v_cvt_i32_f32_e32 v11, v14
	v_cndmask_b32_e32 v28, v75, v8, vcc
	v_ldexp_f32 v8, v22, v38
	v_cmp_ngt_f32_e32 vcc, s1, v12
	v_cvt_pk_f16_f32 v43, v26, v27
	s_nop 0
	v_cndmask_b32_e32 v8, 0, v8, vcc
	v_cmp_nlt_f32_e32 vcc, s4, v12
	s_nop 1
	v_cndmask_b32_e32 v29, v75, v8, vcc
	v_ldexp_f32 v8, v10, v11
	v_sub_f32_e32 v10, v13, v32
	v_mul_f32_e32 v11, 0x3fb8aa3b, v10
	v_fma_f32 v12, v10, s5, -v11
	v_rndne_f32_e32 v13, v11
	v_fmac_f32_e32 v12, 0x32a5705f, v10
	v_sub_f32_e32 v11, v11, v13
	v_add_f32_e32 v11, v11, v12
	v_cvt_i32_f32_e32 v12, v13
	v_sub_f32_e32 v13, v45, v32
	v_mul_f32_e32 v14, 0x3fb8aa3b, v13
	v_fma_f32 v15, v13, s5, -v14
	v_rndne_f32_e32 v16, v14
	v_fmac_f32_e32 v15, 0x32a5705f, v13
	v_sub_f32_e32 v14, v14, v16
	v_add_f32_e32 v14, v14, v15
	v_exp_f32_e32 v14, v14
	v_cvt_i32_f32_e32 v15, v16
	v_cmp_ngt_f32_e32 vcc, s1, v9
	v_exp_f32_e32 v11, v11
	v_cvt_pk_f16_f32 v44, v28, v29
	v_cndmask_b32_e32 v8, 0, v8, vcc
	v_cmp_nlt_f32_e32 vcc, s4, v9
	v_ldexp_f32 v9, v14, v15
	s_nop 0
	v_cndmask_b32_e32 v31, v75, v8, vcc
	v_cmp_ngt_f32_e32 vcc, s1, v13
	v_ldexp_f32 v8, v11, v12
	v_or_b32_e32 v11, 3, v69
	v_cndmask_b32_e32 v9, 0, v9, vcc
	v_cmp_nlt_f32_e32 vcc, s4, v13
	v_mul_u32_u24_e32 v11, 0x110, v11
	s_nop 0
	v_cndmask_b32_e32 v9, v75, v9, vcc
	v_cmp_le_f32_e32 vcc, s0, v13
	s_movk_i32 s0, 0x220
	v_mad_u32_u24 v0, v68, s0, 0
	v_cndmask_b32_e32 v34, 0, v9, vcc
	v_cvt_f16_f32_e32 v9, v34
	v_cmp_ngt_f32_e32 vcc, s1, v10
	v_add3_u32 v7, v0, v11, v67
	s_mov_b32 s0, 0x5040100
	v_cndmask_b32_e32 v8, 0, v8, vcc
	v_cmp_nlt_f32_e32 vcc, s4, v10
	v_mul_u32_u24_e32 v36, 0x10001, v9
	v_mul_u32_u24_e32 v10, 0x110, v42
	v_cndmask_b32_e32 v35, v75, v8, vcc
	v_pk_mul_f16 v8, v25, v36
	v_add3_u32 v6, v0, v10, v67
	v_cvt_f32_f16_e32 v0, v8
	v_cvt_f32_f16_sdwa v1, v8 dst_sel:DWORD dst_unused:UNUSED_PAD src0_sel:WORD_1
	ds_read_u16 v3, v6 offset:544
	ds_read_u16 v8, v6 offset:576
	;; [unrolled: 1-line block ×8, first 2 shown]
	ds_read_u16 v4, v7
	ds_read_u16 v10, v7 offset:32
	ds_read_u16 v12, v7 offset:64
	;; [unrolled: 1-line block ×7, first 2 shown]
	v_pk_mul_f16 v9, v24, v36
	s_waitcnt lgkmcnt(7)
	v_perm_b32 v5, v4, v3, s0
	ds_read_u16 v3, v6
	ds_read_u16 v13, v6 offset:32
	ds_read_u16 v14, v6 offset:64
	;; [unrolled: 1-line block ×15, first 2 shown]
	s_waitcnt lgkmcnt(7)
	v_perm_b32 v4, v4, v3, s0
	v_cvt_f32_f16_e32 v2, v9
	v_cvt_f32_f16_sdwa v3, v9 dst_sel:DWORD dst_unused:UNUSED_PAD src0_sel:WORD_1
	v_cvt_pk_f16_f32 v42, v20, v21
	v_pk_mul_f16 v9, v70, v36
	v_cvt_pk_f16_f32 v45, v31, v35
	v_mfma_f32_16x16x16_f16 v[0:3], v[4:5], v[42:43], v[0:3]
	ds_read_u16 v4, v6 offset:9248
	ds_read_u16 v70, v6 offset:9280
	;; [unrolled: 1-line block ×16, first 2 shown]
	s_waitcnt lgkmcnt(7)
	v_perm_b32 v5, v5, v4, s0
	ds_read_u16 v4, v6 offset:8704
	ds_read_u16 v90, v6 offset:8736
	ds_read_u16 v91, v6 offset:8768
	ds_read_u16 v92, v6 offset:8800
	ds_read_u16 v93, v6 offset:8832
	ds_read_u16 v94, v6 offset:8864
	ds_read_u16 v95, v6 offset:8896
	ds_read_u16 v96, v6 offset:8928
	ds_read_u16 v7, v6 offset:8976
	ds_read_u16 v97, v6 offset:9008
	ds_read_u16 v98, v6 offset:9040
	ds_read_u16 v99, v6 offset:9072
	ds_read_u16 v100, v6 offset:9104
	ds_read_u16 v101, v6 offset:9136
	ds_read_u16 v102, v6 offset:9168
	ds_read_u16 v103, v6 offset:9200
	v_cvt_f16_f32_e32 v0, v0
	v_cvt_f16_f32_e32 v1, v1
	;; [unrolled: 1-line block ×4, first 2 shown]
	s_waitcnt lgkmcnt(7)
	v_perm_b32 v4, v7, v4, s0
	v_cvt_f32_f16_e32 v0, v0
	v_cvt_f32_f16_e32 v1, v1
	;; [unrolled: 1-line block ×4, first 2 shown]
	v_pk_mul_f16 v7, v66, v36
	v_pk_mul_f16 v56, v56, v36
	v_mfma_f32_16x16x16_f16 v[0:3], v[4:5], v[44:45], v[0:3]
	v_cvt_f32_f16_e32 v4, v9
	v_cvt_f32_f16_sdwa v5, v9 dst_sel:DWORD dst_unused:UNUSED_PAD src0_sel:WORD_1
	v_perm_b32 v9, v10, v8, s0
	v_perm_b32 v8, v17, v13, s0
	v_cvt_f32_f16_e32 v6, v7
	v_cvt_f32_f16_sdwa v7, v7 dst_sel:DWORD dst_unused:UNUSED_PAD src0_sel:WORD_1
	v_pk_mul_f16 v10, v65, v36
	v_pk_mul_f16 v17, v64, v36
	v_mfma_f32_16x16x16_f16 v[4:7], v[8:9], v[42:43], v[4:7]
	v_perm_b32 v9, v83, v70, s0
	s_waitcnt lgkmcnt(6)
	v_perm_b32 v8, v97, v90, s0
	v_perm_b32 v13, v12, v11, s0
	v_perm_b32 v12, v23, v14, s0
	s_nop 2
	v_cvt_f16_f32_e32 v4, v4
	v_cvt_f16_f32_e32 v5, v5
	;; [unrolled: 1-line block ×4, first 2 shown]
	v_cvt_f32_f16_e32 v4, v4
	v_cvt_f32_f16_e32 v5, v5
	;; [unrolled: 1-line block ×4, first 2 shown]
	v_cvt_f32_f16_sdwa v11, v17 dst_sel:DWORD dst_unused:UNUSED_PAD src0_sel:WORD_1
	v_pk_mul_f16 v14, v63, v36
	v_mfma_f32_16x16x16_f16 v[4:7], v[8:9], v[44:45], v[4:7]
	v_cvt_f32_f16_e32 v8, v10
	v_cvt_f32_f16_sdwa v9, v10 dst_sel:DWORD dst_unused:UNUSED_PAD src0_sel:WORD_1
	v_cvt_f32_f16_e32 v10, v17
	v_pk_mul_f16 v23, v62, v36
	v_perm_b32 v17, v16, v15, s0
	v_mfma_f32_16x16x16_f16 v[8:11], v[12:13], v[42:43], v[8:11]
	v_perm_b32 v13, v84, v77, s0
	s_waitcnt lgkmcnt(5)
	v_perm_b32 v12, v98, v91, s0
	v_perm_b32 v16, v39, v18, s0
	v_cvt_f32_f16_sdwa v15, v23 dst_sel:DWORD dst_unused:UNUSED_PAD src0_sel:WORD_1
	s_nop 2
	v_cvt_f16_f32_e32 v8, v8
	v_cvt_f16_f32_e32 v9, v9
	v_cvt_f16_f32_e32 v10, v10
	v_cvt_f16_f32_e32 v11, v11
	v_cvt_f32_f16_e32 v8, v8
	v_cvt_f32_f16_e32 v9, v9
	;; [unrolled: 1-line block ×4, first 2 shown]
	v_pk_mul_f16 v18, v61, v36
	v_pk_mul_f16 v39, v60, v36
	v_mfma_f32_16x16x16_f16 v[8:11], v[12:13], v[44:45], v[8:11]
	v_cvt_f32_f16_e32 v12, v14
	v_cvt_f32_f16_sdwa v13, v14 dst_sel:DWORD dst_unused:UNUSED_PAD src0_sel:WORD_1
	v_cvt_f32_f16_e32 v14, v23
	v_perm_b32 v23, v22, v19, s0
	v_perm_b32 v22, v72, v24, s0
	v_mfma_f32_16x16x16_f16 v[12:15], v[16:17], v[42:43], v[12:15]
	v_perm_b32 v17, v85, v78, s0
	s_waitcnt lgkmcnt(4)
	v_perm_b32 v16, v99, v92, s0
	v_cvt_f32_f16_sdwa v19, v39 dst_sel:DWORD dst_unused:UNUSED_PAD src0_sel:WORD_1
	v_pk_mul_f16 v24, v58, v36
	s_nop 2
	v_cvt_f16_f32_e32 v12, v12
	v_cvt_f16_f32_e32 v13, v13
	v_cvt_f16_f32_e32 v14, v14
	v_cvt_f16_f32_e32 v15, v15
	v_cvt_f32_f16_e32 v12, v12
	v_cvt_f32_f16_e32 v13, v13
	;; [unrolled: 1-line block ×4, first 2 shown]
	v_pk_mul_f16 v53, v53, v36
	s_waitcnt lgkmcnt(0)
	v_mfma_f32_16x16x16_f16 v[12:15], v[16:17], v[44:45], v[12:15]
	v_cvt_f32_f16_e32 v16, v18
	v_cvt_f32_f16_sdwa v17, v18 dst_sel:DWORD dst_unused:UNUSED_PAD src0_sel:WORD_1
	v_cvt_f32_f16_e32 v18, v39
	v_perm_b32 v39, v38, v25, s0
	v_perm_b32 v38, v73, v40, s0
	v_mfma_f32_16x16x16_f16 v[16:19], v[22:23], v[42:43], v[16:19]
	v_perm_b32 v23, v86, v79, s0
	v_perm_b32 v22, v100, v93, s0
	v_cvt_f32_f16_sdwa v25, v56 dst_sel:DWORD dst_unused:UNUSED_PAD src0_sel:WORD_1
	v_pk_mul_f16 v40, v54, v36
	s_nop 3
	v_cvt_f16_f32_e32 v16, v16
	v_cvt_f16_f32_e32 v17, v17
	;; [unrolled: 1-line block ×4, first 2 shown]
	v_cvt_f32_f16_e32 v16, v16
	v_cvt_f32_f16_e32 v17, v17
	;; [unrolled: 1-line block ×4, first 2 shown]
	s_barrier
	s_nop 0
	v_mfma_f32_16x16x16_f16 v[16:19], v[22:23], v[44:45], v[16:19]
	v_cvt_f32_f16_e32 v22, v24
	v_cvt_f32_f16_sdwa v23, v24 dst_sel:DWORD dst_unused:UNUSED_PAD src0_sel:WORD_1
	v_cvt_f32_f16_e32 v24, v56
	v_add_f32_e32 v56, v20, v21
	v_add_f32_e32 v26, v26, v56
	v_mfma_f32_16x16x16_f16 v[22:25], v[38:39], v[42:43], v[22:25]
	v_perm_b32 v39, v87, v80, s0
	v_perm_b32 v38, v101, v94, s0
	v_add_f32_e32 v26, v27, v26
	v_add_f32_e32 v28, v28, v26
	s_nop 3
	v_cvt_f16_f32_e32 v22, v22
	v_cvt_f16_f32_e32 v23, v23
	;; [unrolled: 1-line block ×4, first 2 shown]
	v_cvt_f32_f16_e32 v22, v22
	v_cvt_f32_f16_e32 v23, v23
	;; [unrolled: 1-line block ×4, first 2 shown]
	s_nop 1
	v_mfma_f32_16x16x16_f16 v[20:23], v[38:39], v[44:45], v[22:25]
	v_cvt_f32_f16_e32 v38, v40
	v_cvt_f32_f16_sdwa v39, v40 dst_sel:DWORD dst_unused:UNUSED_PAD src0_sel:WORD_1
	s_nop 0
	v_perm_b32 v25, v41, v37, s0
	v_perm_b32 v24, v75, v69, s0
	v_cvt_f32_f16_e32 v40, v53
	v_cvt_f32_f16_sdwa v41, v53 dst_sel:DWORD dst_unused:UNUSED_PAD src0_sel:WORD_1
	s_nop 1
	v_mfma_f32_16x16x16_f16 v[24:27], v[24:25], v[42:43], v[38:41]
	s_nop 2
	v_perm_b32 v39, v88, v81, s0
	v_perm_b32 v38, v102, v95, s0
	s_nop 2
	v_cvt_f16_f32_e32 v24, v24
	v_cvt_f16_f32_e32 v25, v25
	;; [unrolled: 1-line block ×4, first 2 shown]
	v_cvt_f32_f16_e32 v24, v24
	v_cvt_f32_f16_e32 v25, v25
	;; [unrolled: 1-line block ×4, first 2 shown]
	v_add_f32_e32 v40, v29, v28
	v_pk_mul_f16 v28, v52, v36
	v_pk_mul_f16 v41, v51, v36
	v_cvt_f32_f16_e32 v36, v28
	v_cvt_f32_f16_sdwa v37, v28 dst_sel:DWORD dst_unused:UNUSED_PAD src0_sel:WORD_1
	v_perm_b32 v29, v68, v67, s0
	v_perm_b32 v28, v76, v71, s0
	v_mfma_f32_16x16x16_f16 v[24:27], v[38:39], v[44:45], v[24:27]
	v_cvt_f32_f16_e32 v38, v41
	v_cvt_f32_f16_sdwa v39, v41 dst_sel:DWORD dst_unused:UNUSED_PAD src0_sel:WORD_1
	v_add_f32_e32 v31, v31, v40
	v_add_f32_e32 v40, v35, v31
	v_fmac_f32_e32 v40, v74, v34
	v_mfma_f32_16x16x16_f16 v[34:37], v[28:29], v[42:43], v[36:39]
	s_nop 2
	ds_bpermute_b32 v38, v30, v40
	s_nop 3
	v_cvt_f16_f32_e32 v28, v34
	v_cvt_f16_f32_e32 v29, v35
	;; [unrolled: 1-line block ×4, first 2 shown]
	v_cvt_f32_f16_e32 v34, v28
	v_cvt_f32_f16_e32 v35, v29
	v_perm_b32 v29, v89, v82, s0
	v_perm_b32 v28, v103, v96, s0
	v_cvt_f32_f16_e32 v36, v31
	v_cvt_f32_f16_e32 v37, v37
	v_cmp_gt_u32_e64 s[0:1], 16, v46
	s_nop 0
	v_mfma_f32_16x16x16_f16 v[28:31], v[28:29], v[44:45], v[34:37]
	s_waitcnt lgkmcnt(0)
	s_nop 1
	v_add_f32_e32 v34, v40, v38
	ds_bpermute_b32 v35, v33, v34
	s_and_saveexec_b64 s[4:5], s[0:1]
	s_cbranch_execz .LBB29_368
; %bb.367:
	s_waitcnt lgkmcnt(0)
	v_add_f32_e32 v34, v34, v35
	v_or_b32_e32 v35, v57, v46
	v_mad_u32_u24 v35, v35, s6, 0
	ds_write2_b32 v35, v32, v34 offset0:64 offset1:65
.LBB29_368:
	s_or_b64 exec, exec, s[4:5]
	v_and_b32_e32 v32, 1, v55
	v_cmp_eq_u32_e32 vcc, 0, v32
	v_cmp_eq_u32_e64 s[4:5], 1, v32
	s_waitcnt lgkmcnt(0)
	s_barrier
	s_and_saveexec_b64 s[6:7], s[4:5]
	s_xor_b64 s[4:5], exec, s[6:7]
	s_cbranch_execz .LBB29_370
; %bb.369:
	s_barrier
                                        ; implicit-def: $vgpr59
                                        ; implicit-def: $vgpr48
                                        ; implicit-def: $vgpr33
.LBB29_370:
	s_andn2_saveexec_b64 s[6:7], s[4:5]
	s_cbranch_execz .LBB29_376
; %bb.371:
	v_or_b32_e32 v36, v57, v48
	s_movk_i32 s3, 0x110
	v_mad_u32_u24 v32, v36, s3, 0
	ds_read_b64 v[38:39], v32 offset:256
	s_mov_b32 s3, 0x3fb8aa3b
	s_mov_b32 s8, 0x42b17218
	s_waitcnt lgkmcnt(0)
	s_barrier
	ds_bpermute_b32 v32, v33, v38
	v_max_f32_e32 v34, v38, v38
	s_waitcnt lgkmcnt(0)
	v_max_f32_e32 v32, v32, v32
	v_max_f32_e32 v32, v34, v32
	v_sub_f32_e32 v34, v38, v32
	v_mul_f32_e32 v35, 0x3fb8aa3b, v34
	v_fma_f32 v37, v34, s3, -v35
	v_rndne_f32_e32 v38, v35
	v_fmamk_f32 v37, v34, 0x32a5705f, v37
	v_sub_f32_e32 v35, v35, v38
	v_add_f32_e32 v35, v35, v37
	v_cvt_i32_f32_e32 v38, v38
	v_exp_f32_e32 v35, v35
	s_mov_b32 s3, 0xc2ce8ed0
	v_cmp_ngt_f32_e64 s[4:5], s3, v34
	v_mov_b32_e32 v37, 0x7f800000
	v_ldexp_f32 v35, v35, v38
	v_cndmask_b32_e64 v35, 0, v35, s[4:5]
	v_cmp_nlt_f32_e64 s[4:5], s8, v34
	s_nop 1
	v_cndmask_b32_e64 v34, v37, v35, s[4:5]
	v_mul_f32_e32 v35, v39, v34
	ds_bpermute_b32 v35, v33, v35
	v_cmp_gt_u32_e64 s[4:5], 32, v46
	s_waitcnt lgkmcnt(0)
	v_fmac_f32_e32 v35, v39, v34
	s_and_saveexec_b64 s[8:9], s[4:5]
; %bb.372:
	v_mul_u32_u24_e32 v33, 0x110, v36
	v_add_u32_e32 v33, 0, v33
	ds_write_b64 v33, v[34:35] offset:256
; %bb.373:
	s_or_b64 exec, exec, s[8:9]
	s_and_saveexec_b64 s[4:5], s[0:1]
	s_cbranch_execz .LBB29_375
; %bb.374:
	s_add_i32 s0, s33, s2
	s_lshl_b32 s0, s0, 6
	s_mov_b32 s1, 0
	s_lshl_b64 s[0:1], s[0:1], 3
	s_add_u32 s0, s30, s0
	v_or_b32_e32 v33, v59, v46
	s_addc_u32 s1, s31, s1
	v_lshlrev_b32_e32 v34, 3, v33
	v_mov_b32_e32 v33, v35
	global_store_dwordx2 v34, v[32:33], s[0:1]
.LBB29_375:
	s_or_b64 exec, exec, s[4:5]
.LBB29_376:
	s_or_b64 exec, exec, s[6:7]
	v_cvt_pk_f16_f32 v2, v2, v3
	v_cvt_pk_f16_f32 v3, v4, v5
	;; [unrolled: 1-line block ×4, first 2 shown]
	v_or_b32_e32 v16, v57, v49
	v_mul_u32_u24_e32 v16, 0x110, v16
	v_cvt_pk_f16_f32 v0, v0, v1
	s_mov_b32 s3, 0
	s_movk_i32 s4, 0x110
	v_add3_u32 v16, 0, v50, v16
	v_cvt_pk_f16_f32 v1, v6, v7
	v_cvt_pk_f16_f32 v4, v10, v11
	;; [unrolled: 1-line block ×11, first 2 shown]
	ds_write2_b32 v16, v0, v2 offset1:1
	ds_write2_b32 v16, v3, v1 offset0:8 offset1:9
	ds_write2_b32 v16, v5, v4 offset0:16 offset1:17
	;; [unrolled: 1-line block ×7, first 2 shown]
	s_waitcnt lgkmcnt(0)
	s_barrier
	s_and_saveexec_b64 s[0:1], vcc
	s_cbranch_execz .LBB29_378
; %bb.377:
	s_lshl_b32 s2, s2, 12
	s_lshl_b64 s[6:7], s[2:3], 3
	s_add_u32 s5, s30, s6
	s_addc_u32 s6, s31, s7
	s_lshl_b32 s2, s33, 7
	s_lshl_b64 s[2:3], s[2:3], 3
	s_add_u32 s2, s5, s2
	v_bfe_u32 v7, v55, 1, 4
	s_movk_i32 s5, 0x3e0
	v_and_or_b32 v2, v55, s5, v7
	v_mad_u32_u24 v0, v2, s4, v47
	ds_read2st64_b32 v[0:1], v0 offset1:17
	v_mad_u32_u24 v2, v2, s4, 0
	ds_read2st64_b32 v[2:3], v2 offset0:1 offset1:18
	v_lshrrev_b32_e32 v6, 1, v55
	s_movk_i32 s5, 0x7e0
	s_waitcnt lgkmcnt(1)
	v_cvt_f32_f16_e32 v4, v0
	v_cvt_f32_f16_sdwa v5, v0 dst_sel:DWORD dst_unused:UNUSED_PAD src0_sel:WORD_1
	v_cvt_f32_f16_e32 v0, v1
	v_cvt_f32_f16_sdwa v1, v1 dst_sel:DWORD dst_unused:UNUSED_PAD src0_sel:WORD_1
	v_lshlrev_b32_e32 v8, 5, v55
	s_waitcnt lgkmcnt(0)
	v_pk_fma_f32 v[4:5], v[2:3], v[4:5], 0 op_sel_hi:[0,1,0]
	v_mov_b32_e32 v2, v3
	v_pk_fma_f32 v[0:1], v[2:3], v[0:1], v[4:5] op_sel_hi:[0,1,1]
	v_add_u32_e32 v4, 4, v6
	v_lshlrev_b32_e32 v2, 1, v4
	v_and_b32_e32 v3, 15, v4
	v_and_or_b32 v5, v2, s5, v3
	v_mad_u32_u24 v2, v5, s4, v47
	ds_read2st64_b32 v[2:3], v2 offset1:17
	s_addc_u32 s3, s6, s3
	v_add_lshl_u32 v8, v8, v46, 3
	global_store_dwordx2 v8, v[0:1], s[2:3]
	v_mad_u32_u24 v0, v5, s4, 0
	ds_read2st64_b32 v[0:1], v0 offset0:1 offset1:18
	v_lshlrev_b32_e32 v8, 6, v4
	s_waitcnt lgkmcnt(1)
	v_cvt_f32_f16_e32 v4, v2
	v_cvt_f32_f16_sdwa v5, v2 dst_sel:DWORD dst_unused:UNUSED_PAD src0_sel:WORD_1
	v_cvt_f32_f16_e32 v2, v3
	v_cvt_f32_f16_sdwa v3, v3 dst_sel:DWORD dst_unused:UNUSED_PAD src0_sel:WORD_1
	v_add_lshl_u32 v8, v8, v46, 3
	s_waitcnt lgkmcnt(0)
	v_pk_fma_f32 v[4:5], v[0:1], v[4:5], 0 op_sel_hi:[0,1,0]
	v_mov_b32_e32 v0, v1
	v_pk_fma_f32 v[0:1], v[0:1], v[2:3], v[4:5] op_sel_hi:[0,1,1]
	v_add_u32_e32 v4, 8, v6
	v_lshlrev_b32_e32 v2, 1, v4
	v_and_b32_e32 v3, 15, v4
	v_and_or_b32 v5, v2, s5, v3
	v_mad_u32_u24 v2, v5, s4, v47
	ds_read2st64_b32 v[2:3], v2 offset1:17
	global_store_dwordx2 v8, v[0:1], s[2:3]
	v_mad_u32_u24 v0, v5, s4, 0
	ds_read2st64_b32 v[0:1], v0 offset0:1 offset1:18
	v_lshlrev_b32_e32 v8, 6, v4
	s_waitcnt lgkmcnt(1)
	v_cvt_f32_f16_e32 v4, v2
	v_cvt_f32_f16_sdwa v5, v2 dst_sel:DWORD dst_unused:UNUSED_PAD src0_sel:WORD_1
	v_cvt_f32_f16_e32 v2, v3
	v_cvt_f32_f16_sdwa v3, v3 dst_sel:DWORD dst_unused:UNUSED_PAD src0_sel:WORD_1
	v_add_lshl_u32 v8, v8, v46, 3
	s_waitcnt lgkmcnt(0)
	v_pk_fma_f32 v[4:5], v[0:1], v[4:5], 0 op_sel_hi:[0,1,0]
	v_mov_b32_e32 v0, v1
	v_pk_fma_f32 v[0:1], v[0:1], v[2:3], v[4:5] op_sel_hi:[0,1,1]
	v_add_u32_e32 v4, 12, v6
	v_lshlrev_b32_e32 v2, 1, v4
	v_and_b32_e32 v3, 15, v4
	v_and_or_b32 v5, v2, s5, v3
	v_mad_u32_u24 v2, v5, s4, v47
	ds_read2st64_b32 v[2:3], v2 offset1:17
	global_store_dwordx2 v8, v[0:1], s[2:3]
	v_mad_u32_u24 v0, v5, s4, 0
	ds_read2st64_b32 v[0:1], v0 offset0:1 offset1:18
	v_lshlrev_b32_e32 v8, 6, v4
	s_waitcnt lgkmcnt(1)
	v_cvt_f32_f16_e32 v4, v2
	v_cvt_f32_f16_sdwa v5, v2 dst_sel:DWORD dst_unused:UNUSED_PAD src0_sel:WORD_1
	v_cvt_f32_f16_e32 v2, v3
	v_cvt_f32_f16_sdwa v3, v3 dst_sel:DWORD dst_unused:UNUSED_PAD src0_sel:WORD_1
	v_add_lshl_u32 v8, v8, v46, 3
	s_waitcnt lgkmcnt(0)
	v_pk_fma_f32 v[4:5], v[0:1], v[4:5], 0 op_sel_hi:[0,1,0]
	v_mov_b32_e32 v0, v1
	v_pk_fma_f32 v[0:1], v[0:1], v[2:3], v[4:5] op_sel_hi:[0,1,1]
	v_add_u32_e32 v4, 16, v6
	v_lshlrev_b32_e32 v2, 1, v4
	v_and_or_b32 v5, v2, s5, v7
	v_mad_u32_u24 v2, v5, s4, v47
	ds_read2st64_b32 v[2:3], v2 offset1:17
	global_store_dwordx2 v8, v[0:1], s[2:3]
	v_mad_u32_u24 v0, v5, s4, 0
	ds_read2st64_b32 v[0:1], v0 offset0:1 offset1:18
	v_lshlrev_b32_e32 v8, 6, v4
	s_waitcnt lgkmcnt(1)
	v_cvt_f32_f16_e32 v4, v2
	v_cvt_f32_f16_sdwa v5, v2 dst_sel:DWORD dst_unused:UNUSED_PAD src0_sel:WORD_1
	v_cvt_f32_f16_e32 v2, v3
	v_cvt_f32_f16_sdwa v3, v3 dst_sel:DWORD dst_unused:UNUSED_PAD src0_sel:WORD_1
	v_add_lshl_u32 v8, v8, v46, 3
	s_waitcnt lgkmcnt(0)
	v_pk_fma_f32 v[4:5], v[0:1], v[4:5], 0 op_sel_hi:[0,1,0]
	v_mov_b32_e32 v0, v1
	v_pk_fma_f32 v[0:1], v[0:1], v[2:3], v[4:5] op_sel_hi:[0,1,1]
	v_add_u32_e32 v4, 20, v6
	v_lshlrev_b32_e32 v2, 1, v4
	v_and_b32_e32 v3, 15, v4
	v_and_or_b32 v5, v2, s5, v3
	v_mad_u32_u24 v2, v5, s4, v47
	ds_read2st64_b32 v[2:3], v2 offset1:17
	global_store_dwordx2 v8, v[0:1], s[2:3]
	v_mad_u32_u24 v0, v5, s4, 0
	ds_read2st64_b32 v[0:1], v0 offset0:1 offset1:18
	v_lshlrev_b32_e32 v8, 6, v4
	s_waitcnt lgkmcnt(1)
	v_cvt_f32_f16_e32 v4, v2
	v_cvt_f32_f16_sdwa v5, v2 dst_sel:DWORD dst_unused:UNUSED_PAD src0_sel:WORD_1
	v_cvt_f32_f16_e32 v2, v3
	v_cvt_f32_f16_sdwa v3, v3 dst_sel:DWORD dst_unused:UNUSED_PAD src0_sel:WORD_1
	v_add_lshl_u32 v8, v8, v46, 3
	s_waitcnt lgkmcnt(0)
	v_pk_fma_f32 v[4:5], v[0:1], v[4:5], 0 op_sel_hi:[0,1,0]
	v_mov_b32_e32 v0, v1
	v_pk_fma_f32 v[0:1], v[0:1], v[2:3], v[4:5] op_sel_hi:[0,1,1]
	v_add_u32_e32 v4, 24, v6
	v_lshlrev_b32_e32 v2, 1, v4
	v_and_b32_e32 v3, 15, v4
	;; [unrolled: 20-line block ×3, first 2 shown]
	v_and_or_b32 v5, v2, s5, v3
	v_mad_u32_u24 v2, v5, s4, v47
	ds_read2st64_b32 v[2:3], v2 offset1:17
	global_store_dwordx2 v8, v[0:1], s[2:3]
	v_mad_u32_u24 v0, v5, s4, 0
	ds_read2st64_b32 v[0:1], v0 offset0:1 offset1:18
	v_lshlrev_b32_e32 v8, 6, v4
	s_waitcnt lgkmcnt(1)
	v_cvt_f32_f16_e32 v4, v2
	v_cvt_f32_f16_sdwa v5, v2 dst_sel:DWORD dst_unused:UNUSED_PAD src0_sel:WORD_1
	v_cvt_f32_f16_e32 v2, v3
	v_cvt_f32_f16_sdwa v3, v3 dst_sel:DWORD dst_unused:UNUSED_PAD src0_sel:WORD_1
	v_add_lshl_u32 v8, v8, v46, 3
	s_waitcnt lgkmcnt(0)
	v_pk_fma_f32 v[4:5], v[0:1], v[4:5], 0 op_sel_hi:[0,1,0]
	v_mov_b32_e32 v0, v1
	v_pk_fma_f32 v[0:1], v[0:1], v[2:3], v[4:5] op_sel_hi:[0,1,1]
	v_add_u32_e32 v4, 32, v6
	v_lshlrev_b32_e32 v2, 1, v4
	v_and_or_b32 v5, v2, s5, v7
	v_mad_u32_u24 v2, v5, s4, v47
	ds_read2st64_b32 v[2:3], v2 offset1:17
	global_store_dwordx2 v8, v[0:1], s[2:3]
	v_mad_u32_u24 v0, v5, s4, 0
	ds_read2st64_b32 v[0:1], v0 offset0:1 offset1:18
	v_lshlrev_b32_e32 v8, 6, v4
	s_waitcnt lgkmcnt(1)
	v_cvt_f32_f16_e32 v4, v2
	v_cvt_f32_f16_sdwa v5, v2 dst_sel:DWORD dst_unused:UNUSED_PAD src0_sel:WORD_1
	v_cvt_f32_f16_e32 v2, v3
	v_cvt_f32_f16_sdwa v3, v3 dst_sel:DWORD dst_unused:UNUSED_PAD src0_sel:WORD_1
	v_add_lshl_u32 v8, v8, v46, 3
	s_waitcnt lgkmcnt(0)
	v_pk_fma_f32 v[4:5], v[0:1], v[4:5], 0 op_sel_hi:[0,1,0]
	v_mov_b32_e32 v0, v1
	v_pk_fma_f32 v[0:1], v[0:1], v[2:3], v[4:5] op_sel_hi:[0,1,1]
	v_add_u32_e32 v4, 36, v6
	v_lshlrev_b32_e32 v2, 1, v4
	v_and_b32_e32 v3, 15, v4
	v_and_or_b32 v5, v2, s5, v3
	v_mad_u32_u24 v2, v5, s4, v47
	ds_read2st64_b32 v[2:3], v2 offset1:17
	global_store_dwordx2 v8, v[0:1], s[2:3]
	v_mad_u32_u24 v0, v5, s4, 0
	ds_read2st64_b32 v[0:1], v0 offset0:1 offset1:18
	v_lshlrev_b32_e32 v8, 6, v4
	s_waitcnt lgkmcnt(1)
	v_cvt_f32_f16_e32 v4, v2
	v_cvt_f32_f16_sdwa v5, v2 dst_sel:DWORD dst_unused:UNUSED_PAD src0_sel:WORD_1
	v_cvt_f32_f16_e32 v2, v3
	v_cvt_f32_f16_sdwa v3, v3 dst_sel:DWORD dst_unused:UNUSED_PAD src0_sel:WORD_1
	v_add_lshl_u32 v8, v8, v46, 3
	s_waitcnt lgkmcnt(0)
	v_pk_fma_f32 v[4:5], v[0:1], v[4:5], 0 op_sel_hi:[0,1,0]
	v_mov_b32_e32 v0, v1
	v_pk_fma_f32 v[0:1], v[0:1], v[2:3], v[4:5] op_sel_hi:[0,1,1]
	v_add_u32_e32 v4, 40, v6
	v_lshlrev_b32_e32 v2, 1, v4
	v_and_b32_e32 v3, 15, v4
	;; [unrolled: 20-line block ×3, first 2 shown]
	v_and_or_b32 v5, v2, s5, v3
	v_mad_u32_u24 v2, v5, s4, v47
	ds_read2st64_b32 v[2:3], v2 offset1:17
	global_store_dwordx2 v8, v[0:1], s[2:3]
	v_mad_u32_u24 v0, v5, s4, 0
	ds_read2st64_b32 v[0:1], v0 offset0:1 offset1:18
	v_lshlrev_b32_e32 v8, 6, v4
	s_waitcnt lgkmcnt(1)
	v_cvt_f32_f16_e32 v4, v2
	v_cvt_f32_f16_sdwa v5, v2 dst_sel:DWORD dst_unused:UNUSED_PAD src0_sel:WORD_1
	v_cvt_f32_f16_e32 v2, v3
	v_cvt_f32_f16_sdwa v3, v3 dst_sel:DWORD dst_unused:UNUSED_PAD src0_sel:WORD_1
	v_add_lshl_u32 v8, v8, v46, 3
	s_waitcnt lgkmcnt(0)
	v_pk_fma_f32 v[4:5], v[0:1], v[4:5], 0 op_sel_hi:[0,1,0]
	v_mov_b32_e32 v0, v1
	v_pk_fma_f32 v[0:1], v[0:1], v[2:3], v[4:5] op_sel_hi:[0,1,1]
	v_add_u32_e32 v4, 48, v6
	v_lshlrev_b32_e32 v2, 1, v4
	v_and_or_b32 v5, v2, s5, v7
	v_mad_u32_u24 v2, v5, s4, v47
	ds_read2st64_b32 v[2:3], v2 offset1:17
	global_store_dwordx2 v8, v[0:1], s[2:3]
	v_mad_u32_u24 v0, v5, s4, 0
	ds_read2st64_b32 v[0:1], v0 offset0:1 offset1:18
	v_lshlrev_b32_e32 v7, 6, v4
	s_waitcnt lgkmcnt(1)
	v_cvt_f32_f16_e32 v4, v2
	v_cvt_f32_f16_sdwa v5, v2 dst_sel:DWORD dst_unused:UNUSED_PAD src0_sel:WORD_1
	v_cvt_f32_f16_e32 v2, v3
	v_cvt_f32_f16_sdwa v3, v3 dst_sel:DWORD dst_unused:UNUSED_PAD src0_sel:WORD_1
	v_add_lshl_u32 v7, v7, v46, 3
	s_waitcnt lgkmcnt(0)
	v_pk_fma_f32 v[4:5], v[0:1], v[4:5], 0 op_sel_hi:[0,1,0]
	v_mov_b32_e32 v0, v1
	v_pk_fma_f32 v[0:1], v[0:1], v[2:3], v[4:5] op_sel_hi:[0,1,1]
	v_add_u32_e32 v4, 52, v6
	v_lshlrev_b32_e32 v2, 1, v4
	v_and_b32_e32 v3, 15, v4
	v_and_or_b32 v5, v2, s5, v3
	v_mad_u32_u24 v2, v5, s4, v47
	ds_read2st64_b32 v[2:3], v2 offset1:17
	global_store_dwordx2 v7, v[0:1], s[2:3]
	v_mad_u32_u24 v0, v5, s4, 0
	ds_read2st64_b32 v[0:1], v0 offset0:1 offset1:18
	v_lshlrev_b32_e32 v7, 6, v4
	s_waitcnt lgkmcnt(1)
	v_cvt_f32_f16_e32 v4, v2
	v_cvt_f32_f16_sdwa v5, v2 dst_sel:DWORD dst_unused:UNUSED_PAD src0_sel:WORD_1
	v_cvt_f32_f16_e32 v2, v3
	v_cvt_f32_f16_sdwa v3, v3 dst_sel:DWORD dst_unused:UNUSED_PAD src0_sel:WORD_1
	v_add_lshl_u32 v7, v7, v46, 3
	s_waitcnt lgkmcnt(0)
	v_pk_fma_f32 v[4:5], v[0:1], v[4:5], 0 op_sel_hi:[0,1,0]
	v_mov_b32_e32 v0, v1
	v_pk_fma_f32 v[0:1], v[0:1], v[2:3], v[4:5] op_sel_hi:[0,1,1]
	v_add_u32_e32 v4, 56, v6
	v_lshlrev_b32_e32 v2, 1, v4
	v_and_b32_e32 v3, 15, v4
	;; [unrolled: 20-line block ×3, first 2 shown]
	v_and_or_b32 v5, v2, s5, v3
	v_mad_u32_u24 v2, v5, s4, v47
	ds_read2st64_b32 v[2:3], v2 offset1:17
	global_store_dwordx2 v7, v[0:1], s[2:3]
	v_mad_u32_u24 v0, v5, s4, 0
	ds_read2st64_b32 v[0:1], v0 offset0:1 offset1:18
	v_lshlrev_b32_e32 v6, 6, v4
	s_waitcnt lgkmcnt(1)
	v_cvt_f32_f16_e32 v4, v2
	v_cvt_f32_f16_sdwa v5, v2 dst_sel:DWORD dst_unused:UNUSED_PAD src0_sel:WORD_1
	v_cvt_f32_f16_e32 v2, v3
	v_cvt_f32_f16_sdwa v3, v3 dst_sel:DWORD dst_unused:UNUSED_PAD src0_sel:WORD_1
	v_add_lshl_u32 v6, v6, v46, 3
	s_waitcnt lgkmcnt(0)
	v_pk_fma_f32 v[4:5], v[0:1], v[4:5], 0 op_sel_hi:[0,1,0]
	v_mov_b32_e32 v0, v1
	v_pk_fma_f32 v[0:1], v[0:1], v[2:3], v[4:5] op_sel_hi:[0,1,1]
	global_store_dwordx2 v6, v[0:1], s[2:3]
.LBB29_378:
	s_or_b64 exec, exec, s[0:1]
	s_barrier
.LBB29_379:
	s_endpgm
	.section	.rodata,"a",@progbits
	.p2align	6, 0x0
	.amdhsa_kernel _ZL18flash_attn_ext_f16ILi192ELi128ELi8ELi8ELb0ELb0EEvPKcS1_S1_S1_S1_PKiPfP15HIP_vector_typeIfLj2EEffffjfiS5_IjLj3EEiiiiiiiiiiiliiliiiiil
		.amdhsa_group_segment_fixed_size 0
		.amdhsa_private_segment_fixed_size 0
		.amdhsa_kernarg_size 464
		.amdhsa_user_sgpr_count 2
		.amdhsa_user_sgpr_dispatch_ptr 0
		.amdhsa_user_sgpr_queue_ptr 0
		.amdhsa_user_sgpr_kernarg_segment_ptr 1
		.amdhsa_user_sgpr_dispatch_id 0
		.amdhsa_user_sgpr_kernarg_preload_length 0
		.amdhsa_user_sgpr_kernarg_preload_offset 0
		.amdhsa_user_sgpr_private_segment_size 0
		.amdhsa_uses_dynamic_stack 0
		.amdhsa_enable_private_segment 0
		.amdhsa_system_sgpr_workgroup_id_x 1
		.amdhsa_system_sgpr_workgroup_id_y 0
		.amdhsa_system_sgpr_workgroup_id_z 0
		.amdhsa_system_sgpr_workgroup_info 0
		.amdhsa_system_vgpr_workitem_id 1
		.amdhsa_next_free_vgpr 252
		.amdhsa_next_free_sgpr 98
		.amdhsa_accum_offset 252
		.amdhsa_reserve_vcc 1
		.amdhsa_float_round_mode_32 0
		.amdhsa_float_round_mode_16_64 0
		.amdhsa_float_denorm_mode_32 3
		.amdhsa_float_denorm_mode_16_64 3
		.amdhsa_dx10_clamp 1
		.amdhsa_ieee_mode 1
		.amdhsa_fp16_overflow 0
		.amdhsa_tg_split 0
		.amdhsa_exception_fp_ieee_invalid_op 0
		.amdhsa_exception_fp_denorm_src 0
		.amdhsa_exception_fp_ieee_div_zero 0
		.amdhsa_exception_fp_ieee_overflow 0
		.amdhsa_exception_fp_ieee_underflow 0
		.amdhsa_exception_fp_ieee_inexact 0
		.amdhsa_exception_int_div_zero 0
	.end_amdhsa_kernel
	.section	.text._ZL18flash_attn_ext_f16ILi192ELi128ELi8ELi8ELb0ELb0EEvPKcS1_S1_S1_S1_PKiPfP15HIP_vector_typeIfLj2EEffffjfiS5_IjLj3EEiiiiiiiiiiiliiliiiiil,"axG",@progbits,_ZL18flash_attn_ext_f16ILi192ELi128ELi8ELi8ELb0ELb0EEvPKcS1_S1_S1_S1_PKiPfP15HIP_vector_typeIfLj2EEffffjfiS5_IjLj3EEiiiiiiiiiiiliiliiiiil,comdat
.Lfunc_end29:
	.size	_ZL18flash_attn_ext_f16ILi192ELi128ELi8ELi8ELb0ELb0EEvPKcS1_S1_S1_S1_PKiPfP15HIP_vector_typeIfLj2EEffffjfiS5_IjLj3EEiiiiiiiiiiiliiliiiiil, .Lfunc_end29-_ZL18flash_attn_ext_f16ILi192ELi128ELi8ELi8ELb0ELb0EEvPKcS1_S1_S1_S1_PKiPfP15HIP_vector_typeIfLj2EEffffjfiS5_IjLj3EEiiiiiiiiiiiliiliiiiil
                                        ; -- End function
	.set _ZL18flash_attn_ext_f16ILi192ELi128ELi8ELi8ELb0ELb0EEvPKcS1_S1_S1_S1_PKiPfP15HIP_vector_typeIfLj2EEffffjfiS5_IjLj3EEiiiiiiiiiiiliiliiiiil.num_vgpr, 252
	.set _ZL18flash_attn_ext_f16ILi192ELi128ELi8ELi8ELb0ELb0EEvPKcS1_S1_S1_S1_PKiPfP15HIP_vector_typeIfLj2EEffffjfiS5_IjLj3EEiiiiiiiiiiiliiliiiiil.num_agpr, 0
	.set _ZL18flash_attn_ext_f16ILi192ELi128ELi8ELi8ELb0ELb0EEvPKcS1_S1_S1_S1_PKiPfP15HIP_vector_typeIfLj2EEffffjfiS5_IjLj3EEiiiiiiiiiiiliiliiiiil.numbered_sgpr, 98
	.set _ZL18flash_attn_ext_f16ILi192ELi128ELi8ELi8ELb0ELb0EEvPKcS1_S1_S1_S1_PKiPfP15HIP_vector_typeIfLj2EEffffjfiS5_IjLj3EEiiiiiiiiiiiliiliiiiil.num_named_barrier, 0
	.set _ZL18flash_attn_ext_f16ILi192ELi128ELi8ELi8ELb0ELb0EEvPKcS1_S1_S1_S1_PKiPfP15HIP_vector_typeIfLj2EEffffjfiS5_IjLj3EEiiiiiiiiiiiliiliiiiil.private_seg_size, 0
	.set _ZL18flash_attn_ext_f16ILi192ELi128ELi8ELi8ELb0ELb0EEvPKcS1_S1_S1_S1_PKiPfP15HIP_vector_typeIfLj2EEffffjfiS5_IjLj3EEiiiiiiiiiiiliiliiiiil.uses_vcc, 1
	.set _ZL18flash_attn_ext_f16ILi192ELi128ELi8ELi8ELb0ELb0EEvPKcS1_S1_S1_S1_PKiPfP15HIP_vector_typeIfLj2EEffffjfiS5_IjLj3EEiiiiiiiiiiiliiliiiiil.uses_flat_scratch, 0
	.set _ZL18flash_attn_ext_f16ILi192ELi128ELi8ELi8ELb0ELb0EEvPKcS1_S1_S1_S1_PKiPfP15HIP_vector_typeIfLj2EEffffjfiS5_IjLj3EEiiiiiiiiiiiliiliiiiil.has_dyn_sized_stack, 0
	.set _ZL18flash_attn_ext_f16ILi192ELi128ELi8ELi8ELb0ELb0EEvPKcS1_S1_S1_S1_PKiPfP15HIP_vector_typeIfLj2EEffffjfiS5_IjLj3EEiiiiiiiiiiiliiliiiiil.has_recursion, 0
	.set _ZL18flash_attn_ext_f16ILi192ELi128ELi8ELi8ELb0ELb0EEvPKcS1_S1_S1_S1_PKiPfP15HIP_vector_typeIfLj2EEffffjfiS5_IjLj3EEiiiiiiiiiiiliiliiiiil.has_indirect_call, 0
	.section	.AMDGPU.csdata,"",@progbits
; Kernel info:
; codeLenInByte = 45112
; TotalNumSgprs: 104
; NumVgprs: 252
; NumAgprs: 0
; TotalNumVgprs: 252
; ScratchSize: 0
; MemoryBound: 0
; FloatMode: 240
; IeeeMode: 1
; LDSByteSize: 0 bytes/workgroup (compile time only)
; SGPRBlocks: 12
; VGPRBlocks: 31
; NumSGPRsForWavesPerEU: 104
; NumVGPRsForWavesPerEU: 252
; AccumOffset: 252
; Occupancy: 2
; WaveLimiterHint : 0
; COMPUTE_PGM_RSRC2:SCRATCH_EN: 0
; COMPUTE_PGM_RSRC2:USER_SGPR: 2
; COMPUTE_PGM_RSRC2:TRAP_HANDLER: 0
; COMPUTE_PGM_RSRC2:TGID_X_EN: 1
; COMPUTE_PGM_RSRC2:TGID_Y_EN: 0
; COMPUTE_PGM_RSRC2:TGID_Z_EN: 0
; COMPUTE_PGM_RSRC2:TIDIG_COMP_CNT: 1
; COMPUTE_PGM_RSRC3_GFX90A:ACCUM_OFFSET: 62
; COMPUTE_PGM_RSRC3_GFX90A:TG_SPLIT: 0
	.section	.text._ZL18flash_attn_ext_f16ILi192ELi128ELi8ELi8ELb1ELb0EEvPKcS1_S1_S1_S1_PKiPfP15HIP_vector_typeIfLj2EEffffjfiS5_IjLj3EEiiiiiiiiiiiliiliiiiil,"axG",@progbits,_ZL18flash_attn_ext_f16ILi192ELi128ELi8ELi8ELb1ELb0EEvPKcS1_S1_S1_S1_PKiPfP15HIP_vector_typeIfLj2EEffffjfiS5_IjLj3EEiiiiiiiiiiiliiliiiiil,comdat
	.globl	_ZL18flash_attn_ext_f16ILi192ELi128ELi8ELi8ELb1ELb0EEvPKcS1_S1_S1_S1_PKiPfP15HIP_vector_typeIfLj2EEffffjfiS5_IjLj3EEiiiiiiiiiiiliiliiiiil ; -- Begin function _ZL18flash_attn_ext_f16ILi192ELi128ELi8ELi8ELb1ELb0EEvPKcS1_S1_S1_S1_PKiPfP15HIP_vector_typeIfLj2EEffffjfiS5_IjLj3EEiiiiiiiiiiiliiliiiiil
	.p2align	8
	.type	_ZL18flash_attn_ext_f16ILi192ELi128ELi8ELi8ELb1ELb0EEvPKcS1_S1_S1_S1_PKiPfP15HIP_vector_typeIfLj2EEffffjfiS5_IjLj3EEiiiiiiiiiiiliiliiiiil,@function
_ZL18flash_attn_ext_f16ILi192ELi128ELi8ELi8ELb1ELb0EEvPKcS1_S1_S1_S1_PKiPfP15HIP_vector_typeIfLj2EEffffjfiS5_IjLj3EEiiiiiiiiiiiliiliiiiil: ; @_ZL18flash_attn_ext_f16ILi192ELi128ELi8ELi8ELb1ELb0EEvPKcS1_S1_S1_S1_PKiPfP15HIP_vector_typeIfLj2EEffffjfiS5_IjLj3EEiiiiiiiiiiiliiliiiiil
; %bb.0:
	s_add_u32 s8, s0, 0xd0
	s_addc_u32 s9, s1, 0
	s_getpc_b64 s[0:1]
	s_add_u32 s0, s0, _ZL14no_device_codePKciS0_iS0_@rel32@lo+4
	s_addc_u32 s1, s1, _ZL14no_device_codePKciS0_iS0_@rel32@hi+12
	v_mov_b32_e32 v0, 0x6cc
	s_mov_b32 s32, 0
	s_swappc_b64 s[30:31], s[0:1]
	.section	.rodata,"a",@progbits
	.p2align	6, 0x0
	.amdhsa_kernel _ZL18flash_attn_ext_f16ILi192ELi128ELi8ELi8ELb1ELb0EEvPKcS1_S1_S1_S1_PKiPfP15HIP_vector_typeIfLj2EEffffjfiS5_IjLj3EEiiiiiiiiiiiliiliiiiil
		.amdhsa_group_segment_fixed_size 0
		.amdhsa_private_segment_fixed_size 16
		.amdhsa_kernarg_size 464
		.amdhsa_user_sgpr_count 2
		.amdhsa_user_sgpr_dispatch_ptr 0
		.amdhsa_user_sgpr_queue_ptr 0
		.amdhsa_user_sgpr_kernarg_segment_ptr 1
		.amdhsa_user_sgpr_dispatch_id 0
		.amdhsa_user_sgpr_kernarg_preload_length 0
		.amdhsa_user_sgpr_kernarg_preload_offset 0
		.amdhsa_user_sgpr_private_segment_size 0
		.amdhsa_uses_dynamic_stack 0
		.amdhsa_enable_private_segment 1
		.amdhsa_system_sgpr_workgroup_id_x 1
		.amdhsa_system_sgpr_workgroup_id_y 0
		.amdhsa_system_sgpr_workgroup_id_z 0
		.amdhsa_system_sgpr_workgroup_info 0
		.amdhsa_system_vgpr_workitem_id 0
		.amdhsa_next_free_vgpr 50
		.amdhsa_next_free_sgpr 34
		.amdhsa_accum_offset 52
		.amdhsa_reserve_vcc 1
		.amdhsa_float_round_mode_32 0
		.amdhsa_float_round_mode_16_64 0
		.amdhsa_float_denorm_mode_32 3
		.amdhsa_float_denorm_mode_16_64 3
		.amdhsa_dx10_clamp 1
		.amdhsa_ieee_mode 1
		.amdhsa_fp16_overflow 0
		.amdhsa_tg_split 0
		.amdhsa_exception_fp_ieee_invalid_op 0
		.amdhsa_exception_fp_denorm_src 0
		.amdhsa_exception_fp_ieee_div_zero 0
		.amdhsa_exception_fp_ieee_overflow 0
		.amdhsa_exception_fp_ieee_underflow 0
		.amdhsa_exception_fp_ieee_inexact 0
		.amdhsa_exception_int_div_zero 0
	.end_amdhsa_kernel
	.section	.text._ZL18flash_attn_ext_f16ILi192ELi128ELi8ELi8ELb1ELb0EEvPKcS1_S1_S1_S1_PKiPfP15HIP_vector_typeIfLj2EEffffjfiS5_IjLj3EEiiiiiiiiiiiliiliiiiil,"axG",@progbits,_ZL18flash_attn_ext_f16ILi192ELi128ELi8ELi8ELb1ELb0EEvPKcS1_S1_S1_S1_PKiPfP15HIP_vector_typeIfLj2EEffffjfiS5_IjLj3EEiiiiiiiiiiiliiliiiiil,comdat
.Lfunc_end30:
	.size	_ZL18flash_attn_ext_f16ILi192ELi128ELi8ELi8ELb1ELb0EEvPKcS1_S1_S1_S1_PKiPfP15HIP_vector_typeIfLj2EEffffjfiS5_IjLj3EEiiiiiiiiiiiliiliiiiil, .Lfunc_end30-_ZL18flash_attn_ext_f16ILi192ELi128ELi8ELi8ELb1ELb0EEvPKcS1_S1_S1_S1_PKiPfP15HIP_vector_typeIfLj2EEffffjfiS5_IjLj3EEiiiiiiiiiiiliiliiiiil
                                        ; -- End function
	.set _ZL18flash_attn_ext_f16ILi192ELi128ELi8ELi8ELb1ELb0EEvPKcS1_S1_S1_S1_PKiPfP15HIP_vector_typeIfLj2EEffffjfiS5_IjLj3EEiiiiiiiiiiiliiliiiiil.num_vgpr, max(1, .L_ZL14no_device_codePKciS0_iS0_.num_vgpr)
	.set _ZL18flash_attn_ext_f16ILi192ELi128ELi8ELi8ELb1ELb0EEvPKcS1_S1_S1_S1_PKiPfP15HIP_vector_typeIfLj2EEffffjfiS5_IjLj3EEiiiiiiiiiiiliiliiiiil.num_agpr, max(0, .L_ZL14no_device_codePKciS0_iS0_.num_agpr)
	.set _ZL18flash_attn_ext_f16ILi192ELi128ELi8ELi8ELb1ELb0EEvPKcS1_S1_S1_S1_PKiPfP15HIP_vector_typeIfLj2EEffffjfiS5_IjLj3EEiiiiiiiiiiiliiliiiiil.numbered_sgpr, max(33, .L_ZL14no_device_codePKciS0_iS0_.numbered_sgpr)
	.set _ZL18flash_attn_ext_f16ILi192ELi128ELi8ELi8ELb1ELb0EEvPKcS1_S1_S1_S1_PKiPfP15HIP_vector_typeIfLj2EEffffjfiS5_IjLj3EEiiiiiiiiiiiliiliiiiil.num_named_barrier, max(0, .L_ZL14no_device_codePKciS0_iS0_.num_named_barrier)
	.set _ZL18flash_attn_ext_f16ILi192ELi128ELi8ELi8ELb1ELb0EEvPKcS1_S1_S1_S1_PKiPfP15HIP_vector_typeIfLj2EEffffjfiS5_IjLj3EEiiiiiiiiiiiliiliiiiil.private_seg_size, 0+max(.L_ZL14no_device_codePKciS0_iS0_.private_seg_size)
	.set _ZL18flash_attn_ext_f16ILi192ELi128ELi8ELi8ELb1ELb0EEvPKcS1_S1_S1_S1_PKiPfP15HIP_vector_typeIfLj2EEffffjfiS5_IjLj3EEiiiiiiiiiiiliiliiiiil.uses_vcc, or(1, .L_ZL14no_device_codePKciS0_iS0_.uses_vcc)
	.set _ZL18flash_attn_ext_f16ILi192ELi128ELi8ELi8ELb1ELb0EEvPKcS1_S1_S1_S1_PKiPfP15HIP_vector_typeIfLj2EEffffjfiS5_IjLj3EEiiiiiiiiiiiliiliiiiil.uses_flat_scratch, or(0, .L_ZL14no_device_codePKciS0_iS0_.uses_flat_scratch)
	.set _ZL18flash_attn_ext_f16ILi192ELi128ELi8ELi8ELb1ELb0EEvPKcS1_S1_S1_S1_PKiPfP15HIP_vector_typeIfLj2EEffffjfiS5_IjLj3EEiiiiiiiiiiiliiliiiiil.has_dyn_sized_stack, or(0, .L_ZL14no_device_codePKciS0_iS0_.has_dyn_sized_stack)
	.set _ZL18flash_attn_ext_f16ILi192ELi128ELi8ELi8ELb1ELb0EEvPKcS1_S1_S1_S1_PKiPfP15HIP_vector_typeIfLj2EEffffjfiS5_IjLj3EEiiiiiiiiiiiliiliiiiil.has_recursion, or(0, .L_ZL14no_device_codePKciS0_iS0_.has_recursion)
	.set _ZL18flash_attn_ext_f16ILi192ELi128ELi8ELi8ELb1ELb0EEvPKcS1_S1_S1_S1_PKiPfP15HIP_vector_typeIfLj2EEffffjfiS5_IjLj3EEiiiiiiiiiiiliiliiiiil.has_indirect_call, or(0, .L_ZL14no_device_codePKciS0_iS0_.has_indirect_call)
	.section	.AMDGPU.csdata,"",@progbits
; Kernel info:
; codeLenInByte = 48
; TotalNumSgprs: 40
; NumVgprs: 50
; NumAgprs: 0
; TotalNumVgprs: 50
; ScratchSize: 16
; MemoryBound: 0
; FloatMode: 240
; IeeeMode: 1
; LDSByteSize: 0 bytes/workgroup (compile time only)
; SGPRBlocks: 4
; VGPRBlocks: 6
; NumSGPRsForWavesPerEU: 40
; NumVGPRsForWavesPerEU: 50
; AccumOffset: 52
; Occupancy: 8
; WaveLimiterHint : 1
; COMPUTE_PGM_RSRC2:SCRATCH_EN: 1
; COMPUTE_PGM_RSRC2:USER_SGPR: 2
; COMPUTE_PGM_RSRC2:TRAP_HANDLER: 0
; COMPUTE_PGM_RSRC2:TGID_X_EN: 1
; COMPUTE_PGM_RSRC2:TGID_Y_EN: 0
; COMPUTE_PGM_RSRC2:TGID_Z_EN: 0
; COMPUTE_PGM_RSRC2:TIDIG_COMP_CNT: 0
; COMPUTE_PGM_RSRC3_GFX90A:ACCUM_OFFSET: 12
; COMPUTE_PGM_RSRC3_GFX90A:TG_SPLIT: 0
	.section	.text._ZL18flash_attn_ext_f16ILi256ELi256ELi8ELi8ELb0ELb0EEvPKcS1_S1_S1_S1_PKiPfP15HIP_vector_typeIfLj2EEffffjfiS5_IjLj3EEiiiiiiiiiiiliiliiiiil,"axG",@progbits,_ZL18flash_attn_ext_f16ILi256ELi256ELi8ELi8ELb0ELb0EEvPKcS1_S1_S1_S1_PKiPfP15HIP_vector_typeIfLj2EEffffjfiS5_IjLj3EEiiiiiiiiiiiliiliiiiil,comdat
	.globl	_ZL18flash_attn_ext_f16ILi256ELi256ELi8ELi8ELb0ELb0EEvPKcS1_S1_S1_S1_PKiPfP15HIP_vector_typeIfLj2EEffffjfiS5_IjLj3EEiiiiiiiiiiiliiliiiiil ; -- Begin function _ZL18flash_attn_ext_f16ILi256ELi256ELi8ELi8ELb0ELb0EEvPKcS1_S1_S1_S1_PKiPfP15HIP_vector_typeIfLj2EEffffjfiS5_IjLj3EEiiiiiiiiiiiliiliiiiil
	.p2align	8
	.type	_ZL18flash_attn_ext_f16ILi256ELi256ELi8ELi8ELb0ELb0EEvPKcS1_S1_S1_S1_PKiPfP15HIP_vector_typeIfLj2EEffffjfiS5_IjLj3EEiiiiiiiiiiiliiliiiiil,@function
_ZL18flash_attn_ext_f16ILi256ELi256ELi8ELi8ELb0ELb0EEvPKcS1_S1_S1_S1_PKiPfP15HIP_vector_typeIfLj2EEffffjfiS5_IjLj3EEiiiiiiiiiiiliiliiiiil: ; @_ZL18flash_attn_ext_f16ILi256ELi256ELi8ELi8ELb0ELb0EEvPKcS1_S1_S1_S1_PKiPfP15HIP_vector_typeIfLj2EEffffjfiS5_IjLj3EEiiiiiiiiiiiliiliiiiil
; %bb.0:
	s_load_dwordx2 s[4:5], s[0:1], 0x80
	s_load_dwordx4 s[28:31], s[0:1], 0x64
	s_load_dword s25, s[0:1], 0xd0
                                        ; implicit-def: $vgpr255 : SGPR spill to VGPR lane
	s_mov_b32 s6, 0
	s_waitcnt lgkmcnt(0)
	s_abs_i32 s3, s5
	v_cvt_f32_u32_e32 v1, s3
	s_sub_i32 s9, 0, s3
	s_abs_i32 s8, s29
	s_xor_b32 s7, s29, s5
	v_rcp_iflag_f32_e32 v1, v1
	s_ashr_i32 s7, s7, 31
	v_mul_f32_e32 v1, 0x4f7ffffe, v1
	v_cvt_u32_f32_e32 v1, v1
	s_nop 0
	v_readfirstlane_b32 s10, v1
	s_mul_i32 s9, s9, s10
	s_mul_hi_u32 s9, s10, s9
	s_add_i32 s10, s10, s9
	s_mul_hi_u32 s9, s8, s10
	s_mul_i32 s10, s9, s3
	s_sub_i32 s8, s8, s10
	s_add_i32 s11, s9, 1
	s_sub_i32 s10, s8, s3
	s_cmp_ge_u32 s8, s3
	s_cselect_b32 s9, s11, s9
	s_cselect_b32 s8, s10, s8
	s_add_i32 s10, s9, 1
	s_cmp_ge_u32 s8, s3
	s_cselect_b32 s3, s10, s9
	s_add_i32 s4, s4, 63
	s_xor_b32 s3, s3, s7
	s_ashr_i32 s8, s4, 31
	s_sub_i32 s3, s3, s7
	s_lshr_b32 s7, s8, 26
	s_add_i32 s4, s4, s7
	s_ashr_i32 s92, s4, 6
	s_add_i32 s4, s28, 7
	s_lshr_b32 s88, s4, 3
	s_add_i32 s4, s3, 7
	s_ashr_i32 s7, s4, 31
	s_lshr_b32 s7, s7, 29
	s_add_i32 s4, s4, s7
	s_ashr_i32 s4, s4, 3
	s_mul_i32 s89, s88, s92
	s_mul_i32 s90, s89, s4
	s_mul_i32 s91, s90, s5
	s_mul_i32 s10, s91, s30
	s_ashr_i32 s11, s10, 31
	s_mul_i32 s4, s11, s2
	s_mul_hi_u32 s5, s10, s2
	s_add_i32 s7, s5, s4
	s_add_u32 s4, s0, 0xd0
	s_addc_u32 s5, s1, 0
	v_writelane_b32 v255, s4, 0
	s_cmp_lg_u64 s[6:7], 0
	s_mul_i32 s6, s10, s2
	v_writelane_b32 v255, s5, 1
	s_cbranch_scc0 .LBB31_471
; %bb.1:
	s_add_u32 s4, s25, 0
	s_addc_u32 s5, 0, 0
	s_xor_b64 s[8:9], s[4:5], 0
	v_cvt_f32_u32_e32 v1, s8
	v_cvt_f32_u32_e32 v2, s9
	s_sub_u32 s14, 0, s8
	s_subb_u32 s15, 0, s9
	v_fmamk_f32 v1, v2, 0x4f800000, v1
	v_rcp_f32_e32 v1, v1
	s_nop 0
	v_mul_f32_e32 v1, 0x5f7ffffc, v1
	v_mul_f32_e32 v2, 0x2f800000, v1
	v_trunc_f32_e32 v2, v2
	v_fmamk_f32 v1, v2, 0xcf800000, v1
	v_cvt_u32_f32_e32 v2, v2
	v_cvt_u32_f32_e32 v1, v1
	v_readfirstlane_b32 s16, v2
	v_readfirstlane_b32 s12, v1
	s_mul_i32 s13, s14, s16
	s_mul_hi_u32 s18, s14, s12
	s_mul_i32 s17, s15, s12
	s_add_i32 s13, s18, s13
	s_add_i32 s13, s13, s17
	s_mul_i32 s19, s14, s12
	s_mul_i32 s18, s12, s13
	s_mul_hi_u32 s20, s12, s19
	s_mul_hi_u32 s17, s12, s13
	s_add_u32 s18, s20, s18
	s_addc_u32 s17, 0, s17
	s_mul_hi_u32 s21, s16, s19
	s_mul_i32 s19, s16, s19
	s_add_u32 s18, s18, s19
	s_mul_hi_u32 s20, s16, s13
	s_addc_u32 s17, s17, s21
	s_addc_u32 s18, s20, 0
	s_mul_i32 s13, s16, s13
	s_add_u32 s13, s17, s13
	s_addc_u32 s17, 0, s18
	s_add_u32 s18, s12, s13
	s_cselect_b64 s[12:13], -1, 0
	s_cmp_lg_u64 s[12:13], 0
	s_addc_u32 s16, s16, s17
	s_mul_i32 s12, s14, s16
	s_mul_hi_u32 s13, s14, s18
	s_add_i32 s12, s13, s12
	s_mul_i32 s15, s15, s18
	s_add_i32 s12, s12, s15
	s_mul_i32 s14, s14, s18
	s_mul_hi_u32 s15, s16, s14
	s_mul_i32 s17, s16, s14
	s_mul_i32 s20, s18, s12
	s_mul_hi_u32 s14, s18, s14
	s_mul_hi_u32 s19, s18, s12
	s_add_u32 s14, s14, s20
	s_addc_u32 s19, 0, s19
	s_add_u32 s14, s14, s17
	s_mul_hi_u32 s13, s16, s12
	s_addc_u32 s14, s19, s15
	s_addc_u32 s13, s13, 0
	s_mul_i32 s12, s16, s12
	s_add_u32 s12, s14, s12
	s_addc_u32 s14, 0, s13
	s_add_u32 s17, s18, s12
	s_cselect_b64 s[12:13], -1, 0
	s_cmp_lg_u64 s[12:13], 0
	s_addc_u32 s16, s16, s14
	s_ashr_i32 s12, s7, 31
	s_add_u32 s14, s6, s12
	s_mov_b32 s13, s12
	s_addc_u32 s15, s7, s12
	s_xor_b64 s[14:15], s[14:15], s[12:13]
	s_mul_i32 s18, s14, s16
	s_mul_hi_u32 s19, s14, s17
	s_mul_hi_u32 s7, s14, s16
	s_add_u32 s18, s19, s18
	s_addc_u32 s7, 0, s7
	s_mul_hi_u32 s20, s15, s17
	s_mul_i32 s17, s15, s17
	s_add_u32 s17, s18, s17
	s_mul_hi_u32 s19, s15, s16
	s_addc_u32 s7, s7, s20
	s_addc_u32 s17, s19, 0
	s_mul_i32 s16, s15, s16
	s_add_u32 s7, s7, s16
	s_addc_u32 s20, 0, s17
	s_mul_i32 s16, s8, s20
	s_mul_hi_u32 s17, s8, s7
	s_add_i32 s16, s17, s16
	s_mul_i32 s17, s9, s7
	s_add_i32 s21, s16, s17
	s_sub_i32 s18, s15, s21
	s_mul_i32 s16, s8, s7
	s_sub_u32 s14, s14, s16
	s_cselect_b64 s[16:17], -1, 0
	s_cmp_lg_u64 s[16:17], 0
	s_subb_u32 s22, s18, s9
	s_sub_u32 s23, s14, s8
	s_cselect_b64 s[18:19], -1, 0
	s_cmp_lg_u64 s[18:19], 0
	s_subb_u32 s18, s22, 0
	s_cmp_ge_u32 s18, s9
	s_cselect_b32 s19, -1, 0
	s_cmp_ge_u32 s23, s8
	s_cselect_b32 s22, -1, 0
	s_cmp_eq_u32 s18, s9
	s_cselect_b32 s18, s22, s19
	s_add_u32 s19, s7, 1
	s_addc_u32 s22, s20, 0
	s_add_u32 s23, s7, 2
	s_addc_u32 s24, s20, 0
	s_cmp_lg_u32 s18, 0
	s_cselect_b32 s18, s23, s19
	s_cselect_b32 s19, s24, s22
	s_cmp_lg_u64 s[16:17], 0
	s_subb_u32 s15, s15, s21
	s_cmp_ge_u32 s15, s9
	s_cselect_b32 s16, -1, 0
	s_cmp_ge_u32 s14, s8
	s_cselect_b32 s8, -1, 0
	s_cmp_eq_u32 s15, s9
	s_cselect_b32 s8, s8, s16
	s_cmp_lg_u32 s8, 0
	s_cselect_b32 s9, s19, s20
	s_cselect_b32 s8, s18, s7
	s_xor_b64 s[12:13], s[12:13], 0
	s_xor_b64 s[8:9], s[8:9], s[12:13]
	s_sub_u32 s68, s8, s12
	s_load_dwordx2 s[66:67], s[0:1], 0x74
	v_cvt_f32_u32_e32 v1, s25
	s_cbranch_execnz .LBB31_3
.LBB31_2:
	v_rcp_iflag_f32_e32 v2, v1
	s_sub_i32 s4, 0, s25
	v_mul_f32_e32 v2, 0x4f7ffffe, v2
	v_cvt_u32_f32_e32 v2, v2
	s_nop 0
	v_readfirstlane_b32 s5, v2
	s_mul_i32 s4, s4, s5
	s_mul_hi_u32 s4, s5, s4
	s_add_i32 s5, s5, s4
	s_mul_hi_u32 s4, s6, s5
	s_mul_i32 s7, s4, s25
	s_sub_i32 s6, s6, s7
	s_add_i32 s5, s4, 1
	s_sub_i32 s7, s6, s25
	s_cmp_ge_u32 s6, s25
	s_cselect_b32 s4, s5, s4
	s_cselect_b32 s6, s7, s6
	s_add_i32 s5, s4, 1
	s_cmp_ge_u32 s6, s25
	s_cselect_b32 s68, s5, s4
.LBB31_3:
	s_add_i32 s4, s2, 1
	s_mul_i32 s5, s11, s4
	s_mul_hi_u32 s6, s10, s4
	s_add_i32 s9, s6, s5
	s_mov_b32 s8, 0
	s_cmp_lg_u64 s[8:9], 0
	s_mul_i32 s8, s10, s4
	s_cbranch_scc0 .LBB31_472
; %bb.4:
	s_add_u32 s4, s25, 0
	s_addc_u32 s5, 0, 0
	s_xor_b64 s[6:7], s[4:5], 0
	v_cvt_f32_u32_e32 v2, s6
	v_cvt_f32_u32_e32 v3, s7
	s_sub_u32 s12, 0, s6
	s_subb_u32 s13, 0, s7
	v_fmamk_f32 v2, v3, 0x4f800000, v2
	v_rcp_f32_e32 v2, v2
	s_nop 0
	v_mul_f32_e32 v2, 0x5f7ffffc, v2
	v_mul_f32_e32 v3, 0x2f800000, v2
	v_trunc_f32_e32 v3, v3
	v_fmamk_f32 v2, v3, 0xcf800000, v2
	v_cvt_u32_f32_e32 v3, v3
	v_cvt_u32_f32_e32 v2, v2
	v_readfirstlane_b32 s14, v3
	v_readfirstlane_b32 s10, v2
	s_mul_i32 s11, s12, s14
	s_mul_hi_u32 s16, s12, s10
	s_mul_i32 s15, s13, s10
	s_add_i32 s11, s16, s11
	s_add_i32 s11, s11, s15
	s_mul_i32 s17, s12, s10
	s_mul_i32 s16, s10, s11
	s_mul_hi_u32 s18, s10, s17
	s_mul_hi_u32 s15, s10, s11
	s_add_u32 s16, s18, s16
	s_addc_u32 s15, 0, s15
	s_mul_hi_u32 s19, s14, s17
	s_mul_i32 s17, s14, s17
	s_add_u32 s16, s16, s17
	s_mul_hi_u32 s18, s14, s11
	s_addc_u32 s15, s15, s19
	s_addc_u32 s16, s18, 0
	s_mul_i32 s11, s14, s11
	s_add_u32 s11, s15, s11
	s_addc_u32 s15, 0, s16
	s_add_u32 s16, s10, s11
	s_cselect_b64 s[10:11], -1, 0
	s_cmp_lg_u64 s[10:11], 0
	s_addc_u32 s14, s14, s15
	s_mul_i32 s10, s12, s14
	s_mul_hi_u32 s11, s12, s16
	s_add_i32 s10, s11, s10
	s_mul_i32 s13, s13, s16
	s_add_i32 s10, s10, s13
	s_mul_i32 s12, s12, s16
	s_mul_hi_u32 s13, s14, s12
	s_mul_i32 s15, s14, s12
	s_mul_i32 s18, s16, s10
	s_mul_hi_u32 s12, s16, s12
	s_mul_hi_u32 s17, s16, s10
	s_add_u32 s12, s12, s18
	s_addc_u32 s17, 0, s17
	s_add_u32 s12, s12, s15
	s_mul_hi_u32 s11, s14, s10
	s_addc_u32 s12, s17, s13
	s_addc_u32 s11, s11, 0
	s_mul_i32 s10, s14, s10
	s_add_u32 s10, s12, s10
	s_addc_u32 s12, 0, s11
	s_add_u32 s15, s16, s10
	s_cselect_b64 s[10:11], -1, 0
	s_cmp_lg_u64 s[10:11], 0
	s_addc_u32 s14, s14, s12
	s_ashr_i32 s10, s9, 31
	s_add_u32 s12, s8, s10
	s_mov_b32 s11, s10
	s_addc_u32 s13, s9, s10
	s_xor_b64 s[12:13], s[12:13], s[10:11]
	s_mul_i32 s16, s12, s14
	s_mul_hi_u32 s17, s12, s15
	s_mul_hi_u32 s9, s12, s14
	s_add_u32 s16, s17, s16
	s_addc_u32 s9, 0, s9
	s_mul_hi_u32 s18, s13, s15
	s_mul_i32 s15, s13, s15
	s_add_u32 s15, s16, s15
	s_mul_hi_u32 s17, s13, s14
	s_addc_u32 s9, s9, s18
	s_addc_u32 s15, s17, 0
	s_mul_i32 s14, s13, s14
	s_add_u32 s9, s9, s14
	s_addc_u32 s18, 0, s15
	s_mul_i32 s14, s6, s18
	s_mul_hi_u32 s15, s6, s9
	s_add_i32 s14, s15, s14
	s_mul_i32 s15, s7, s9
	s_add_i32 s19, s14, s15
	s_sub_i32 s16, s13, s19
	s_mul_i32 s14, s6, s9
	s_sub_u32 s12, s12, s14
	s_cselect_b64 s[14:15], -1, 0
	s_cmp_lg_u64 s[14:15], 0
	s_subb_u32 s20, s16, s7
	s_sub_u32 s21, s12, s6
	s_cselect_b64 s[16:17], -1, 0
	s_cmp_lg_u64 s[16:17], 0
	s_subb_u32 s16, s20, 0
	s_cmp_ge_u32 s16, s7
	s_cselect_b32 s17, -1, 0
	s_cmp_ge_u32 s21, s6
	s_cselect_b32 s20, -1, 0
	s_cmp_eq_u32 s16, s7
	s_cselect_b32 s16, s20, s17
	s_add_u32 s17, s9, 1
	s_addc_u32 s20, s18, 0
	s_add_u32 s21, s9, 2
	s_addc_u32 s22, s18, 0
	s_cmp_lg_u32 s16, 0
	s_cselect_b32 s16, s21, s17
	s_cselect_b32 s17, s22, s20
	s_cmp_lg_u64 s[14:15], 0
	s_subb_u32 s13, s13, s19
	s_cmp_ge_u32 s13, s7
	s_cselect_b32 s14, -1, 0
	s_cmp_ge_u32 s12, s6
	s_cselect_b32 s6, -1, 0
	s_cmp_eq_u32 s13, s7
	s_cselect_b32 s6, s6, s14
	s_cmp_lg_u32 s6, 0
	s_cselect_b32 s7, s17, s18
	s_cselect_b32 s6, s16, s9
	s_xor_b64 s[10:11], s[10:11], 0
	s_xor_b64 s[6:7], s[6:7], s[10:11]
	s_sub_u32 s72, s6, s10
	s_load_dwordx2 s[34:35], s[0:1], 0x5c
	s_cbranch_execnz .LBB31_6
.LBB31_5:
	v_rcp_iflag_f32_e32 v1, v1
	s_sub_i32 s4, 0, s25
	v_mul_f32_e32 v1, 0x4f7ffffe, v1
	v_cvt_u32_f32_e32 v1, v1
	s_nop 0
	v_readfirstlane_b32 s5, v1
	s_mul_i32 s4, s4, s5
	s_mul_hi_u32 s4, s5, s4
	s_add_i32 s5, s5, s4
	s_mul_hi_u32 s4, s8, s5
	s_mul_i32 s6, s4, s25
	s_sub_i32 s6, s8, s6
	s_add_i32 s5, s4, 1
	s_sub_i32 s7, s6, s25
	s_cmp_ge_u32 s6, s25
	s_cselect_b32 s4, s5, s4
	s_cselect_b32 s6, s7, s6
	s_add_i32 s5, s4, 1
	s_cmp_ge_u32 s6, s25
	s_cselect_b32 s72, s5, s4
.LBB31_6:
	s_abs_i32 s93, s92
	v_cvt_f32_u32_e32 v1, s93
	s_load_dwordx16 s[36:51], s[0:1], 0x0
	s_load_dword s6, s[0:1], 0x40
	s_load_dwordx2 s[64:65], s[0:1], 0x8c
	s_load_dwordx4 s[52:55], s[0:1], 0x98
	s_load_dwordx2 s[60:61], s[0:1], 0xa8
	s_load_dwordx2 s[16:17], s[0:1], 0xb8
	;; [unrolled: 1-line block ×3, first 2 shown]
	s_waitcnt lgkmcnt(0)
	s_ashr_i32 s56, s64, 2
	s_sub_i32 s4, 0, s93
	v_rcp_iflag_f32_e32 v1, v1
	s_abs_i32 s1, s68
	s_ashr_i32 s69, s31, 3
	s_ashr_i32 s20, s66, 3
	v_mul_f32_e32 v1, 0x4f7ffffe, v1
	v_cvt_u32_f32_e32 v1, v1
	s_ashr_i32 s58, s17, 1
	s_ashr_i32 s30, s54, 2
	;; [unrolled: 1-line block ×3, first 2 shown]
	v_readfirstlane_b32 s64, v1
	s_mul_i32 s4, s4, s64
	s_mul_hi_u32 s4, s64, s4
	s_add_i32 s64, s64, s4
	s_mul_hi_u32 s4, s1, s64
	s_mul_i32 s4, s4, s93
	s_sub_i32 s1, s1, s4
	s_ashr_i32 s54, s92, 31
	s_sub_i32 s4, s1, s93
	s_cmp_ge_u32 s1, s93
	s_cselect_b32 s1, s4, s1
	s_sub_i32 s4, s1, s93
	s_cmp_ge_u32 s1, s93
	s_cselect_b32 s1, s4, s1
	s_xor_b32 s1, s1, s0
	s_sub_i32 s14, s1, s0
	s_sub_i32 s0, s72, s68
	s_add_i32 s4, s0, s14
	s_min_i32 s33, s92, s4
	s_cmp_gt_i32 s72, s68
	s_cselect_b64 s[10:11], -1, 0
	s_cmp_le_i32 s72, s68
	s_cselect_b64 s[0:1], -1, 0
	s_cmp_gt_i32 s92, s4
	v_cvt_f16_f32_e32 v137, s6
	s_cselect_b64 s[4:5], -1, 0
	s_or_b64 s[0:1], s[4:5], s[0:1]
	v_bfe_u32 v95, v0, 10, 10
	s_mov_b32 s75, 0
	s_and_b64 vcc, exec, s[0:1]
	v_bfe_u32 v123, v0, 10, 3
	v_lshlrev_b32_e32 v121, 3, v95
	v_lshlrev_b32_e32 v101, 4, v95
	v_lshrrev_b32_e32 v141, 10, v0
	v_add_u32_e32 v135, 8, v95
	v_add_u32_e32 v133, 16, v95
	;; [unrolled: 1-line block ×7, first 2 shown]
	s_cbranch_vccz .LBB31_9
; %bb.7:
	s_andn2_b64 vcc, exec, s[10:11]
	s_cbranch_vccz .LBB31_432
.LBB31_8:
	s_endpgm
.LBB31_9:
	v_and_b32_e32 v94, 0x3ff, v0
	v_lshlrev_b32_e32 v2, 2, v94
	v_bfe_u32 v7, v0, 5, 5
	v_and_b32_e32 v4, 15, v0
	v_lshrrev_b32_e32 v6, 1, v0
	v_lshl_add_u32 v196, v95, 1, v7
	s_movk_i32 s4, 0x90
	v_and_b32_e32 v96, 0x7c, v2
	v_add_u32_e32 v194, 0, v2
	v_mul_u32_u24_e32 v5, 0x210, v4
	v_and_b32_e32 v6, 0xf8, v6
	v_mad_u32_u24 v7, v196, s4, 0
	v_mul_u32_u24_e32 v9, 0x180, v196
	v_lshlrev_b32_e32 v2, 2, v96
	v_and_b32_e32 v3, 0xff0, v121
	s_movk_i32 s13, 0x210
	v_add3_u32 v5, 0, v5, v6
	v_add3_u32 v197, v7, v9, v2
	v_and_b32_e32 v2, 16, v101
	v_mad_u32_u24 v195, v3, s13, v5
	v_mad_u32_u24 v198, v2, s13, v5
	v_bfe_u32 v5, v0, 2, 8
	v_and_b32_e32 v9, 0x7c, v5
	v_and_or_b32 v3, v0, 8, v3
	v_add_u32_e32 v10, v9, v2
	v_lshrrev_b32_e32 v3, 3, v3
	v_add_u16_e32 v2, v9, v2
	v_mad_u32_u24 v3, v3, s4, 0
	v_lshrrev_b16_e32 v2, 1, v2
	v_lshl_add_u32 v199, v2, 2, v3
	v_lshl_add_u32 v2, v10, 1, v3
	v_and_b32_e32 v3, 8, v121
	v_or_b32_e32 v5, 3, v5
	s_movk_i32 s4, 0x420
	v_mul_u32_u24_e32 v9, 0x210, v9
	v_mul_u32_u24_e32 v5, 0x210, v5
	v_mad_u32_u24 v3, v3, s4, 0
	v_lshlrev_b32_e32 v10, 1, v4
	v_add3_u32 v200, v3, v9, v10
	v_add3_u32 v201, v3, v5, v10
	v_bfe_u32 v3, v0, 10, 1
	v_writelane_b32 v255, s25, 2
	v_cmp_eq_u32_e64 s[24:25], 0, v3
	v_and_b32_e32 v3, 0x400, v0
	v_cmp_ne_u32_e64 s[4:5], 0, v3
	v_or_b32_e32 v3, v101, v4
	v_mul_u32_u24_e32 v3, 0x110, v3
	v_add3_u32 v202, 0, v3, v6
	v_bfe_u32 v3, v141, 1, 9
	v_add_u32_e32 v4, 4, v3
	v_lshlrev_b32_e32 v5, 1, v4
	v_and_b32_e32 v6, 15, v4
	s_movk_i32 s15, 0x3e0
	v_and_or_b32 v5, v5, s15, v6
	v_add_u32_e32 v6, 8, v3
	v_lshlrev_b32_e32 v9, 1, v6
	v_and_b32_e32 v10, 15, v6
	v_and_or_b32 v9, v9, s15, v10
	v_add_u32_e32 v10, 12, v3
	v_lshlrev_b32_e32 v11, 1, v10
	v_and_b32_e32 v12, 15, v10
	s_cmp_eq_u64 s[44:45], 0
	v_and_or_b32 v11, v11, s15, v12
	v_add_u32_e32 v12, 20, v3
	s_cselect_b64 s[76:77], -1, 0
	s_cmp_lg_u64 s[46:47], 0
	v_lshlrev_b32_e32 v13, 1, v12
	v_and_b32_e32 v14, 15, v12
	s_cselect_b64 s[78:79], -1, 0
	s_lshl_b32 s74, s2, 6
	v_and_or_b32 v13, v13, s15, v14
	v_add_u32_e32 v14, 24, v3
	s_ashr_i32 s59, s58, 31
	s_ashr_i32 s57, s56, 31
	s_lshl_b32 s6, s56, 4
	s_ashr_i32 s31, s30, 31
	s_lshl_b32 s7, s30, 4
	s_lshl_b64 s[8:9], s[74:75], 3
	v_lshlrev_b32_e32 v15, 1, v14
	v_and_b32_e32 v16, 15, v14
	s_add_u32 s10, s50, s8
	v_and_or_b32 v15, v15, s15, v16
	v_add_u32_e32 v16, 28, v3
	s_addc_u32 s11, s51, s9
	v_lshlrev_b32_e32 v17, 1, v16
	v_and_b32_e32 v18, 15, v16
	s_abs_i32 s71, s91
	v_and_or_b32 v17, v17, s15, v18
	v_add_u32_e32 v18, 36, v3
	v_cvt_f32_u32_e32 v29, s71
	v_lshlrev_b32_e32 v19, 1, v18
	v_and_b32_e32 v20, 15, v18
	v_and_or_b32 v19, v19, s15, v20
	v_add_u32_e32 v20, 40, v3
	v_lshlrev_b32_e32 v21, 1, v20
	v_and_b32_e32 v22, 15, v20
	v_and_or_b32 v21, v21, s15, v22
	v_add_u32_e32 v22, 44, v3
	v_rcp_iflag_f32_e32 v29, v29
	v_lshlrev_b32_e32 v23, 1, v22
	v_and_b32_e32 v24, 15, v22
	v_and_or_b32 v23, v23, s15, v24
	v_add_u32_e32 v24, 52, v3
	v_lshlrev_b32_e32 v25, 1, v24
	v_and_b32_e32 v26, 15, v24
	s_abs_i32 s94, s90
	v_and_or_b32 v25, v25, s15, v26
	v_add_u32_e32 v26, 56, v3
	v_cvt_f32_u32_e32 v32, s94
	v_mul_f32_e32 v29, 0x4f7ffffe, v29
	v_lshlrev_b32_e32 v27, 1, v26
	v_and_b32_e32 v28, 15, v26
	v_cvt_u32_f32_e32 v29, v29
	v_and_or_b32 v27, v27, s15, v28
	v_add_u32_e32 v28, 60, v3
	s_abs_i32 s95, s89
	v_lshlrev_b32_e32 v30, 1, v28
	v_and_b32_e32 v31, 15, v28
	v_cvt_f32_u32_e32 v33, s95
	v_and_or_b32 v30, v30, s15, v31
	v_rcp_iflag_f32_e32 v31, v32
	s_sub_i32 s8, 0, s71
	v_mul_lo_u32 v32, s8, v29
	v_mul_hi_u32 v32, v29, v32
	s_abs_i32 s96, s16
	v_add_u32_e32 v203, v29, v32
	v_rcp_iflag_f32_e32 v32, v33
	v_cvt_f32_u32_e32 v33, s96
	v_mul_f32_e32 v31, 0x4f7ffffe, v31
	v_cvt_u32_f32_e32 v31, v31
	s_sub_i32 s8, 0, s94
	v_rcp_iflag_f32_e32 v33, v33
	v_lshlrev_b32_e32 v8, 1, v94
	v_mul_lo_u32 v29, s8, v31
	v_mul_hi_u32 v29, v31, v29
	v_add_u32_e32 v204, v31, v29
	v_mul_f32_e32 v31, 0x4f7ffffe, v33
	v_cvt_u32_f32_e32 v31, v31
	v_add_u32_e32 v207, 64, v2
	v_add_u32_e32 v208, 0x44, v2
	;; [unrolled: 1-line block ×3, first 2 shown]
	v_and_b32_e32 v100, 62, v8
	v_mul_u32_u24_e32 v209, 0x110, v2
	v_and_b32_e32 v2, 31, v0
	s_mov_b32 s8, s16
	v_readfirstlane_b32 s16, v31
	v_lshl_add_u32 v206, v100, 1, v7
	v_add_u32_e32 v7, v101, v2
	v_add_u32_e32 v8, 16, v3
	;; [unrolled: 1-line block ×4, first 2 shown]
	v_mul_u32_u24_e32 v210, 0x110, v7
	v_bfe_u32 v7, v95, 1, 4
	v_lshlrev_b32_e32 v33, 1, v3
	v_mul_f32_e32 v32, 0x4f7ffffe, v32
	v_and_or_b32 v33, v33, s15, v7
	v_lshrrev_b32_e32 v3, 3, v3
	v_cvt_u32_f32_e32 v32, v32
	scratch_store_dword off, v3, off offset:88 ; 4-byte Folded Spill
	v_mul_u32_u24_e32 v3, 0x110, v33
	scratch_store_dword off, v3, off offset:100 ; 4-byte Folded Spill
	v_mul_u32_u24_e32 v3, 0x110, v25
	v_writelane_b32 v255, s8, 3
	scratch_store_dword off, v3, off offset:108 ; 4-byte Folded Spill
	v_lshrrev_b32_e32 v3, 3, v26
	v_lshlrev_b32_e32 v118, 4, v2
	v_mbcnt_lo_u32_b32 v2, -1, 0
	v_writelane_b32 v255, s9, 4
	s_sub_i32 s8, 0, s95
	scratch_store_dword off, v3, off offset:112 ; 4-byte Folded Spill
	v_mul_u32_u24_e32 v3, 0x110, v27
	v_mbcnt_hi_u32_b32 v234, -1, v2
	v_lshrrev_b32_e32 v2, 3, v12
	v_mul_lo_u32 v29, s8, v32
	scratch_store_dword off, v3, off offset:124 ; 4-byte Folded Spill
	v_mul_u32_u24_e32 v3, 0x110, v30
	scratch_store_dword off, v2, off offset:8 ; 4-byte Folded Spill
	v_and_b32_e32 v2, 7, v12
	v_mul_hi_u32 v29, v32, v29
	v_mul_u32_u24_e32 v212, 0x110, v5
	v_mul_u32_u24_e32 v5, 0x110, v13
	scratch_store_dwordx2 off, v[2:3], off  ; 8-byte Folded Spill
	v_lshrrev_b32_e32 v2, 3, v16
	v_add_u32_e32 v205, v32, v29
	v_or_b32_e32 v29, v121, v94
	scratch_store_dword off, v5, off offset:12 ; 4-byte Folded Spill
	v_lshrrev_b32_e32 v5, 3, v14
	scratch_store_dword off, v2, off offset:32 ; 4-byte Folded Spill
	v_and_b32_e32 v2, 7, v16
	v_lshlrev_b32_e32 v98, 3, v29
	v_lshlrev_b32_e32 v29, 1, v8
	;; [unrolled: 1-line block ×3, first 2 shown]
	scratch_store_dword off, v5, off offset:16 ; 4-byte Folded Spill
	v_mul_u32_u24_e32 v5, 0x110, v15
	scratch_store_dwordx2 off, v[2:3], off offset:20 ; 8-byte Folded Spill
	v_lshrrev_b32_e32 v2, 3, v18
	v_and_or_b32 v29, v29, s15, v7
	v_and_or_b32 v32, v32, s15, v7
	scratch_store_dword off, v5, off offset:28 ; 4-byte Folded Spill
	v_mul_u32_u24_e32 v5, 0x110, v17
	s_sub_i32 s15, 0, s96
	scratch_store_dword off, v2, off offset:56 ; 4-byte Folded Spill
	v_and_b32_e32 v2, 7, v18
	v_mul_lo_u32 v102, s56, v196
	v_mul_lo_u32 v110, s30, v196
	scratch_store_dword off, v5, off offset:36 ; 4-byte Folded Spill
	v_lshrrev_b32_e32 v5, 3, v31
	s_mul_i32 s15, s15, s16
	scratch_store_dwordx2 off, v[2:3], off offset:44 ; 8-byte Folded Spill
	v_lshrrev_b32_e32 v2, 3, v22
	v_add_u32_e32 v104, s6, v102
	v_add_u32_e32 v112, s7, v110
	s_movk_i32 s17, 0x1e0
	scratch_store_dword off, v5, off offset:40 ; 4-byte Folded Spill
	v_mul_u32_u24_e32 v5, 0x110, v32
	s_mul_hi_u32 s15, s16, s15
	scratch_store_dword off, v2, off offset:80 ; 4-byte Folded Spill
	v_and_b32_e32 v2, 7, v22
	v_add_u32_e32 v106, s6, v104
	v_add_u32_e32 v114, s7, v112
	v_and_or_b32 v7, v141, s17, v7
	scratch_store_dword off, v5, off offset:52 ; 4-byte Folded Spill
	v_mul_u32_u24_e32 v5, 0x110, v19
	s_add_i32 s26, s16, s15
	s_lshl_b64 s[16:17], s[58:59], 1
	scratch_store_dwordx2 off, v[2:3], off offset:68 ; 8-byte Folded Spill
	v_lshrrev_b32_e32 v2, 3, v24
	v_mov_b32_e32 v99, 0
	v_add_u32_e32 v108, s6, v106
	v_add_u32_e32 v116, s7, v114
	scratch_store_dword off, v5, off offset:60 ; 4-byte Folded Spill
	v_lshrrev_b32_e32 v5, 3, v20
	v_writelane_b32 v255, s16, 5
	scratch_store_dword off, v2, off offset:104 ; 4-byte Folded Spill
	v_and_b32_e32 v2, 7, v24
	s_mov_b32 s12, 0x10001
	v_mov_b32_e32 v97, v99
	v_ashrrev_i32_e32 v103, 31, v102
	v_ashrrev_i32_e32 v105, 31, v104
	;; [unrolled: 1-line block ×8, first 2 shown]
	scratch_store_dword off, v5, off offset:64 ; 4-byte Folded Spill
	v_mul_u32_u24_e32 v5, 0x110, v21
	v_writelane_b32 v255, s17, 6
	v_mad_u32_u24 v241, v95, s13, v194
	scratch_store_dwordx2 off, v[2:3], off offset:92 ; 8-byte Folded Spill
	v_lshrrev_b32_e32 v2, 3, v28
	v_cmp_gt_u32_e64 s[0:1], 8, v196
	v_cmp_gt_u32_e64 s[6:7], 16, v94
	v_cmp_gt_u32_e64 s[8:9], 32, v94
	v_mul_u32_u24_e32 v211, 0x110, v7
	v_lshrrev_b32_e32 v213, 3, v6
	v_mul_u32_u24_e32 v214, 0x110, v9
	v_mul_u32_u24_e32 v215, 0x110, v11
	v_lshrrev_b32_e32 v216, 3, v8
	v_mul_u32_u24_e32 v217, 0x110, v29
	scratch_store_dword off, v5, off offset:76 ; 4-byte Folded Spill
	v_mul_u32_u24_e32 v5, 0x110, v23
	s_ashr_i32 s97, s91, 31
	s_ashr_i32 s98, s90, 31
	;; [unrolled: 1-line block ×3, first 2 shown]
	v_mov_b32_e32 v119, v99
	s_lshl_b64 s[82:83], s[30:31], 8
	s_lshl_b64 s[84:85], s[56:57], 8
	s_mov_b32 s27, 0x3fb8aa3b
	s_mov_b32 s59, 0xc2ce8ed0
	;; [unrolled: 1-line block ×5, first 2 shown]
	s_movk_i32 s80, 0x47
	v_mul_lo_u32 v235, v137, s12
	v_add_u32_e32 v236, 0x2100, v197
	v_add_u32_e32 v237, 0x4200, v197
	;; [unrolled: 1-line block ×4, first 2 shown]
	v_mul_u32_u24_e32 v240, 0x210, v95
	v_lshrrev_b32_e32 v242, 3, v135
	v_add_u32_e32 v243, 0x1080, v241
	v_lshrrev_b32_e32 v244, 3, v133
	v_add_u32_e32 v245, 0x2100, v241
	v_lshrrev_b32_e32 v246, 3, v131
	v_add_u32_e32 v247, 0x3180, v241
	v_lshrrev_b32_e32 v248, 3, v129
	v_add_u32_e32 v249, 0x4200, v241
	v_lshrrev_b32_e32 v250, 3, v230
	v_add_u32_e32 v251, 0x5280, v241
	v_lshrrev_b32_e32 v252, 3, v228
	v_add_u32_e32 v253, 0x6300, v241
	v_lshrrev_b32_e32 v254, 3, v1
	v_add_u32_e32 v233, 0x7380, v241
	v_bfe_u32 v231, v141, 4, 6
	v_lshrrev_b32_e32 v232, 3, v4
	v_and_b32_e32 v120, 7, v4
	v_lshrrev_b32_e32 v134, 3, v10
	v_and_b32_e32 v122, 7, v10
	scratch_store_dword off, v2, off offset:128 ; 4-byte Folded Spill
	v_and_b32_e32 v2, 7, v28
	v_mov_b32_e32 v227, 0x7f800000
	v_and_b32_e32 v136, 7, v0
	v_lshl_add_u64 v[138:139], s[10:11], 0, v[98:99]
	v_bfe_u32 v140, v95, 1, 3
	v_writelane_b32 v255, s20, 7
	v_mad_u64_u32 v[142:143], s[10:11], v123, s20, v[94:95]
	v_lshl_add_u64 v[144:145], s[42:43], 0, v[96:97]
	v_lshl_add_u64 v[146:147], v[110:111], 2, s[40:41]
	;; [unrolled: 1-line block ×9, first 2 shown]
	scratch_store_dword off, v5, off offset:84 ; 4-byte Folded Spill
	scratch_store_dword off, v3, off offset:132 ; 4-byte Folded Spill
	scratch_store_dwordx2 off, v[2:3], off offset:116 ; 8-byte Folded Spill
	s_branch .LBB31_12
.LBB31_10:                              ;   in Loop: Header=BB31_12 Depth=1
	s_or_b64 exec, exec, s[14:15]
	s_barrier
.LBB31_11:                              ;   in Loop: Header=BB31_12 Depth=1
	s_add_i32 s10, s68, s92
	s_abs_i32 s12, s10
	s_mul_hi_u32 s13, s12, s64
	s_mul_i32 s13, s13, s93
	s_sub_i32 s12, s12, s13
	s_ashr_i32 s11, s10, 31
	s_sub_i32 s13, s12, s93
	s_cmp_ge_u32 s12, s93
	s_cselect_b32 s12, s13, s12
	s_sub_i32 s13, s12, s93
	s_cmp_ge_u32 s12, s93
	s_cselect_b32 s12, s13, s12
	s_xor_b32 s12, s12, s11
	s_sub_i32 s11, s11, s12
	s_add_i32 s68, s10, s11
	s_sub_i32 s12, s72, s68
	s_min_i32 s33, s92, s12
	s_cmp_gt_i32 s72, s68
	s_cselect_b64 s[10:11], -1, 0
	s_cmp_le_i32 s92, s12
	s_cselect_b64 s[12:13], -1, 0
	s_and_b64 s[12:13], s[12:13], s[10:11]
	s_mov_b32 s14, 0
	s_and_b64 vcc, exec, s[12:13]
	s_cbranch_vccz .LBB31_431
.LBB31_12:                              ; =>This Loop Header: Depth=1
                                        ;     Child Loop BB31_260 Depth 2
                                        ;     Child Loop BB31_50 Depth 2
	s_abs_i32 s11, s68
	v_mul_hi_u32 v2, s11, v203
	v_mul_lo_u32 v3, v2, s71
	v_sub_u32_e32 v3, s11, v3
	v_add_u32_e32 v4, 1, v2
	v_subrev_u32_e32 v5, s71, v3
	v_cmp_le_u32_e32 vcc, s71, v3
	s_ashr_i32 s10, s68, 31
	s_xor_b32 s10, s10, s97
	v_cndmask_b32_e32 v2, v2, v4, vcc
	v_cndmask_b32_e32 v3, v3, v5, vcc
	v_add_u32_e32 v4, 1, v2
	v_cmp_le_u32_e32 vcc, s71, v3
	s_nop 1
	v_cndmask_b32_e32 v2, v2, v4, vcc
	v_xor_b32_e32 v2, s10, v2
	v_subrev_u32_e32 v2, s10, v2
	v_mul_lo_u32 v3, v2, s91
	v_sub_u32_e32 v4, s68, v3
	v_sub_u32_e32 v5, 0, v4
	v_max_i32_e32 v5, v4, v5
	v_mul_hi_u32 v6, v5, v204
	v_mul_lo_u32 v7, v6, s94
	v_sub_u32_e32 v5, v5, v7
	v_add_u32_e32 v7, 1, v6
	v_subrev_u32_e32 v8, s94, v5
	v_cmp_le_u32_e32 vcc, s94, v5
	v_ashrrev_i32_e32 v3, 31, v4
	v_xor_b32_e32 v3, s98, v3
	v_cndmask_b32_e32 v6, v6, v7, vcc
	v_cndmask_b32_e32 v5, v5, v8, vcc
	v_add_u32_e32 v7, 1, v6
	v_cmp_le_u32_e32 vcc, s94, v5
	s_nop 1
	v_cndmask_b32_e32 v5, v6, v7, vcc
	v_xor_b32_e32 v5, v5, v3
	v_sub_u32_e32 v3, v5, v3
	v_mul_lo_u32 v5, v3, s90
	v_sub_u32_e32 v4, v4, v5
	v_sub_u32_e32 v6, 0, v4
	v_max_i32_e32 v6, v4, v6
	v_mul_hi_u32 v7, v6, v205
	v_mul_lo_u32 v8, v7, s95
	v_sub_u32_e32 v6, v6, v8
	v_add_u32_e32 v8, 1, v7
	v_subrev_u32_e32 v9, s95, v6
	v_cmp_le_u32_e32 vcc, s95, v6
	v_ashrrev_i32_e32 v5, 31, v4
	v_xor_b32_e32 v5, s99, v5
	v_cndmask_b32_e32 v7, v7, v8, vcc
	v_cndmask_b32_e32 v6, v6, v9, vcc
	v_add_u32_e32 v8, 1, v7
	v_cmp_le_u32_e32 vcc, s95, v6
	s_nop 1
	v_cndmask_b32_e32 v6, v7, v8, vcc
	v_xor_b32_e32 v6, v6, v5
	v_sub_u32_e32 v5, v6, v5
	v_mul_lo_u32 v6, v5, s89
	v_sub_u32_e32 v4, v4, v6
	v_sub_u32_e32 v7, 0, v4
	v_ashrrev_i32_e32 v6, 31, v4
	v_max_i32_e32 v4, v4, v7
	v_mul_hi_u32 v7, v4, s64
	v_mul_lo_u32 v8, v7, s93
	v_sub_u32_e32 v4, v4, v8
	v_add_u32_e32 v8, 1, v7
	v_subrev_u32_e32 v9, s93, v4
	v_cmp_le_u32_e32 vcc, s93, v4
	v_xor_b32_e32 v6, s54, v6
	s_nop 0
	v_cndmask_b32_e32 v7, v7, v8, vcc
	v_cndmask_b32_e32 v4, v4, v9, vcc
	v_add_u32_e32 v8, 1, v7
	v_cmp_le_u32_e32 vcc, s93, v4
	s_nop 1
	v_cndmask_b32_e32 v4, v7, v8, vcc
	v_xor_b32_e32 v4, v4, v6
	s_andn2_b64 vcc, exec, s[78:79]
	v_sub_u32_e32 v4, v4, v6
	s_cbranch_vccnz .LBB31_14
; %bb.13:                               ;   in Loop: Header=BB31_12 Depth=1
	v_mul_lo_u32 v6, v2, s88
	v_add_u32_e32 v6, v4, v6
	v_ashrrev_i32_e32 v7, 31, v6
	v_lshlrev_b64 v[6:7], 2, v[6:7]
	v_lshl_add_u64 v[6:7], s[46:47], 0, v[6:7]
	global_load_dword v6, v[6:7], off
	s_waitcnt vmcnt(0)
	v_readfirstlane_b32 s10, v6
	s_ashr_i32 s11, s10, 31
	s_lshr_b32 s11, s11, 26
	s_add_i32 s10, s10, s11
	s_ashr_i32 s10, s10, 6
	s_min_i32 s33, s33, s10
.LBB31_14:                              ;   in Loop: Header=BB31_12 Depth=1
	v_mul_lo_u32 v6, v3, s3
	v_lshlrev_b32_e32 v97, 3, v5
	v_add_u32_e32 v6, v97, v6
	v_mul_lo_u32 v8, v2, s67
	v_ashrrev_i32_e32 v9, 31, v8
	v_mul_lo_u32 v10, v6, s66
	v_lshl_add_u64 v[8:9], s[36:37], 0, v[8:9]
	v_ashrrev_i32_e32 v11, 31, v10
	v_ashrrev_i32_e32 v5, 31, v2
	v_lshl_add_u64 v[182:183], v[8:9], 0, v[10:11]
	v_mul_hi_u32 v7, s52, v2
	v_mul_lo_u32 v8, s52, v5
	v_add_u32_e32 v7, v7, v8
	v_mul_lo_u32 v8, s53, v2
	v_add_u32_e32 v173, v7, v8
	v_mul_lo_u32 v172, s52, v2
	v_mul_lo_u32 v174, v3, s65
	v_sub_u32_e32 v7, 0, v2
	v_lshl_add_u64 v[8:9], s[38:39], 0, v[172:173]
	v_ashrrev_i32_e32 v175, 31, v174
	v_max_i32_e32 v7, v2, v7
	v_lshl_add_u64 v[168:169], v[8:9], 0, v[174:175]
	v_mul_hi_u32 v8, v7, s26
	v_mul_lo_u32 v8, v8, s96
	v_sub_u32_e32 v7, v7, v8
	v_subrev_u32_e32 v8, s96, v7
	v_cmp_le_u32_e32 vcc, s96, v7
	s_mul_i32 s10, s28, s29
	v_mul_lo_u32 v178, s60, v2
	v_cndmask_b32_e32 v7, v7, v8, vcc
	v_subrev_u32_e32 v8, s96, v7
	v_cmp_le_u32_e32 vcc, s96, v7
	v_mul_lo_u32 v180, v3, s55
	v_ashrrev_i32_e32 v181, 31, v180
	v_cndmask_b32_e32 v7, v7, v8, vcc
	v_xor_b32_e32 v7, v7, v5
	v_sub_u32_e32 v7, v7, v5
	v_ashrrev_i32_e32 v8, 31, v7
	v_mul_lo_u32 v8, s62, v8
	v_mul_hi_u32 v9, s62, v7
	v_add_u32_e32 v8, v9, v8
	v_mul_lo_u32 v9, s63, v7
	v_mul_lo_u32 v176, s62, v7
	;; [unrolled: 1-line block ×3, first 2 shown]
	v_add_u32_e32 v7, v6, v7
	v_lshlrev_b32_e32 v98, 7, v7
	v_mul_hi_u32 v7, s60, v2
	v_mul_lo_u32 v5, s60, v5
	v_add_u32_e32 v5, v7, v5
	v_mul_lo_u32 v7, s61, v2
	v_add_u32_e32 v179, v5, v7
	v_ashrrev_i32_e32 v7, 31, v6
	v_lshlrev_b64 v[2:3], 2, v[6:7]
	v_add_u32_e32 v177, v8, v9
	v_lshlrev_b64 v[8:9], 3, v[98:99]
	v_lshl_add_u64 v[2:3], s[44:45], 0, v[2:3]
	v_lshl_add_u64 v[162:163], s[48:49], 0, v[8:9]
	;; [unrolled: 1-line block ×3, first 2 shown]
	v_cndmask_b32_e64 v164, v2, 0, s[76:77]
	v_lshlrev_b32_e32 v143, 3, v4
	v_bfe_u32 v2, v141, 3, 7
	v_lshl_add_u64 v[170:171], s[42:43], 0, v[176:177]
	v_lshl_add_u64 v[166:167], v[8:9], 0, v[180:181]
	v_cndmask_b32_e64 v165, v3, 0, s[76:77]
	s_cmp_lg_u32 s14, 0
	v_add_u32_e32 v190, v2, v143
	v_or_b32_e32 v191, v123, v97
	s_cbranch_scc0 .LBB31_52
; %bb.15:                               ;   in Loop: Header=BB31_12 Depth=1
	v_cmp_le_i32_e64 s[10:11], s28, v190
	v_cmp_le_i32_e64 s[12:13], s3, v191
	v_cmp_gt_i32_e32 vcc, s3, v191
	s_or_b64 s[10:11], s[10:11], s[12:13]
	s_and_saveexec_b64 s[12:13], s[10:11]
	s_xor_b64 s[10:11], exec, s[12:13]
; %bb.16:                               ;   in Loop: Header=BB31_12 Depth=1
	v_add_u32_e32 v2, v194, v240
	ds_write2st64_b32 v2, v99, v99 offset1:1
; %bb.17:                               ;   in Loop: Header=BB31_12 Depth=1
	s_andn2_saveexec_b64 s[10:11], s[10:11]
	s_cbranch_execz .LBB31_19
; %bb.18:                               ;   in Loop: Header=BB31_12 Depth=1
	v_mad_u64_u32 v[2:3], s[12:13], v190, s69, v[142:143]
	v_ashrrev_i32_e32 v3, 31, v2
	v_lshl_add_u64 v[2:3], v[2:3], 3, v[182:183]
	global_load_dwordx2 v[4:5], v[2:3], off
	s_nop 0
	global_load_dwordx2 v[2:3], v[2:3], off offset:512
	s_waitcnt vmcnt(1)
	v_cvt_pk_f16_f32 v4, v4, v5
	s_waitcnt vmcnt(0)
	v_cvt_pk_f16_f32 v2, v2, v3
	v_pk_mul_f16 v3, v4, v235
	v_pk_mul_f16 v2, v2, v235
	ds_write2st64_b32 v241, v3, v2 offset1:1
.LBB31_19:                              ;   in Loop: Header=BB31_12 Depth=1
	s_or_b64 exec, exec, s[10:11]
	v_add_u32_e32 v2, v242, v143
	v_cmp_le_i32_e64 s[10:11], s28, v2
	s_xor_b64 s[12:13], vcc, -1
	s_or_b64 s[10:11], s[10:11], s[12:13]
	s_and_saveexec_b64 s[16:17], s[10:11]
	s_xor_b64 s[10:11], exec, s[16:17]
; %bb.20:                               ;   in Loop: Header=BB31_12 Depth=1
	v_add_u32_e32 v2, v194, v240
	v_add_u32_e32 v2, 0x80, v2
	ds_write2st64_b32 v2, v99, v99 offset0:16 offset1:17
                                        ; implicit-def: $vgpr2
; %bb.21:                               ;   in Loop: Header=BB31_12 Depth=1
	s_andn2_saveexec_b64 s[10:11], s[10:11]
	s_cbranch_execz .LBB31_23
; %bb.22:                               ;   in Loop: Header=BB31_12 Depth=1
	v_mad_u64_u32 v[2:3], s[16:17], v2, s69, v[142:143]
	v_ashrrev_i32_e32 v3, 31, v2
	v_lshl_add_u64 v[2:3], v[2:3], 3, v[182:183]
	global_load_dwordx2 v[4:5], v[2:3], off
	s_nop 0
	global_load_dwordx2 v[2:3], v[2:3], off offset:512
	s_waitcnt vmcnt(1)
	v_cvt_pk_f16_f32 v4, v4, v5
	s_waitcnt vmcnt(0)
	v_cvt_pk_f16_f32 v2, v2, v3
	v_pk_mul_f16 v3, v4, v235
	v_pk_mul_f16 v2, v2, v235
	ds_write2st64_b32 v243, v3, v2 offset1:1
.LBB31_23:                              ;   in Loop: Header=BB31_12 Depth=1
	s_or_b64 exec, exec, s[10:11]
	v_add_u32_e32 v2, v244, v143
	v_cmp_le_i32_e32 vcc, s28, v2
	s_or_b64 s[10:11], vcc, s[12:13]
	s_and_saveexec_b64 s[16:17], s[10:11]
	s_xor_b64 s[10:11], exec, s[16:17]
; %bb.24:                               ;   in Loop: Header=BB31_12 Depth=1
	v_add_u32_e32 v2, v194, v240
	ds_write2st64_b32 v2, v99, v99 offset0:33 offset1:34
                                        ; implicit-def: $vgpr2
; %bb.25:                               ;   in Loop: Header=BB31_12 Depth=1
	s_andn2_saveexec_b64 s[10:11], s[10:11]
	s_cbranch_execz .LBB31_27
; %bb.26:                               ;   in Loop: Header=BB31_12 Depth=1
	v_mad_u64_u32 v[2:3], s[16:17], v2, s69, v[142:143]
	v_ashrrev_i32_e32 v3, 31, v2
	v_lshl_add_u64 v[2:3], v[2:3], 3, v[182:183]
	global_load_dwordx2 v[4:5], v[2:3], off
	s_nop 0
	global_load_dwordx2 v[2:3], v[2:3], off offset:512
	s_waitcnt vmcnt(1)
	v_cvt_pk_f16_f32 v4, v4, v5
	s_waitcnt vmcnt(0)
	v_cvt_pk_f16_f32 v2, v2, v3
	v_pk_mul_f16 v3, v4, v235
	v_pk_mul_f16 v2, v2, v235
	ds_write2st64_b32 v245, v3, v2 offset1:1
.LBB31_27:                              ;   in Loop: Header=BB31_12 Depth=1
	s_or_b64 exec, exec, s[10:11]
	v_add_u32_e32 v2, v246, v143
	v_cmp_le_i32_e32 vcc, s28, v2
	s_or_b64 s[10:11], vcc, s[12:13]
	s_and_saveexec_b64 s[16:17], s[10:11]
	s_xor_b64 s[10:11], exec, s[16:17]
; %bb.28:                               ;   in Loop: Header=BB31_12 Depth=1
	v_add_u32_e32 v2, v194, v240
	v_add_u32_e32 v2, 0x80, v2
	ds_write2st64_b32 v2, v99, v99 offset0:49 offset1:50
                                        ; implicit-def: $vgpr2
; %bb.29:                               ;   in Loop: Header=BB31_12 Depth=1
	s_andn2_saveexec_b64 s[10:11], s[10:11]
	s_cbranch_execz .LBB31_31
; %bb.30:                               ;   in Loop: Header=BB31_12 Depth=1
	v_mad_u64_u32 v[2:3], s[16:17], v2, s69, v[142:143]
	v_ashrrev_i32_e32 v3, 31, v2
	v_lshl_add_u64 v[2:3], v[2:3], 3, v[182:183]
	global_load_dwordx2 v[4:5], v[2:3], off
	s_nop 0
	global_load_dwordx2 v[2:3], v[2:3], off offset:512
	s_waitcnt vmcnt(1)
	v_cvt_pk_f16_f32 v4, v4, v5
	s_waitcnt vmcnt(0)
	v_cvt_pk_f16_f32 v2, v2, v3
	v_pk_mul_f16 v3, v4, v235
	v_pk_mul_f16 v2, v2, v235
	ds_write2st64_b32 v247, v3, v2 offset1:1
.LBB31_31:                              ;   in Loop: Header=BB31_12 Depth=1
	s_or_b64 exec, exec, s[10:11]
	v_add_u32_e32 v2, v248, v143
	v_cmp_le_i32_e32 vcc, s28, v2
	s_or_b64 s[10:11], vcc, s[12:13]
	s_and_saveexec_b64 s[16:17], s[10:11]
	s_xor_b64 s[10:11], exec, s[16:17]
; %bb.32:                               ;   in Loop: Header=BB31_12 Depth=1
	v_add_u32_e32 v2, v194, v240
	ds_write2st64_b32 v2, v99, v99 offset0:66 offset1:67
                                        ; implicit-def: $vgpr2
; %bb.33:                               ;   in Loop: Header=BB31_12 Depth=1
	s_andn2_saveexec_b64 s[10:11], s[10:11]
	s_cbranch_execz .LBB31_35
; %bb.34:                               ;   in Loop: Header=BB31_12 Depth=1
	v_mad_u64_u32 v[2:3], s[16:17], v2, s69, v[142:143]
	v_ashrrev_i32_e32 v3, 31, v2
	v_lshl_add_u64 v[2:3], v[2:3], 3, v[182:183]
	global_load_dwordx2 v[4:5], v[2:3], off
	s_nop 0
	global_load_dwordx2 v[2:3], v[2:3], off offset:512
	s_waitcnt vmcnt(1)
	v_cvt_pk_f16_f32 v4, v4, v5
	s_waitcnt vmcnt(0)
	v_cvt_pk_f16_f32 v2, v2, v3
	v_pk_mul_f16 v3, v4, v235
	v_pk_mul_f16 v2, v2, v235
	ds_write2st64_b32 v249, v3, v2 offset1:1
.LBB31_35:                              ;   in Loop: Header=BB31_12 Depth=1
	s_or_b64 exec, exec, s[10:11]
	v_add_u32_e32 v2, v250, v143
	v_cmp_le_i32_e32 vcc, s28, v2
	s_or_b64 s[10:11], vcc, s[12:13]
	;; [unrolled: 57-line block ×3, first 2 shown]
	s_and_saveexec_b64 s[12:13], s[10:11]
	s_xor_b64 s[10:11], exec, s[12:13]
; %bb.44:                               ;   in Loop: Header=BB31_12 Depth=1
	v_add_u32_e32 v2, v194, v240
	v_add_u32_e32 v2, 0x80, v2
	ds_write2st64_b32 v2, v99, v99 offset0:115 offset1:116
                                        ; implicit-def: $vgpr2
; %bb.45:                               ;   in Loop: Header=BB31_12 Depth=1
	s_andn2_saveexec_b64 s[10:11], s[10:11]
	s_cbranch_execz .LBB31_47
; %bb.46:                               ;   in Loop: Header=BB31_12 Depth=1
	v_mad_u64_u32 v[2:3], s[12:13], v2, s69, v[142:143]
	v_ashrrev_i32_e32 v3, 31, v2
	v_lshl_add_u64 v[2:3], v[2:3], 3, v[182:183]
	global_load_dwordx2 v[4:5], v[2:3], off
	s_nop 0
	global_load_dwordx2 v[2:3], v[2:3], off offset:512
	s_waitcnt vmcnt(1)
	v_cvt_pk_f16_f32 v4, v4, v5
	s_waitcnt vmcnt(0)
	v_cvt_pk_f16_f32 v2, v2, v3
	v_pk_mul_f16 v3, v4, v235
	v_pk_mul_f16 v2, v2, v235
	ds_write2st64_b32 v233, v3, v2 offset1:1
.LBB31_47:                              ;   in Loop: Header=BB31_12 Depth=1
	s_or_b64 exec, exec, s[10:11]
	s_waitcnt lgkmcnt(0)
	s_barrier
	ds_read2_b64 v[30:33], v195 offset1:4
	ds_read2_b64 v[26:29], v195 offset0:8 offset1:12
	ds_read2_b64 v[22:25], v195 offset0:16 offset1:20
	;; [unrolled: 1-line block ×7, first 2 shown]
	s_add_i32 s15, s33, -1
	s_cmp_ge_i32 s14, s15
	s_waitcnt lgkmcnt(0)
	s_barrier
	s_cbranch_scc1 .LBB31_53
; %bb.48:                               ;   in Loop: Header=BB31_12 Depth=1
	v_add_u32_e32 v34, v143, v196
	v_mul_hi_u32 v35, s34, v34
	v_add_u32_e32 v35, v34, v35
	v_lshrrev_b32_e32 v35, s35, v35
	v_mul_lo_u32 v35, v35, s28
	v_sub_u32_e32 v34, v34, v35
	v_mad_i64_i32 v[34:35], s[10:11], v34, s58, 0
	v_lshl_add_u64 v[34:35], v[34:35], 1, v[170:171]
	v_lshlrev_b32_e32 v98, 1, v100
	v_lshl_add_u64 v[184:185], v[34:35], 0, v[98:99]
	v_and_b32_e32 v34, 64, v234
	v_add_u32_e32 v34, 64, v34
	v_xor_b32_e32 v35, 32, v234
	v_cmp_lt_i32_e32 vcc, v35, v34
	s_lshl_b32 s10, s14, 6
	v_mov_b32_e32 v186, 0
	v_cndmask_b32_e32 v35, v234, v35, vcc
	v_lshlrev_b32_e32 v192, 2, v35
	v_xor_b32_e32 v35, 16, v234
	v_cmp_lt_i32_e32 vcc, v35, v34
	v_mov_b32_e32 v37, 0xfeffffff
	v_mov_b32_e32 v36, 0
	v_cndmask_b32_e32 v34, v234, v35, vcc
	v_lshlrev_b32_e32 v193, 2, v34
	v_mov_b32_e32 v187, 0
	v_mov_b32_e32 v91, 0
	;; [unrolled: 1-line block ×31, first 2 shown]
	s_ashr_i32 s11, s10, 31
	s_and_saveexec_b64 s[12:13], s[0:1]
	s_cbranch_execz .LBB31_50
.LBB31_49:                              ;   in Loop: Header=BB31_12 Depth=1
	v_lshl_add_u64 v[40:41], s[10:11], 1, v[184:185]
	global_load_dword v40, v[40:41], off
	s_waitcnt vmcnt(0)
	ds_write_b32 v206, v40 offset:33792
.LBB31_50:                              ;   Parent Loop BB31_12 Depth=1
                                        ; =>  This Inner Loop Header: Depth=2
	s_or_b64 exec, exec, s[12:13]
	s_mul_hi_i32 s13, s10, s56
	s_mul_i32 s12, s10, s56
	s_lshl_b64 s[12:13], s[12:13], 2
	v_lshl_add_u64 v[40:41], v[168:169], 0, s[12:13]
	v_lshl_add_u64 v[44:45], v[102:103], 2, v[40:41]
	v_lshlrev_b32_e32 v98, 2, v96
	v_lshl_add_u64 v[44:45], v[44:45], 0, v[98:99]
	global_load_dwordx4 v[56:59], v[44:45], off
	v_lshl_add_u64 v[48:49], v[104:105], 2, v[40:41]
	v_lshl_add_u64 v[48:49], v[48:49], 0, v[98:99]
	;; [unrolled: 1-line block ×6, first 2 shown]
	s_mul_hi_i32 s13, s10, s30
	s_mul_i32 s12, s10, s30
	s_lshl_b64 s[12:13], s[12:13], 2
	s_add_i32 s14, s14, 1
	s_add_i32 s10, s10, 64
	s_cmp_lt_i32 s14, s15
	s_waitcnt vmcnt(0)
	ds_write_b128 v197, v[56:59]
	global_load_dwordx4 v[56:59], v[48:49], off
	s_waitcnt vmcnt(0)
	ds_write_b128 v236, v[56:59]
	global_load_dwordx4 v[56:59], v[52:53], off
	;; [unrolled: 3-line block ×3, first 2 shown]
	v_add_u32_e32 v40, 0x4000, v198
	s_waitcnt vmcnt(0)
	ds_write_b128 v238, v[56:59]
	s_waitcnt lgkmcnt(0)
	s_barrier
	ds_read2_b64 v[56:59], v198 offset1:4
	s_waitcnt lgkmcnt(0)
	v_mfma_f32_16x16x16_f16 v[124:127], v[56:57], v[30:31], 0
	v_mfma_f32_16x16x16_f16 v[56:59], v[58:59], v[32:33], v[124:127]
	s_nop 6
	ds_read2_b64 v[124:127], v198 offset0:8 offset1:12
	s_waitcnt lgkmcnt(0)
	v_mfma_f32_16x16x16_f16 v[56:59], v[124:125], v[26:27], v[56:59]
	v_mfma_f32_16x16x16_f16 v[56:59], v[126:127], v[28:29], v[56:59]
	ds_read2_b64 v[124:127], v198 offset0:16 offset1:20
	s_waitcnt lgkmcnt(0)
	v_mfma_f32_16x16x16_f16 v[56:59], v[124:125], v[22:23], v[56:59]
	v_mfma_f32_16x16x16_f16 v[56:59], v[126:127], v[24:25], v[56:59]
	;; [unrolled: 4-line block ×8, first 2 shown]
	s_nop 6
	ds_read2_b64 v[218:221], v40 offset0:72 offset1:76
	s_waitcnt lgkmcnt(0)
	v_mfma_f32_16x16x16_f16 v[124:127], v[218:219], v[26:27], v[124:127]
	v_mfma_f32_16x16x16_f16 v[124:127], v[220:221], v[28:29], v[124:127]
	ds_read2_b64 v[218:221], v40 offset0:80 offset1:84
	s_waitcnt lgkmcnt(0)
	v_mfma_f32_16x16x16_f16 v[124:127], v[218:219], v[22:23], v[124:127]
	v_mfma_f32_16x16x16_f16 v[124:127], v[220:221], v[24:25], v[124:127]
	;; [unrolled: 4-line block ×6, first 2 shown]
	ds_read2_b64 v[218:221], v40 offset0:120 offset1:124
	v_add_u32_e32 v40, 0x8400, v199
	s_waitcnt lgkmcnt(0)
	s_barrier
	ds_read2_b32 v[40:41], v40 offset1:1
	v_mfma_f32_16x16x16_f16 v[124:127], v[218:219], v[2:3], v[124:127]
	s_waitcnt lgkmcnt(0)
	v_cvt_f32_f16_e32 v44, v40
	v_cvt_f32_f16_sdwa v40, v40 dst_sel:DWORD dst_unused:UNUSED_PAD src0_sel:WORD_1
	v_add_f32_e32 v44, v56, v44
	v_add_f32_e32 v45, v57, v40
	v_cvt_f32_f16_e32 v40, v41
	v_cvt_f32_f16_sdwa v41, v41 dst_sel:DWORD dst_unused:UNUSED_PAD src0_sel:WORD_1
	v_mfma_f32_16x16x16_f16 v[124:127], v[220:221], v[4:5], v[124:127]
	v_add_f32_e32 v48, v58, v40
	ds_read_b32 v40, v207 offset:33792
	v_add_f32_e32 v49, v59, v41
	v_add_f32_e32 v58, 0x40051340, v49
	s_waitcnt lgkmcnt(0)
	v_cvt_f32_f16_e32 v41, v40
	v_cvt_f32_f16_sdwa v40, v40 dst_sel:DWORD dst_unused:UNUSED_PAD src0_sel:WORD_1
	s_nop 0
	v_add_f32_e32 v52, v124, v41
	v_add_f32_e32 v53, v125, v40
	ds_read_b32 v40, v208 offset:33792
	s_waitcnt lgkmcnt(0)
	v_cvt_f32_f16_e32 v41, v40
	v_cvt_f32_f16_sdwa v40, v40 dst_sel:DWORD dst_unused:UNUSED_PAD src0_sel:WORD_1
	v_add_f32_e32 v56, v126, v41
	v_add_f32_e32 v57, v127, v40
	;; [unrolled: 1-line block ×4, first 2 shown]
	v_max3_f32 v40, v37, v40, v41
	v_add_f32_e32 v41, 0x40051340, v48
	v_max3_f32 v40, v40, v41, v58
	v_add_f32_e32 v41, 0x40051340, v52
	v_add_f32_e32 v58, 0x40051340, v53
	v_max3_f32 v40, v40, v41, v58
	v_add_f32_e32 v41, 0x40051340, v56
	v_add_f32_e32 v58, 0x40051340, v57
	v_max3_f32 v40, v40, v41, v58
	ds_bpermute_b32 v41, v192, v40
	s_waitcnt lgkmcnt(0)
	v_max_f32_e32 v41, v41, v41
	v_max_f32_e32 v40, v40, v41
	ds_bpermute_b32 v41, v193, v40
	s_waitcnt lgkmcnt(0)
	v_max_f32_e32 v41, v41, v41
	v_max_f32_e32 v132, v40, v41
	v_sub_f32_e32 v40, v44, v132
	v_mul_f32_e32 v41, 0x3fb8aa3b, v40
	v_fma_f32 v44, v40, s27, -v41
	v_rndne_f32_e32 v58, v41
	v_fmac_f32_e32 v44, 0x32a5705f, v40
	v_sub_f32_e32 v41, v41, v58
	v_add_f32_e32 v41, v41, v44
	v_exp_f32_e32 v41, v41
	v_cvt_i32_f32_e32 v44, v58
	v_cmp_ngt_f32_e32 vcc, s59, v40
	v_sub_f32_e32 v37, v37, v132
	v_ldexp_f32 v41, v41, v44
	v_cndmask_b32_e32 v41, 0, v41, vcc
	v_cmp_nlt_f32_e32 vcc, s81, v40
	s_nop 1
	v_cndmask_b32_e32 v40, v227, v41, vcc
	v_sub_f32_e32 v41, v45, v132
	v_mul_f32_e32 v44, 0x3fb8aa3b, v41
	v_fma_f32 v45, v41, s27, -v44
	v_rndne_f32_e32 v58, v44
	v_fmac_f32_e32 v45, 0x32a5705f, v41
	v_sub_f32_e32 v44, v44, v58
	v_add_f32_e32 v44, v44, v45
	v_exp_f32_e32 v44, v44
	v_cvt_i32_f32_e32 v45, v58
	v_cmp_ngt_f32_e32 vcc, s59, v41
	v_ldexp_f32 v44, v44, v45
	s_nop 0
	v_cndmask_b32_e32 v44, 0, v44, vcc
	v_cmp_nlt_f32_e32 vcc, s81, v41
	s_nop 1
	v_cndmask_b32_e32 v41, v227, v44, vcc
	v_sub_f32_e32 v44, v48, v132
	v_mul_f32_e32 v48, 0x3fb8aa3b, v44
	v_fma_f32 v58, v44, s27, -v48
	v_rndne_f32_e32 v59, v48
	v_fmac_f32_e32 v58, 0x32a5705f, v44
	v_sub_f32_e32 v48, v48, v59
	v_add_f32_e32 v48, v48, v58
	v_exp_f32_e32 v48, v48
	v_cvt_i32_f32_e32 v58, v59
	v_cmp_ngt_f32_e32 vcc, s59, v44
	v_add_f32_e32 v45, v40, v41
	v_cvt_pk_f16_f32 v188, v40, v41
	v_ldexp_f32 v48, v48, v58
	v_cndmask_b32_e32 v48, 0, v48, vcc
	v_cmp_nlt_f32_e32 vcc, s81, v44
	s_nop 1
	v_cndmask_b32_e32 v44, v227, v48, vcc
	v_sub_f32_e32 v48, v49, v132
	v_mul_f32_e32 v49, 0x3fb8aa3b, v48
	v_fma_f32 v58, v48, s27, -v49
	v_rndne_f32_e32 v59, v49
	v_fmac_f32_e32 v58, 0x32a5705f, v48
	v_sub_f32_e32 v49, v49, v59
	v_add_f32_e32 v49, v49, v58
	v_exp_f32_e32 v49, v49
	v_cvt_i32_f32_e32 v58, v59
	v_cmp_ngt_f32_e32 vcc, s59, v48
	v_add_f32_e32 v45, v44, v45
	v_ldexp_f32 v49, v49, v58
	v_cndmask_b32_e32 v49, 0, v49, vcc
	v_cmp_nlt_f32_e32 vcc, s81, v48
	s_nop 1
	v_cndmask_b32_e32 v48, v227, v49, vcc
	v_add_f32_e32 v49, v48, v45
	v_sub_f32_e32 v45, v52, v132
	v_mul_f32_e32 v52, 0x3fb8aa3b, v45
	v_fma_f32 v58, v45, s27, -v52
	v_rndne_f32_e32 v59, v52
	v_fmac_f32_e32 v58, 0x32a5705f, v45
	v_sub_f32_e32 v52, v52, v59
	v_add_f32_e32 v52, v52, v58
	v_exp_f32_e32 v52, v52
	v_cvt_i32_f32_e32 v58, v59
	v_cmp_ngt_f32_e32 vcc, s59, v45
	v_cvt_pk_f16_f32 v189, v44, v48
	v_ldexp_f32 v52, v52, v58
	v_cndmask_b32_e32 v52, 0, v52, vcc
	v_cmp_nlt_f32_e32 vcc, s81, v45
	s_nop 1
	v_cndmask_b32_e32 v45, v227, v52, vcc
	v_add_f32_e32 v52, v45, v49
	v_sub_f32_e32 v49, v53, v132
	v_mul_f32_e32 v53, 0x3fb8aa3b, v49
	v_fma_f32 v58, v49, s27, -v53
	v_rndne_f32_e32 v59, v53
	v_fmac_f32_e32 v58, 0x32a5705f, v49
	v_sub_f32_e32 v53, v53, v59
	v_add_f32_e32 v53, v53, v58
	v_exp_f32_e32 v53, v53
	v_cvt_i32_f32_e32 v58, v59
	v_cmp_ngt_f32_e32 vcc, s59, v49
	v_ldexp_f32 v53, v53, v58
	s_nop 0
	v_cndmask_b32_e32 v53, 0, v53, vcc
	v_cmp_nlt_f32_e32 vcc, s81, v49
	s_nop 1
	v_cndmask_b32_e32 v49, v227, v53, vcc
	v_add_f32_e32 v53, v49, v52
	v_sub_f32_e32 v52, v56, v132
	v_mul_f32_e32 v56, 0x3fb8aa3b, v52
	v_fma_f32 v58, v52, s27, -v56
	v_rndne_f32_e32 v59, v56
	v_fmac_f32_e32 v58, 0x32a5705f, v52
	v_sub_f32_e32 v56, v56, v59
	v_add_f32_e32 v56, v56, v58
	v_exp_f32_e32 v56, v56
	v_cvt_i32_f32_e32 v58, v59
	v_cmp_ngt_f32_e32 vcc, s59, v52
	v_ldexp_f32 v56, v56, v58
	s_nop 0
	;; [unrolled: 17-line block ×3, first 2 shown]
	v_cndmask_b32_e32 v57, 0, v57, vcc
	v_cmp_nlt_f32_e32 vcc, s81, v53
	s_nop 1
	v_cndmask_b32_e32 v53, v227, v57, vcc
	v_add_f32_e32 v130, v53, v56
	v_mul_f32_e32 v56, 0x3fb8aa3b, v37
	v_fma_f32 v57, v37, s27, -v56
	v_rndne_f32_e32 v58, v56
	v_fmac_f32_e32 v57, 0x32a5705f, v37
	v_sub_f32_e32 v56, v56, v58
	v_add_f32_e32 v56, v56, v57
	v_exp_f32_e32 v56, v56
	v_cvt_i32_f32_e32 v57, v58
	v_cmp_ngt_f32_e32 vcc, s59, v37
	v_ldexp_f32 v56, v56, v57
	s_nop 0
	v_cndmask_b32_e32 v56, 0, v56, vcc
	v_cmp_nlt_f32_e32 vcc, s81, v37
	s_nop 1
	v_cndmask_b32_e32 v56, v227, v56, vcc
	v_cmp_le_f32_e32 vcc, s70, v37
	s_nop 1
	v_cndmask_b32_e32 v37, 0, v56, vcc
	v_fmac_f32_e32 v130, v36, v37
	v_cvt_f16_f32_e32 v36, v37
	v_mul_u32_u24_e32 v36, 0x10001, v36
	v_pk_mul_f16 v57, v35, v36
	v_pk_mul_f16 v56, v34, v36
	v_lshl_add_u64 v[34:35], v[166:167], 0, s[12:13]
	v_pk_mul_f16 v39, v39, v36
	v_pk_mul_f16 v38, v38, v36
	;; [unrolled: 1-line block ×30, first 2 shown]
	v_lshl_add_u64 v[36:37], v[110:111], 2, v[34:35]
	v_lshl_add_u64 v[36:37], v[36:37], 0, v[98:99]
	;; [unrolled: 1-line block ×6, first 2 shown]
	global_load_dwordx4 v[34:37], v[36:37], off
	v_lshl_add_u64 v[60:61], v[60:61], 0, v[98:99]
	v_lshl_add_u64 v[64:65], v[64:65], 0, v[98:99]
	v_cvt_pk_f16_f32 v187, v52, v53
	v_cvt_pk_f16_f32 v186, v45, v49
	v_cvt_f32_f16_e32 v124, v39
	v_cvt_f32_f16_sdwa v125, v39 dst_sel:DWORD dst_unused:UNUSED_PAD src0_sel:WORD_1
	v_cvt_f32_f16_e32 v126, v38
	v_cvt_f32_f16_sdwa v127, v38 dst_sel:DWORD dst_unused:UNUSED_PAD src0_sel:WORD_1
	s_waitcnt vmcnt(0)
	ds_write_b128 v197, v[34:37]
	global_load_dwordx4 v[34:37], v[60:61], off
	s_waitcnt vmcnt(0)
	ds_write_b128 v236, v[34:37]
	global_load_dwordx4 v[34:37], v[64:65], off
	;; [unrolled: 3-line block ×3, first 2 shown]
	s_waitcnt vmcnt(0)
	ds_write_b128 v238, v[34:37]
	s_waitcnt lgkmcnt(0)
	s_barrier
	ds_read_u16 v60, v200 offset:528
	ds_read_u16 v61, v200 offset:1056
	v_cvt_f32_f16_e32 v36, v56
	v_cvt_f32_f16_sdwa v37, v56 dst_sel:DWORD dst_unused:UNUSED_PAD src0_sel:WORD_1
	ds_read_u16 v56, v201
	ds_read_u16 v64, v201 offset:32
	v_cvt_f32_f16_e32 v34, v57
	v_cvt_f32_f16_sdwa v35, v57 dst_sel:DWORD dst_unused:UNUSED_PAD src0_sel:WORD_1
	s_waitcnt lgkmcnt(1)
	v_perm_b32 v57, v56, v61, s73
	ds_read_u16 v56, v200
	ds_read_u16 v61, v200 offset:32
	ds_read_u16 v40, v200 offset:16896
	;; [unrolled: 1-line block ×5, first 2 shown]
	s_waitcnt lgkmcnt(5)
	v_perm_b32 v56, v60, v56, s73
	s_nop 1
	v_mfma_f32_16x16x16_f16 v[34:37], v[56:57], v[188:189], v[34:37]
	s_waitcnt lgkmcnt(0)
	v_perm_b32 v41, v48, v41, s73
	v_perm_b32 v40, v44, v40, s73
	s_nop 4
	v_cvt_f16_f32_e32 v34, v34
	v_cvt_f16_f32_e32 v35, v35
	;; [unrolled: 1-line block ×4, first 2 shown]
	v_cvt_f32_f16_e32 v34, v34
	v_cvt_f32_f16_e32 v35, v35
	;; [unrolled: 1-line block ×4, first 2 shown]
	s_nop 1
	v_mfma_f32_16x16x16_f16 v[34:37], v[40:41], v[186:187], v[34:37]
	ds_read_u16 v40, v200 offset:560
	ds_read_u16 v41, v200 offset:1088
	;; [unrolled: 1-line block ×6, first 2 shown]
	s_nop 1
	v_cvt_pk_f16_f32 v35, v34, v35
	s_waitcnt lgkmcnt(5)
	v_perm_b32 v38, v40, v61, s73
	s_waitcnt lgkmcnt(4)
	v_perm_b32 v39, v64, v41, s73
	;; [unrolled: 2-line block ×3, first 2 shown]
	v_perm_b32 v44, v48, v44, s73
	v_mfma_f32_16x16x16_f16 v[38:41], v[38:39], v[188:189], v[124:127]
	v_cvt_pk_f16_f32 v34, v36, v37
	s_nop 1
	v_cvt_f32_f16_e32 v124, v43
	v_cvt_f32_f16_sdwa v125, v43 dst_sel:DWORD dst_unused:UNUSED_PAD src0_sel:WORD_1
	s_nop 2
	v_cvt_f16_f32_e32 v38, v38
	v_cvt_f16_f32_e32 v39, v39
	v_cvt_f16_f32_e32 v40, v40
	v_cvt_f16_f32_e32 v41, v41
	v_cvt_f32_f16_e32 v38, v38
	v_cvt_f32_f16_e32 v39, v39
	;; [unrolled: 1-line block ×5, first 2 shown]
	v_cvt_f32_f16_sdwa v127, v42 dst_sel:DWORD dst_unused:UNUSED_PAD src0_sel:WORD_1
	v_mfma_f32_16x16x16_f16 v[38:41], v[44:45], v[186:187], v[38:41]
	ds_read_u16 v44, v200 offset:64
	ds_read_u16 v45, v200 offset:592
	;; [unrolled: 1-line block ×4, first 2 shown]
	s_waitcnt lgkmcnt(2)
	v_perm_b32 v42, v45, v44, s73
	s_nop 1
	v_cvt_pk_f16_f32 v39, v38, v39
	s_waitcnt lgkmcnt(0)
	v_perm_b32 v43, v49, v48, s73
	ds_read_u16 v48, v200 offset:16960
	ds_read_u16 v52, v200 offset:17488
	ds_read_u16 v49, v200 offset:18016
	ds_read_u16 v53, v201 offset:16960
	v_mfma_f32_16x16x16_f16 v[42:45], v[42:43], v[188:189], v[124:127]
	s_waitcnt lgkmcnt(0)
	v_perm_b32 v49, v53, v49, s73
	v_perm_b32 v48, v52, v48, s73
	v_cvt_f32_f16_e32 v124, v47
	s_nop 3
	v_cvt_f16_f32_e32 v42, v42
	v_cvt_f16_f32_e32 v43, v43
	v_cvt_f16_f32_e32 v44, v44
	v_cvt_f16_f32_e32 v45, v45
	v_cvt_f32_f16_e32 v42, v42
	v_cvt_f32_f16_e32 v43, v43
	v_cvt_f32_f16_e32 v44, v44
	v_cvt_f32_f16_e32 v45, v45
	v_cvt_f32_f16_sdwa v125, v47 dst_sel:DWORD dst_unused:UNUSED_PAD src0_sel:WORD_1
	v_cvt_f32_f16_e32 v126, v46
	v_mfma_f32_16x16x16_f16 v[42:45], v[48:49], v[186:187], v[42:45]
	ds_read_u16 v48, v200 offset:96
	ds_read_u16 v49, v200 offset:624
	ds_read_u16 v52, v200 offset:1152
	ds_read_u16 v53, v201 offset:96
	v_cvt_f32_f16_sdwa v127, v46 dst_sel:DWORD dst_unused:UNUSED_PAD src0_sel:WORD_1
	v_cvt_pk_f16_f32 v38, v40, v41
	s_waitcnt lgkmcnt(2)
	v_perm_b32 v46, v49, v48, s73
	v_cvt_pk_f16_f32 v43, v42, v43
	s_waitcnt lgkmcnt(0)
	v_perm_b32 v47, v53, v52, s73
	ds_read_u16 v52, v200 offset:16992
	ds_read_u16 v56, v200 offset:17520
	ds_read_u16 v53, v200 offset:18048
	ds_read_u16 v57, v201 offset:16992
	v_mfma_f32_16x16x16_f16 v[46:49], v[46:47], v[188:189], v[124:127]
	s_waitcnt lgkmcnt(0)
	v_perm_b32 v53, v57, v53, s73
	v_perm_b32 v52, v56, v52, s73
	v_cvt_f32_f16_e32 v124, v51
	s_nop 3
	v_cvt_f16_f32_e32 v46, v46
	v_cvt_f16_f32_e32 v47, v47
	v_cvt_f16_f32_e32 v48, v48
	v_cvt_f16_f32_e32 v49, v49
	v_cvt_f32_f16_e32 v46, v46
	v_cvt_f32_f16_e32 v47, v47
	v_cvt_f32_f16_e32 v48, v48
	v_cvt_f32_f16_e32 v49, v49
	v_cvt_f32_f16_sdwa v125, v51 dst_sel:DWORD dst_unused:UNUSED_PAD src0_sel:WORD_1
	v_cvt_f32_f16_e32 v126, v50
	v_mfma_f32_16x16x16_f16 v[46:49], v[52:53], v[186:187], v[46:49]
	ds_read_u16 v52, v200 offset:128
	ds_read_u16 v53, v200 offset:656
	ds_read_u16 v56, v200 offset:1184
	ds_read_u16 v57, v201 offset:128
	v_cvt_f32_f16_sdwa v127, v50 dst_sel:DWORD dst_unused:UNUSED_PAD src0_sel:WORD_1
	v_cvt_pk_f16_f32 v42, v44, v45
	s_waitcnt lgkmcnt(2)
	v_perm_b32 v50, v53, v52, s73
	;; [unrolled: 32-line block ×5, first 2 shown]
	v_cvt_pk_f16_f32 v60, v60, v61
	s_waitcnt lgkmcnt(0)
	v_perm_b32 v63, v69, v68, s73
	s_nop 1
	v_mfma_f32_16x16x16_f16 v[124:127], v[62:63], v[188:189], v[124:127]
	ds_read_u16 v62, v200 offset:17120
	ds_read_u16 v63, v200 offset:17648
	;; [unrolled: 1-line block ×4, first 2 shown]
	s_nop 3
	v_cvt_f16_f32_e32 v64, v124
	v_cvt_f16_f32_e32 v65, v125
	;; [unrolled: 1-line block ×4, first 2 shown]
	v_cvt_f32_f16_e32 v124, v64
	v_cvt_f32_f16_e32 v125, v65
	;; [unrolled: 1-line block ×4, first 2 shown]
	s_waitcnt lgkmcnt(0)
	v_perm_b32 v65, v73, v72, s73
	v_perm_b32 v64, v63, v62, s73
	ds_read_u16 v68, v200 offset:256
	ds_read_u16 v69, v200 offset:784
	;; [unrolled: 1-line block ×4, first 2 shown]
	v_mfma_f32_16x16x16_f16 v[62:65], v[64:65], v[186:187], v[124:127]
	s_nop 2
	v_cvt_f32_f16_e32 v124, v67
	v_cvt_f32_f16_sdwa v125, v67 dst_sel:DWORD dst_unused:UNUSED_PAD src0_sel:WORD_1
	v_cvt_f32_f16_e32 v126, v66
	v_cvt_f32_f16_sdwa v127, v66 dst_sel:DWORD dst_unused:UNUSED_PAD src0_sel:WORD_1
	s_waitcnt lgkmcnt(0)
	v_perm_b32 v67, v73, v72, s73
	v_perm_b32 v66, v69, v68, s73
	ds_read_u16 v72, v200 offset:17152
	ds_read_u16 v76, v200 offset:17680
	ds_read_u16 v73, v200 offset:18208
	ds_read_u16 v77, v201 offset:17152
	v_mfma_f32_16x16x16_f16 v[66:69], v[66:67], v[188:189], v[124:127]
	s_waitcnt lgkmcnt(0)
	v_perm_b32 v73, v77, v73, s73
	v_perm_b32 v72, v76, v72, s73
	v_cvt_f32_f16_e32 v124, v71
	s_nop 3
	v_cvt_f16_f32_e32 v66, v66
	v_cvt_f16_f32_e32 v67, v67
	v_cvt_f16_f32_e32 v68, v68
	v_cvt_f16_f32_e32 v69, v69
	v_cvt_f32_f16_e32 v66, v66
	v_cvt_f32_f16_e32 v67, v67
	v_cvt_f32_f16_e32 v68, v68
	v_cvt_f32_f16_e32 v69, v69
	v_cvt_f32_f16_sdwa v125, v71 dst_sel:DWORD dst_unused:UNUSED_PAD src0_sel:WORD_1
	v_cvt_f32_f16_e32 v126, v70
	v_mfma_f32_16x16x16_f16 v[66:69], v[72:73], v[186:187], v[66:69]
	ds_read_u16 v72, v200 offset:288
	ds_read_u16 v73, v200 offset:816
	ds_read_u16 v76, v200 offset:1344
	ds_read_u16 v77, v201 offset:288
	v_cvt_f32_f16_sdwa v127, v70 dst_sel:DWORD dst_unused:UNUSED_PAD src0_sel:WORD_1
	v_cvt_pk_f16_f32 v64, v64, v65
	s_waitcnt lgkmcnt(2)
	v_perm_b32 v70, v73, v72, s73
	v_cvt_pk_f16_f32 v67, v66, v67
	s_waitcnt lgkmcnt(0)
	v_perm_b32 v71, v77, v76, s73
	ds_read_u16 v76, v200 offset:17184
	ds_read_u16 v80, v200 offset:17712
	ds_read_u16 v77, v200 offset:18240
	ds_read_u16 v81, v201 offset:17184
	v_mfma_f32_16x16x16_f16 v[70:73], v[70:71], v[188:189], v[124:127]
	s_waitcnt lgkmcnt(0)
	v_perm_b32 v77, v81, v77, s73
	v_perm_b32 v76, v80, v76, s73
	v_cvt_f32_f16_e32 v124, v75
	s_nop 3
	v_cvt_f16_f32_e32 v70, v70
	v_cvt_f16_f32_e32 v71, v71
	v_cvt_f16_f32_e32 v72, v72
	v_cvt_f16_f32_e32 v73, v73
	v_cvt_f32_f16_e32 v70, v70
	v_cvt_f32_f16_e32 v71, v71
	v_cvt_f32_f16_e32 v72, v72
	v_cvt_f32_f16_e32 v73, v73
	v_cvt_f32_f16_sdwa v125, v75 dst_sel:DWORD dst_unused:UNUSED_PAD src0_sel:WORD_1
	v_cvt_f32_f16_e32 v126, v74
	v_mfma_f32_16x16x16_f16 v[70:73], v[76:77], v[186:187], v[70:73]
	ds_read_u16 v76, v200 offset:320
	ds_read_u16 v77, v200 offset:848
	ds_read_u16 v80, v200 offset:1376
	ds_read_u16 v81, v201 offset:320
	v_cvt_f32_f16_sdwa v127, v74 dst_sel:DWORD dst_unused:UNUSED_PAD src0_sel:WORD_1
	v_cvt_pk_f16_f32 v66, v68, v69
	s_waitcnt lgkmcnt(2)
	v_perm_b32 v74, v77, v76, s73
	v_cvt_pk_f16_f32 v71, v70, v71
	s_waitcnt lgkmcnt(0)
	;; [unrolled: 32-line block ×5, first 2 shown]
	v_perm_b32 v87, v93, v92, s73
	v_cvt_pk_f16_f32 v82, v84, v85
	v_cvt_pk_f16_f32 v68, v62, v63
	v_mfma_f32_16x16x16_f16 v[86:89], v[86:87], v[188:189], v[124:127]
	ds_read_u16 v92, v200 offset:17312
	ds_read_u16 v98, v200 offset:17840
	;; [unrolled: 1-line block ×4, first 2 shown]
	v_cvt_f32_f16_sdwa v125, v91 dst_sel:DWORD dst_unused:UNUSED_PAD src0_sel:WORD_1
	v_cvt_f32_f16_e32 v126, v90
	s_nop 1
	v_cvt_f16_f32_e32 v86, v86
	v_cvt_f16_f32_e32 v87, v87
	;; [unrolled: 1-line block ×4, first 2 shown]
	s_waitcnt lgkmcnt(0)
	v_perm_b32 v93, v124, v93, s73
	v_perm_b32 v92, v98, v92, s73
	v_cvt_f32_f16_e32 v86, v86
	v_cvt_f32_f16_e32 v87, v87
	;; [unrolled: 1-line block ×5, first 2 shown]
	v_cvt_f32_f16_sdwa v127, v90 dst_sel:DWORD dst_unused:UNUSED_PAD src0_sel:WORD_1
	v_mfma_f32_16x16x16_f16 v[86:89], v[92:93], v[186:187], v[86:89]
	ds_read_u16 v92, v200 offset:448
	ds_read_u16 v93, v200 offset:976
	;; [unrolled: 1-line block ×4, first 2 shown]
	v_cvt_pk_f16_f32 v65, v58, v59
	s_waitcnt lgkmcnt(2)
	v_perm_b32 v90, v93, v92, s73
	s_nop 0
	v_cvt_pk_f16_f32 v87, v86, v87
	s_waitcnt lgkmcnt(0)
	v_perm_b32 v91, v128, v98, s73
	v_cvt_pk_f16_f32 v86, v88, v89
	s_nop 0
	v_mfma_f32_16x16x16_f16 v[90:93], v[90:91], v[188:189], v[124:127]
	ds_read_u16 v98, v200 offset:17344
	s_nop 1
	ds_read_u16 v124, v200 offset:17872
	ds_read_u16 v125, v200 offset:18400
	;; [unrolled: 1-line block ×3, first 2 shown]
	v_cvt_f32_f16_sdwa v127, v225 dst_sel:DWORD dst_unused:UNUSED_PAD src0_sel:WORD_1
	s_nop 0
	v_cvt_f16_f32_e32 v90, v90
	v_cvt_f16_f32_e32 v91, v91
	;; [unrolled: 1-line block ×4, first 2 shown]
	s_waitcnt lgkmcnt(2)
	v_perm_b32 v124, v124, v98, s73
	ds_read_u16 v98, v200 offset:480
	ds_read_u16 v128, v200 offset:1008
	;; [unrolled: 1-line block ×4, first 2 shown]
	s_waitcnt lgkmcnt(4)
	v_perm_b32 v125, v126, v125, s73
	v_cvt_f32_f16_e32 v90, v90
	v_cvt_f32_f16_e32 v91, v91
	;; [unrolled: 1-line block ×4, first 2 shown]
	s_waitcnt lgkmcnt(0)
	v_perm_b32 v219, v219, v218, s73
	v_perm_b32 v218, v128, v98, s73
	v_mfma_f32_16x16x16_f16 v[90:93], v[124:125], v[186:187], v[90:93]
	v_cvt_f32_f16_e32 v124, v226
	v_cvt_f32_f16_sdwa v125, v226 dst_sel:DWORD dst_unused:UNUSED_PAD src0_sel:WORD_1
	v_cvt_f32_f16_e32 v126, v225
	s_nop 1
	v_mfma_f32_16x16x16_f16 v[124:127], v[218:219], v[188:189], v[124:127]
	ds_read_u16 v98, v200 offset:17376
	ds_read_u16 v188, v200 offset:17904
	;; [unrolled: 1-line block ×4, first 2 shown]
	v_cvt_pk_f16_f32 v91, v90, v91
	v_cvt_pk_f16_f32 v90, v92, v93
	s_nop 1
	v_cvt_f16_f32_e32 v189, v124
	v_cvt_f16_f32_e32 v224, v125
	;; [unrolled: 1-line block ×4, first 2 shown]
	v_cvt_f32_f16_e32 v124, v189
	s_waitcnt lgkmcnt(0)
	v_perm_b32 v189, v218, v128, s73
	v_perm_b32 v188, v188, v98, s73
	v_cvt_f32_f16_e32 v125, v224
	v_cvt_f32_f16_e32 v126, v225
	;; [unrolled: 1-line block ×3, first 2 shown]
	s_barrier
	s_nop 0
	v_mfma_f32_16x16x16_f16 v[124:127], v[188:189], v[186:187], v[124:127]
	s_nop 7
	v_cvt_pk_f16_f32 v186, v124, v125
	v_cvt_pk_f16_f32 v187, v126, v127
	s_cbranch_scc0 .LBB31_54
; %bb.51:                               ;   in Loop: Header=BB31_50 Depth=2
	v_mov_b32_e32 v36, v130
	v_mov_b32_e32 v37, v132
	s_ashr_i32 s11, s10, 31
	s_and_saveexec_b64 s[12:13], s[0:1]
	s_cbranch_execnz .LBB31_49
	s_branch .LBB31_50
.LBB31_52:                              ;   in Loop: Header=BB31_12 Depth=1
	s_cbranch_execz .LBB31_11
	s_branch .LBB31_225
.LBB31_53:                              ;   in Loop: Header=BB31_12 Depth=1
	v_mov_b32_e32 v132, 0xfeffffff
	v_mov_b32_e32 v130, 0
	;; [unrolled: 1-line block ×34, first 2 shown]
.LBB31_54:                              ;   in Loop: Header=BB31_12 Depth=1
	s_lshl_b32 s86, s14, 6
	s_ashr_i32 s87, s86, 31
	s_and_saveexec_b64 s[10:11], s[0:1]
	s_cbranch_execz .LBB31_56
; %bb.55:                               ;   in Loop: Header=BB31_12 Depth=1
	v_or_b32_e32 v40, v143, v196
	v_mul_hi_u32 v41, s34, v40
	v_add_u32_e32 v41, v40, v41
	v_lshrrev_b32_e32 v41, s35, v41
	v_mul_lo_u32 v41, v41, s28
	s_lshl_b64 s[12:13], s[86:87], 1
	v_sub_u32_e32 v40, v40, v41
	v_lshl_add_u64 v[36:37], v[170:171], 0, s[12:13]
	v_mad_i64_i32 v[40:41], s[12:13], v40, s58, 0
	v_lshl_add_u64 v[36:37], v[40:41], 1, v[36:37]
	v_lshlrev_b32_e32 v98, 1, v100
	v_lshl_add_u64 v[36:37], v[36:37], 0, v[98:99]
	global_load_dword v36, v[36:37], off
	s_waitcnt vmcnt(0)
	ds_write_b32 v206, v36 offset:33792
.LBB31_56:                              ;   in Loop: Header=BB31_12 Depth=1
	s_or_b64 exec, exec, s[10:11]
	s_mul_hi_i32 s11, s86, s56
	s_mul_i32 s10, s86, s56
	s_lshl_b64 s[10:11], s[10:11], 2
	v_lshl_add_u64 v[36:37], v[168:169], 0, s[10:11]
	v_lshl_add_u64 v[40:41], v[102:103], 2, v[36:37]
	v_lshlrev_b32_e32 v98, 2, v96
	v_lshl_add_u64 v[40:41], v[40:41], 0, v[98:99]
	v_lshl_add_u64 v[44:45], v[104:105], 2, v[36:37]
	v_lshl_add_u64 v[48:49], v[106:107], 2, v[36:37]
	v_lshl_add_u64 v[36:37], v[108:109], 2, v[36:37]
	v_lshl_add_u64 v[44:45], v[44:45], 0, v[98:99]
	v_lshl_add_u64 v[48:49], v[48:49], 0, v[98:99]
	v_lshl_add_u64 v[36:37], v[36:37], 0, v[98:99]
	global_load_dwordx4 v[56:59], v[40:41], off
	global_load_dwordx4 v[124:127], v[44:45], off
	;; [unrolled: 1-line block ×4, first 2 shown]
	v_add_u32_e32 v36, 0x4000, v198
	v_add_u32_e32 v37, 0x8400, v199
	s_waitcnt vmcnt(3)
	ds_write_b128 v197, v[56:59]
	s_waitcnt vmcnt(2)
	ds_write_b128 v236, v[124:127]
	;; [unrolled: 2-line block ×4, first 2 shown]
	s_waitcnt lgkmcnt(0)
	s_barrier
	ds_read2_b64 v[56:59], v198 offset1:4
	ds_read2_b64 v[218:221], v36 offset0:64 offset1:68
	s_waitcnt lgkmcnt(1)
	v_mfma_f32_16x16x16_f16 v[124:127], v[56:57], v[30:31], 0
	s_waitcnt lgkmcnt(0)
	v_mfma_f32_16x16x16_f16 v[222:225], v[218:219], v[30:31], 0
	v_mfma_f32_16x16x16_f16 v[56:59], v[58:59], v[32:33], v[124:127]
	;; [unrolled: 1-line block ×3, first 2 shown]
	s_nop 3
	ds_read2_b64 v[124:127], v198 offset0:8 offset1:12
	ds_read2_b64 v[218:221], v36 offset0:72 offset1:76
	s_waitcnt lgkmcnt(1)
	v_mfma_f32_16x16x16_f16 v[56:59], v[124:125], v[26:27], v[56:59]
	s_waitcnt lgkmcnt(0)
	v_mfma_f32_16x16x16_f16 v[30:33], v[218:219], v[26:27], v[30:33]
	v_mfma_f32_16x16x16_f16 v[56:59], v[126:127], v[28:29], v[56:59]
	ds_read2_b64 v[124:127], v36 offset0:80 offset1:84
	v_mfma_f32_16x16x16_f16 v[26:29], v[220:221], v[28:29], v[30:33]
	s_nop 4
	ds_read2_b64 v[30:33], v198 offset0:16 offset1:20
	s_waitcnt lgkmcnt(0)
	v_mfma_f32_16x16x16_f16 v[56:59], v[30:31], v[22:23], v[56:59]
	v_mfma_f32_16x16x16_f16 v[26:29], v[124:125], v[22:23], v[26:29]
	v_mfma_f32_16x16x16_f16 v[30:33], v[32:33], v[24:25], v[56:59]
	v_mfma_f32_16x16x16_f16 v[22:25], v[126:127], v[24:25], v[26:29]
	s_nop 4
	ds_read2_b64 v[56:59], v36 offset0:88 offset1:92
	ds_read2_b64 v[26:29], v198 offset0:24 offset1:28
	s_waitcnt lgkmcnt(0)
	v_mfma_f32_16x16x16_f16 v[30:33], v[26:27], v[18:19], v[30:33]
	v_mfma_f32_16x16x16_f16 v[22:25], v[56:57], v[18:19], v[22:25]
	v_mfma_f32_16x16x16_f16 v[26:29], v[28:29], v[20:21], v[30:33]
	v_mfma_f32_16x16x16_f16 v[18:21], v[58:59], v[20:21], v[22:25]
	s_nop 4
	ds_read2_b64 v[30:33], v36 offset0:96 offset1:100
	;; [unrolled: 8-line block ×3, first 2 shown]
	ds_read2_b64 v[18:21], v198 offset0:40 offset1:44
	s_waitcnt lgkmcnt(0)
	v_mfma_f32_16x16x16_f16 v[22:25], v[18:19], v[10:11], v[22:25]
	v_mfma_f32_16x16x16_f16 v[14:17], v[26:27], v[10:11], v[14:17]
	v_and_b32_e32 v26, 64, v234
	v_mfma_f32_16x16x16_f16 v[18:21], v[20:21], v[12:13], v[22:25]
	s_nop 4
	ds_read2_b64 v[22:25], v198 offset0:48 offset1:52
	v_mfma_f32_16x16x16_f16 v[10:13], v[28:29], v[12:13], v[14:17]
	s_nop 2
	ds_read2_b64 v[14:17], v36 offset0:112 offset1:116
	s_waitcnt lgkmcnt(1)
	v_mfma_f32_16x16x16_f16 v[18:21], v[22:23], v[6:7], v[18:21]
	v_add_u32_e32 v23, 64, v26
	ds_read2_b64 v[26:29], v198 offset0:56 offset1:60
	ds_read2_b64 v[30:33], v36 offset0:120 offset1:124
	s_waitcnt lgkmcnt(0)
	v_mfma_f32_16x16x16_f16 v[10:13], v[14:15], v[6:7], v[10:13]
	s_barrier
	ds_read2_b32 v[14:15], v37 offset1:1
	v_mfma_f32_16x16x16_f16 v[18:21], v[24:25], v[8:9], v[18:21]
	v_xor_b32_e32 v22, 32, v234
	v_cmp_lt_i32_e32 vcc, v22, v23
	v_mfma_f32_16x16x16_f16 v[6:9], v[16:17], v[8:9], v[10:13]
	ds_read_b32 v16, v207 offset:33792
	ds_read_b32 v17, v208 offset:33792
	v_cndmask_b32_e32 v22, v234, v22, vcc
	v_mfma_f32_16x16x16_f16 v[10:13], v[26:27], v[2:3], v[18:21]
	v_lshlrev_b32_e32 v59, 2, v22
	v_mfma_f32_16x16x16_f16 v[6:9], v[30:31], v[2:3], v[6:9]
	s_waitcnt lgkmcnt(2)
	v_cvt_f32_f16_e32 v18, v14
	v_cvt_f32_f16_sdwa v14, v14 dst_sel:DWORD dst_unused:UNUSED_PAD src0_sel:WORD_1
	v_cvt_f32_f16_e32 v19, v15
	v_mfma_f32_16x16x16_f16 v[10:13], v[28:29], v[4:5], v[10:13]
	v_cvt_f32_f16_sdwa v15, v15 dst_sel:DWORD dst_unused:UNUSED_PAD src0_sel:WORD_1
	s_waitcnt lgkmcnt(1)
	v_cvt_f32_f16_e32 v20, v16
	v_cvt_f32_f16_sdwa v16, v16 dst_sel:DWORD dst_unused:UNUSED_PAD src0_sel:WORD_1
	s_waitcnt lgkmcnt(0)
	v_cvt_f32_f16_e32 v21, v17
	v_cvt_f32_f16_sdwa v17, v17 dst_sel:DWORD dst_unused:UNUSED_PAD src0_sel:WORD_1
	v_mfma_f32_16x16x16_f16 v[2:5], v[32:33], v[4:5], v[6:9]
	s_nop 2
	v_add_f32_e32 v6, v10, v18
	v_add_f32_e32 v7, v11, v14
	;; [unrolled: 1-line block ×4, first 2 shown]
	s_nop 0
	v_add_f32_e32 v10, v2, v20
	v_add_f32_e32 v11, v3, v16
	v_add_f32_e32 v3, v4, v21
	v_add_f32_e32 v2, v5, v17
	v_add_f32_e32 v4, 0x40051340, v6
	v_add_f32_e32 v5, 0x40051340, v7
	v_add_f32_e32 v12, 0x40051340, v8
	v_add_f32_e32 v13, 0x40051340, v9
	v_max3_f32 v4, v132, v4, v5
	v_add_f32_e32 v14, 0x40051340, v10
	v_add_f32_e32 v15, 0x40051340, v11
	v_max3_f32 v4, v4, v12, v13
	v_add_f32_e32 v16, 0x40051340, v3
	v_add_f32_e32 v17, 0x40051340, v2
	v_max3_f32 v4, v4, v14, v15
	v_max3_f32 v4, v4, v16, v17
	ds_bpermute_b32 v5, v59, v4
	v_xor_b32_e32 v12, 16, v234
	v_cmp_lt_i32_e32 vcc, v12, v23
	s_waitcnt lgkmcnt(0)
	v_max_f32_e32 v5, v5, v5
	v_cndmask_b32_e32 v12, v234, v12, vcc
	v_lshlrev_b32_e32 v62, 2, v12
	v_max_f32_e32 v4, v4, v5
	ds_bpermute_b32 v5, v62, v4
	s_waitcnt lgkmcnt(0)
	v_max_f32_e32 v5, v5, v5
	v_max_f32_e32 v58, v4, v5
	v_sub_f32_e32 v4, v6, v58
	v_sub_f32_e32 v5, v7, v58
	;; [unrolled: 1-line block ×4, first 2 shown]
	v_mul_f32_e32 v8, 0x3fb8aa3b, v4
	v_mul_f32_e32 v9, 0x3fb8aa3b, v5
	v_sub_f32_e32 v16, v10, v58
	v_mul_f32_e32 v10, 0x3fb8aa3b, v6
	v_fma_f32 v14, v4, s27, -v8
	v_rndne_f32_e32 v15, v8
	v_fma_f32 v17, v5, s27, -v9
	v_rndne_f32_e32 v18, v9
	v_cmp_ngt_f32_e64 s[14:15], s59, v4
	v_cmp_nlt_f32_e32 vcc, s81, v4
	v_cmp_ngt_f32_e64 s[18:19], s59, v5
	v_cmp_nlt_f32_e64 s[10:11], s81, v5
	v_mul_f32_e32 v12, 0x3fb8aa3b, v7
	v_fma_f32 v19, v6, s27, -v10
	v_rndne_f32_e32 v20, v10
	v_fmac_f32_e32 v14, 0x32a5705f, v4
	v_sub_f32_e32 v4, v8, v15
	v_fmac_f32_e32 v17, 0x32a5705f, v5
	v_sub_f32_e32 v5, v9, v18
	v_cmp_ngt_f32_e64 s[20:21], s59, v6
	v_cmp_nlt_f32_e64 s[12:13], s81, v6
	v_fma_f32 v21, v7, s27, -v12
	v_rndne_f32_e32 v22, v12
	v_fmac_f32_e32 v19, 0x32a5705f, v6
	v_sub_f32_e32 v6, v10, v20
	v_add_f32_e32 v4, v4, v14
	v_add_f32_e32 v5, v5, v17
	v_cmp_ngt_f32_e64 s[22:23], s59, v7
	v_cmp_nlt_f32_e64 s[16:17], s81, v7
	v_cvt_i32_f32_e32 v8, v15
	v_cvt_i32_f32_e32 v9, v18
	v_fmac_f32_e32 v21, 0x32a5705f, v7
	v_sub_f32_e32 v7, v12, v22
	v_add_f32_e32 v6, v6, v19
	v_exp_f32_e32 v4, v4
	v_exp_f32_e32 v5, v5
	v_cvt_i32_f32_e32 v10, v20
	v_add_f32_e32 v7, v7, v21
	v_exp_f32_e32 v6, v6
	v_cvt_i32_f32_e32 v12, v22
	v_exp_f32_e32 v7, v7
	v_ldexp_f32 v4, v4, v8
	v_ldexp_f32 v5, v5, v9
	v_mul_f32_e32 v13, 0x3fb8aa3b, v16
	v_ldexp_f32 v6, v6, v10
	v_cndmask_b32_e64 v4, 0, v4, s[14:15]
	v_cndmask_b32_e64 v5, 0, v5, s[18:19]
	v_fma_f32 v23, v16, s27, -v13
	v_rndne_f32_e32 v24, v13
	v_ldexp_f32 v7, v7, v12
	v_cndmask_b32_e64 v6, 0, v6, s[20:21]
	v_cndmask_b32_e32 v17, v227, v4, vcc
	v_cndmask_b32_e64 v20, v227, v5, s[10:11]
	v_fmac_f32_e32 v23, 0x32a5705f, v16
	v_sub_f32_e32 v13, v13, v24
	v_cndmask_b32_e64 v7, 0, v7, s[22:23]
	v_cndmask_b32_e64 v21, v227, v6, s[12:13]
	v_add_f32_e32 v4, v17, v20
	v_cvt_i32_f32_e32 v15, v24
	v_add_f32_e32 v13, v13, v23
	v_cndmask_b32_e64 v24, v227, v7, s[16:17]
	v_add_f32_e32 v4, v21, v4
	v_sub_f32_e32 v22, v11, v58
	v_exp_f32_e32 v13, v13
	v_add_f32_e32 v18, v24, v4
	v_mul_f32_e32 v4, 0x3fb8aa3b, v22
	v_fma_f32 v5, v22, s27, -v4
	v_rndne_f32_e32 v23, v4
	v_fmac_f32_e32 v5, 0x32a5705f, v22
	v_sub_f32_e32 v4, v4, v23
	s_mul_hi_i32 s11, s86, s30
	s_mul_i32 s10, s86, s30
	v_add_f32_e32 v4, v4, v5
	s_lshl_b64 s[10:11], s[10:11], 2
	v_ldexp_f32 v8, v13, v15
	v_cmp_ngt_f32_e32 vcc, s59, v16
	v_exp_f32_e32 v25, v4
	v_lshl_add_u64 v[4:5], v[166:167], 0, s[10:11]
	v_cndmask_b32_e32 v19, 0, v8, vcc
	v_lshl_add_u64 v[6:7], v[110:111], 2, v[4:5]
	v_lshl_add_u64 v[8:9], v[112:113], 2, v[4:5]
	;; [unrolled: 1-line block ×8, first 2 shown]
	global_load_dwordx4 v[4:7], v[6:7], off
	s_nop 0
	global_load_dwordx4 v[8:11], v[8:9], off
	s_nop 0
	global_load_dwordx4 v[124:127], v[12:13], off
	global_load_dwordx4 v[218:221], v[14:15], off
	v_cmp_nlt_f32_e32 vcc, s81, v16
	v_sub_f32_e32 v3, v3, v58
	v_mul_f32_e32 v15, 0x3fb8aa3b, v3
	v_cndmask_b32_e32 v13, v227, v19, vcc
	v_add_f32_e32 v14, v13, v18
	v_fma_f32 v16, v3, s27, -v15
	v_rndne_f32_e32 v18, v15
	v_fmac_f32_e32 v16, 0x32a5705f, v3
	v_sub_f32_e32 v15, v15, v18
	v_add_f32_e32 v15, v15, v16
	v_exp_f32_e32 v15, v15
	v_cvt_i32_f32_e32 v16, v18
	v_cvt_i32_f32_e32 v12, v23
	v_sub_f32_e32 v2, v2, v58
	v_cmp_ngt_f32_e32 vcc, s59, v22
	v_ldexp_f32 v15, v15, v16
	v_mul_f32_e32 v16, 0x3fb8aa3b, v2
	v_fma_f32 v18, v2, s27, -v16
	v_rndne_f32_e32 v19, v16
	v_fmac_f32_e32 v18, 0x32a5705f, v2
	v_sub_f32_e32 v16, v16, v19
	v_ldexp_f32 v12, v25, v12
	v_add_f32_e32 v16, v16, v18
	v_cndmask_b32_e32 v12, 0, v12, vcc
	v_cmp_nlt_f32_e32 vcc, s81, v22
	v_exp_f32_e32 v16, v16
	v_cvt_i32_f32_e32 v18, v19
	v_cndmask_b32_e32 v12, v227, v12, vcc
	v_cmp_ngt_f32_e32 vcc, s59, v3
	v_add_f32_e32 v14, v12, v14
	s_waitcnt vmcnt(3)
	ds_write_b128 v197, v[4:7]
	s_waitcnt vmcnt(2)
	ds_write_b128 v236, v[8:11]
	;; [unrolled: 2-line block ×4, first 2 shown]
	v_cndmask_b32_e32 v15, 0, v15, vcc
	v_cmp_nlt_f32_e32 vcc, s81, v3
	s_waitcnt lgkmcnt(0)
	s_barrier
	v_cndmask_b32_e32 v25, v227, v15, vcc
	v_sub_f32_e32 v15, v132, v58
	v_add_f32_e32 v3, v25, v14
	v_ldexp_f32 v14, v16, v18
	v_mul_f32_e32 v16, 0x3fb8aa3b, v15
	v_fma_f32 v18, v15, s27, -v16
	v_rndne_f32_e32 v19, v16
	v_fmac_f32_e32 v18, 0x32a5705f, v15
	v_sub_f32_e32 v16, v16, v19
	v_add_f32_e32 v16, v16, v18
	v_exp_f32_e32 v16, v16
	v_cvt_i32_f32_e32 v18, v19
	v_cmp_ngt_f32_e32 vcc, s59, v2
	v_cmp_ngt_f32_e64 s[10:11], s59, v15
	s_nop 0
	v_cndmask_b32_e32 v14, 0, v14, vcc
	v_cmp_nlt_f32_e32 vcc, s81, v2
	v_ldexp_f32 v2, v16, v18
	v_cndmask_b32_e64 v2, 0, v2, s[10:11]
	v_cmp_nlt_f32_e64 s[10:11], s81, v15
	ds_read_u16 v5, v200 offset:528
	ds_read_u16 v6, v200 offset:1056
	ds_read_u16 v7, v201
	ds_read_u16 v8, v200
	v_cndmask_b32_e64 v2, v227, v2, s[10:11]
	v_cmp_le_f32_e64 s[10:11], s70, v15
	v_cndmask_b32_e32 v28, v227, v14, vcc
	v_add_f32_e32 v63, v28, v3
	v_cndmask_b32_e64 v2, 0, v2, s[10:11]
	v_cvt_f16_f32_e32 v15, v2
	s_waitcnt lgkmcnt(1)
	v_perm_b32 v7, v7, v6, s73
	s_waitcnt lgkmcnt(0)
	v_perm_b32 v6, v5, v8, s73
	v_fmac_f32_e32 v63, v130, v2
	v_mul_u32_u24_e32 v14, 0x10001, v15
	v_pk_mul_f16 v3, v35, v14
	v_pk_mul_f16 v29, v34, v14
	v_cvt_f32_f16_e32 v2, v3
	v_cvt_f32_f16_sdwa v3, v3 dst_sel:DWORD dst_unused:UNUSED_PAD src0_sel:WORD_1
	v_cvt_f32_f16_e32 v4, v29
	v_cvt_f32_f16_sdwa v5, v29 dst_sel:DWORD dst_unused:UNUSED_PAD src0_sel:WORD_1
	v_pk_mul_f16 v26, v60, v14
	v_cvt_pk_f16_f32 v61, v21, v24
	v_cvt_pk_f16_f32 v60, v17, v20
	ds_read_u16 v9, v201 offset:32
	v_cvt_pk_f16_f32 v56, v13, v12
	v_mfma_f32_16x16x16_f16 v[2:5], v[6:7], v[60:61], v[2:5]
	ds_read_u16 v6, v200 offset:16896
	ds_read_u16 v7, v200 offset:17952
	;; [unrolled: 1-line block ×4, first 2 shown]
	v_pk_mul_f16 v32, v39, v14
	v_pk_mul_f16 v33, v38, v14
	s_nop 1
	v_cvt_f16_f32_e32 v2, v2
	v_cvt_f16_f32_e32 v3, v3
	;; [unrolled: 1-line block ×4, first 2 shown]
	s_waitcnt lgkmcnt(0)
	v_perm_b32 v6, v10, v6, s73
	ds_read_u16 v10, v200 offset:32
	ds_read_u16 v11, v200 offset:1088
	ds_read_u16 v12, v200 offset:560
	v_perm_b32 v7, v8, v7, s73
	v_cvt_f32_f16_e32 v2, v2
	v_cvt_f32_f16_e32 v3, v3
	;; [unrolled: 1-line block ×4, first 2 shown]
	v_cvt_pk_f16_f32 v57, v25, v28
	s_waitcnt lgkmcnt(1)
	v_perm_b32 v11, v9, v11, s73
	s_waitcnt lgkmcnt(0)
	v_perm_b32 v10, v12, v10, s73
	v_mfma_f32_16x16x16_f16 v[2:5], v[6:7], v[56:57], v[2:5]
	v_cvt_f32_f16_e32 v6, v32
	v_cvt_f32_f16_sdwa v7, v32 dst_sel:DWORD dst_unused:UNUSED_PAD src0_sel:WORD_1
	v_cvt_f32_f16_e32 v8, v33
	v_cvt_f32_f16_sdwa v9, v33 dst_sel:DWORD dst_unused:UNUSED_PAD src0_sel:WORD_1
	v_pk_mul_f16 v36, v43, v14
	v_pk_mul_f16 v37, v42, v14
	v_mfma_f32_16x16x16_f16 v[6:9], v[10:11], v[60:61], v[6:9]
	ds_read_u16 v10, v200 offset:16928
	ds_read_u16 v11, v200 offset:17984
	;; [unrolled: 1-line block ×4, first 2 shown]
	v_pk_mul_f16 v16, v47, v14
	v_pk_mul_f16 v15, v46, v14
	s_nop 1
	v_cvt_f16_f32_e32 v6, v6
	v_cvt_f16_f32_e32 v7, v7
	;; [unrolled: 1-line block ×4, first 2 shown]
	s_waitcnt lgkmcnt(0)
	v_perm_b32 v10, v13, v10, s73
	ds_read_u16 v13, v200 offset:64
	ds_read_u16 v17, v200 offset:1120
	;; [unrolled: 1-line block ×4, first 2 shown]
	v_perm_b32 v11, v12, v11, s73
	v_cvt_f32_f16_e32 v6, v6
	v_cvt_f32_f16_e32 v7, v7
	v_cvt_f32_f16_e32 v8, v8
	v_cvt_f32_f16_e32 v9, v9
	s_waitcnt lgkmcnt(1)
	v_perm_b32 v21, v20, v17, s73
	s_waitcnt lgkmcnt(0)
	v_perm_b32 v20, v24, v13, s73
	v_mfma_f32_16x16x16_f16 v[6:9], v[10:11], v[56:57], v[6:9]
	v_cvt_f32_f16_e32 v10, v36
	v_cvt_f32_f16_sdwa v11, v36 dst_sel:DWORD dst_unused:UNUSED_PAD src0_sel:WORD_1
	v_cvt_f32_f16_e32 v12, v37
	v_cvt_f32_f16_sdwa v13, v37 dst_sel:DWORD dst_unused:UNUSED_PAD src0_sel:WORD_1
	v_pk_mul_f16 v27, v65, v14
	v_pk_mul_f16 v30, v64, v14
	v_mfma_f32_16x16x16_f16 v[10:13], v[20:21], v[60:61], v[10:13]
	ds_read_u16 v17, v200 offset:16960
	ds_read_u16 v20, v200 offset:18016
	;; [unrolled: 1-line block ×4, first 2 shown]
	v_cvt_f32_f16_e32 v64, v16
	v_cvt_f32_f16_sdwa v65, v16 dst_sel:DWORD dst_unused:UNUSED_PAD src0_sel:WORD_1
	s_nop 1
	v_cvt_f16_f32_e32 v10, v10
	v_cvt_f16_f32_e32 v11, v11
	;; [unrolled: 1-line block ×4, first 2 shown]
	s_waitcnt lgkmcnt(1)
	v_perm_b32 v21, v21, v20, s73
	s_waitcnt lgkmcnt(0)
	v_perm_b32 v20, v24, v17, s73
	v_cvt_f32_f16_e32 v10, v10
	v_cvt_f32_f16_e32 v11, v11
	;; [unrolled: 1-line block ×4, first 2 shown]
	v_pk_mul_f16 v34, v67, v14
	v_pk_mul_f16 v35, v66, v14
	v_mfma_f32_16x16x16_f16 v[10:13], v[20:21], v[56:57], v[10:13]
	ds_read_u16 v20, v200 offset:96
	ds_read_u16 v17, v200 offset:1152
	;; [unrolled: 1-line block ×4, first 2 shown]
	v_cvt_f32_f16_e32 v66, v15
	v_cvt_f32_f16_sdwa v67, v15 dst_sel:DWORD dst_unused:UNUSED_PAD src0_sel:WORD_1
	v_pk_mul_f16 v19, v51, v14
	s_waitcnt lgkmcnt(1)
	v_perm_b32 v17, v21, v17, s73
	s_waitcnt lgkmcnt(0)
	v_perm_b32 v16, v24, v20, s73
	v_pk_mul_f16 v18, v50, v14
	v_pk_mul_f16 v23, v55, v14
	;; [unrolled: 1-line block ×18, first 2 shown]
	v_mfma_f32_16x16x16_f16 v[14:17], v[16:17], v[60:61], v[64:67]
	ds_read_u16 v20, v200 offset:16992
	ds_read_u16 v21, v200 offset:18048
	;; [unrolled: 1-line block ×4, first 2 shown]
	v_cvt_f32_f16_e32 v66, v19
	v_cvt_f32_f16_sdwa v67, v19 dst_sel:DWORD dst_unused:UNUSED_PAD src0_sel:WORD_1
	s_nop 1
	v_cvt_f16_f32_e32 v14, v14
	v_cvt_f16_f32_e32 v15, v15
	v_cvt_f16_f32_e32 v16, v16
	v_cvt_f16_f32_e32 v17, v17
	s_waitcnt lgkmcnt(1)
	v_perm_b32 v21, v24, v21, s73
	s_waitcnt lgkmcnt(0)
	v_perm_b32 v20, v25, v20, s73
	v_cvt_f32_f16_e32 v14, v14
	v_cvt_f32_f16_e32 v15, v15
	;; [unrolled: 1-line block ×4, first 2 shown]
	v_cvt_f16_f32_e32 v24, v4
	v_cvt_f32_f16_e32 v68, v18
	v_mfma_f32_16x16x16_f16 v[14:17], v[20:21], v[56:57], v[14:17]
	ds_read_u16 v4, v200 offset:128
	ds_read_u16 v20, v200 offset:1184
	;; [unrolled: 1-line block ×4, first 2 shown]
	v_cvt_f32_f16_sdwa v69, v18 dst_sel:DWORD dst_unused:UNUSED_PAD src0_sel:WORD_1
	v_cvt_f16_f32_e32 v5, v5
	v_cvt_f32_f16_e32 v70, v22
	s_waitcnt lgkmcnt(1)
	v_perm_b32 v21, v21, v20, s73
	s_waitcnt lgkmcnt(0)
	v_perm_b32 v20, v25, v4, s73
	v_perm_b32 v64, v5, v24, s73
	ds_read_u16 v24, v200 offset:17024
	ds_read_u16 v25, v200 offset:18080
	;; [unrolled: 1-line block ×4, first 2 shown]
	v_mfma_f32_16x16x16_f16 v[18:21], v[20:21], v[60:61], v[66:69]
	s_waitcnt lgkmcnt(1)
	v_perm_b32 v25, v28, v25, s73
	s_waitcnt lgkmcnt(0)
	v_perm_b32 v24, v29, v24, s73
	v_cvt_f32_f16_e32 v68, v23
	s_nop 2
	v_cvt_f16_f32_e32 v18, v18
	v_cvt_f16_f32_e32 v19, v19
	;; [unrolled: 1-line block ×4, first 2 shown]
	v_cvt_f32_f16_e32 v18, v18
	v_cvt_f32_f16_e32 v19, v19
	;; [unrolled: 1-line block ×4, first 2 shown]
	v_cvt_f32_f16_sdwa v69, v23 dst_sel:DWORD dst_unused:UNUSED_PAD src0_sel:WORD_1
	v_cvt_f32_f16_sdwa v71, v22 dst_sel:DWORD dst_unused:UNUSED_PAD src0_sel:WORD_1
	v_mfma_f32_16x16x16_f16 v[18:21], v[24:25], v[56:57], v[18:21]
	ds_read_u16 v24, v200 offset:160
	ds_read_u16 v25, v200 offset:1216
	;; [unrolled: 1-line block ×4, first 2 shown]
	v_cvt_f16_f32_e32 v8, v8
	v_cvt_f16_f32_e32 v9, v9
	v_cvt_f32_f16_e32 v74, v27
	s_waitcnt lgkmcnt(1)
	v_perm_b32 v25, v28, v25, s73
	s_waitcnt lgkmcnt(0)
	v_perm_b32 v24, v29, v24, s73
	ds_read_u16 v29, v200 offset:17056
	ds_read_u16 v32, v200 offset:18112
	;; [unrolled: 1-line block ×4, first 2 shown]
	v_mfma_f32_16x16x16_f16 v[22:25], v[24:25], v[60:61], v[68:71]
	v_perm_b32 v8, v9, v8, s73
	v_cvt_f16_f32_e32 v9, v12
	v_cvt_f16_f32_e32 v28, v13
	s_nop 4
	v_cvt_f16_f32_e32 v12, v22
	v_cvt_f16_f32_e32 v13, v23
	;; [unrolled: 1-line block ×4, first 2 shown]
	v_cvt_f32_f16_e32 v22, v12
	v_cvt_f32_f16_e32 v23, v13
	s_waitcnt lgkmcnt(1)
	v_perm_b32 v13, v33, v32, s73
	s_waitcnt lgkmcnt(0)
	v_perm_b32 v12, v36, v29, s73
	v_cvt_f32_f16_e32 v24, v24
	v_cvt_f32_f16_e32 v25, v25
	v_perm_b32 v9, v28, v9, s73
	v_cvt_f32_f16_sdwa v75, v27 dst_sel:DWORD dst_unused:UNUSED_PAD src0_sel:WORD_1
	v_mfma_f32_16x16x16_f16 v[22:25], v[12:13], v[56:57], v[22:25]
	ds_read_u16 v12, v200 offset:192
	ds_read_u16 v13, v200 offset:1248
	;; [unrolled: 1-line block ×4, first 2 shown]
	v_cvt_f32_f16_e32 v76, v26
	v_cvt_f32_f16_sdwa v77, v26 dst_sel:DWORD dst_unused:UNUSED_PAD src0_sel:WORD_1
	ds_read_u16 v32, v200 offset:17088
	ds_read_u16 v33, v200 offset:18144
	;; [unrolled: 1-line block ×4, first 2 shown]
	s_waitcnt lgkmcnt(5)
	v_perm_b32 v13, v28, v13, s73
	s_waitcnt lgkmcnt(4)
	v_perm_b32 v12, v29, v12, s73
	v_cvt_f16_f32_e32 v36, v17
	s_waitcnt lgkmcnt(1)
	v_perm_b32 v33, v37, v33, s73
	v_mfma_f32_16x16x16_f16 v[26:29], v[12:13], v[60:61], v[74:77]
	s_waitcnt lgkmcnt(0)
	v_perm_b32 v32, v40, v32, s73
	v_cvt_f16_f32_e32 v16, v16
	v_cvt_f32_f16_e32 v74, v31
	s_nop 3
	v_cvt_f16_f32_e32 v12, v26
	v_cvt_f16_f32_e32 v13, v27
	;; [unrolled: 1-line block ×4, first 2 shown]
	v_cvt_f32_f16_e32 v26, v12
	v_cvt_f32_f16_e32 v27, v13
	;; [unrolled: 1-line block ×4, first 2 shown]
	v_perm_b32 v12, v36, v16, s73
	v_cvt_f32_f16_sdwa v75, v31 dst_sel:DWORD dst_unused:UNUSED_PAD src0_sel:WORD_1
	v_mfma_f32_16x16x16_f16 v[26:29], v[32:33], v[56:57], v[26:29]
	ds_read_u16 v13, v200 offset:224
	ds_read_u16 v16, v200 offset:1280
	;; [unrolled: 1-line block ×4, first 2 shown]
	v_cvt_f32_f16_e32 v76, v30
	v_cvt_f32_f16_sdwa v77, v30 dst_sel:DWORD dst_unused:UNUSED_PAD src0_sel:WORD_1
	v_cvt_f32_f16_e32 v78, v34
	s_waitcnt lgkmcnt(1)
	v_perm_b32 v33, v32, v16, s73
	s_waitcnt lgkmcnt(0)
	v_perm_b32 v32, v36, v13, s73
	v_cvt_f16_f32_e32 v13, v20
	v_cvt_f16_f32_e32 v16, v21
	v_mfma_f32_16x16x16_f16 v[30:33], v[32:33], v[60:61], v[74:77]
	v_cvt_f32_f16_sdwa v79, v34 dst_sel:DWORD dst_unused:UNUSED_PAD src0_sel:WORD_1
	s_nop 1
	v_perm_b32 v74, v16, v13, s73
	v_cvt_f16_f32_e32 v13, v24
	s_nop 2
	v_cvt_f16_f32_e32 v20, v33
	ds_read_u16 v21, v200 offset:17120
	ds_read_u16 v33, v200 offset:18176
	;; [unrolled: 1-line block ×4, first 2 shown]
	v_cvt_f16_f32_e32 v16, v25
	v_cvt_f16_f32_e32 v30, v30
	;; [unrolled: 1-line block ×3, first 2 shown]
	s_waitcnt lgkmcnt(1)
	v_perm_b32 v41, v36, v33, s73
	s_waitcnt lgkmcnt(0)
	v_perm_b32 v40, v37, v21, s73
	v_cvt_f32_f16_e32 v33, v20
	ds_read_u16 v20, v200 offset:256
	ds_read_u16 v21, v200 offset:1312
	;; [unrolled: 1-line block ×4, first 2 shown]
	v_cvt_f16_f32_e32 v32, v32
	v_cvt_f32_f16_e32 v80, v35
	v_cvt_f32_f16_sdwa v81, v35 dst_sel:DWORD dst_unused:UNUSED_PAD src0_sel:WORD_1
	s_waitcnt lgkmcnt(1)
	v_perm_b32 v21, v24, v21, s73
	s_waitcnt lgkmcnt(0)
	v_perm_b32 v20, v25, v20, s73
	v_cvt_f32_f16_e32 v30, v30
	v_cvt_f32_f16_e32 v31, v31
	;; [unrolled: 1-line block ×3, first 2 shown]
	v_mfma_f32_16x16x16_f16 v[34:37], v[20:21], v[60:61], v[78:81]
	v_perm_b32 v75, v16, v13, s73
	v_cvt_f32_f16_e32 v82, v39
	v_cvt_f32_f16_sdwa v83, v39 dst_sel:DWORD dst_unused:UNUSED_PAD src0_sel:WORD_1
	v_mfma_f32_16x16x16_f16 v[30:33], v[40:41], v[56:57], v[30:33]
	s_nop 3
	v_cvt_f16_f32_e32 v24, v37
	ds_read_u16 v25, v200 offset:17152
	ds_read_u16 v21, v200 offset:18208
	;; [unrolled: 1-line block ×4, first 2 shown]
	v_cvt_f16_f32_e32 v20, v36
	v_cvt_f16_f32_e32 v13, v34
	;; [unrolled: 1-line block ×3, first 2 shown]
	s_waitcnt lgkmcnt(1)
	v_perm_b32 v21, v37, v21, s73
	v_cvt_f32_f16_e32 v36, v20
	s_waitcnt lgkmcnt(0)
	v_perm_b32 v20, v40, v25, s73
	v_cvt_f32_f16_e32 v34, v13
	v_cvt_f32_f16_e32 v35, v16
	;; [unrolled: 1-line block ×4, first 2 shown]
	v_cvt_f32_f16_sdwa v85, v38 dst_sel:DWORD dst_unused:UNUSED_PAD src0_sel:WORD_1
	v_mfma_f32_16x16x16_f16 v[34:37], v[20:21], v[56:57], v[34:37]
	ds_read_u16 v20, v200 offset:288
	ds_read_u16 v21, v200 offset:1344
	ds_read_u16 v24, v201 offset:288
	ds_read_u16 v25, v200 offset:816
	v_cvt_f16_f32_e32 v13, v28
	v_cvt_f16_f32_e32 v16, v29
	v_cvt_f32_f16_e32 v86, v47
	s_waitcnt lgkmcnt(1)
	v_perm_b32 v21, v24, v21, s73
	s_waitcnt lgkmcnt(0)
	v_perm_b32 v20, v25, v20, s73
	v_perm_b32 v28, v16, v13, s73
	v_cvt_f32_f16_sdwa v87, v47 dst_sel:DWORD dst_unused:UNUSED_PAD src0_sel:WORD_1
	v_mfma_f32_16x16x16_f16 v[38:41], v[20:21], v[60:61], v[82:85]
	v_cvt_f32_f16_e32 v88, v52
	s_nop 1
	v_cvt_f32_f16_e32 v82, v43
	v_cvt_f32_f16_sdwa v83, v43 dst_sel:DWORD dst_unused:UNUSED_PAD src0_sel:WORD_1
	s_nop 2
	v_cvt_f16_f32_e32 v24, v41
	ds_read_u16 v25, v200 offset:17184
	ds_read_u16 v21, v200 offset:18240
	ds_read_u16 v29, v201 offset:17184
	ds_read_u16 v41, v200 offset:17712
	v_cvt_f16_f32_e32 v20, v40
	v_cvt_f16_f32_e32 v13, v38
	;; [unrolled: 1-line block ×3, first 2 shown]
	s_waitcnt lgkmcnt(1)
	v_perm_b32 v21, v29, v21, s73
	v_cvt_f32_f16_e32 v40, v20
	s_waitcnt lgkmcnt(0)
	v_perm_b32 v20, v41, v25, s73
	v_cvt_f32_f16_e32 v38, v13
	v_cvt_f32_f16_e32 v39, v16
	;; [unrolled: 1-line block ×4, first 2 shown]
	v_cvt_f32_f16_sdwa v85, v42 dst_sel:DWORD dst_unused:UNUSED_PAD src0_sel:WORD_1
	v_mfma_f32_16x16x16_f16 v[38:41], v[20:21], v[56:57], v[38:41]
	ds_read_u16 v20, v200 offset:320
	ds_read_u16 v21, v200 offset:1376
	;; [unrolled: 1-line block ×4, first 2 shown]
	v_cvt_f16_f32_e32 v13, v32
	v_cvt_f16_f32_e32 v16, v33
	v_cvt_f32_f16_sdwa v89, v52 dst_sel:DWORD dst_unused:UNUSED_PAD src0_sel:WORD_1
	s_waitcnt lgkmcnt(1)
	v_perm_b32 v21, v24, v21, s73
	s_waitcnt lgkmcnt(0)
	v_perm_b32 v20, v25, v20, s73
	v_perm_b32 v29, v16, v13, s73
	v_cvt_f16_f32_e32 v13, v36
	v_mfma_f32_16x16x16_f16 v[42:45], v[20:21], v[60:61], v[82:85]
	v_cvt_f16_f32_e32 v16, v37
	ds_read_u16 v32, v200 offset:17216
	ds_read_u16 v33, v200 offset:18272
	;; [unrolled: 1-line block ×4, first 2 shown]
	v_cvt_f32_f16_e32 v84, v46
	s_nop 1
	v_cvt_f16_f32_e32 v20, v42
	v_cvt_f16_f32_e32 v21, v43
	;; [unrolled: 1-line block ×4, first 2 shown]
	v_cvt_f32_f16_e32 v42, v20
	v_cvt_f32_f16_e32 v43, v21
	s_waitcnt lgkmcnt(1)
	v_perm_b32 v21, v36, v33, s73
	s_waitcnt lgkmcnt(0)
	v_perm_b32 v20, v37, v32, s73
	v_cvt_f32_f16_e32 v44, v24
	v_cvt_f32_f16_e32 v45, v25
	v_perm_b32 v13, v16, v13, s73
	v_cvt_f32_f16_sdwa v85, v46 dst_sel:DWORD dst_unused:UNUSED_PAD src0_sel:WORD_1
	v_mfma_f32_16x16x16_f16 v[42:45], v[20:21], v[56:57], v[42:45]
	ds_read_u16 v16, v200 offset:352
	ds_read_u16 v20, v200 offset:1408
	;; [unrolled: 1-line block ×4, first 2 shown]
	v_cvt_f32_f16_e32 v92, v55
	v_cvt_f32_f16_sdwa v93, v55 dst_sel:DWORD dst_unused:UNUSED_PAD src0_sel:WORD_1
	v_cvt_f16_f32_e32 v65, v2
	s_waitcnt lgkmcnt(1)
	v_perm_b32 v21, v21, v20, s73
	s_waitcnt lgkmcnt(0)
	v_perm_b32 v20, v24, v16, s73
	v_cvt_f16_f32_e32 v16, v40
	v_cvt_f16_f32_e32 v24, v41
	v_mfma_f32_16x16x16_f16 v[46:49], v[20:21], v[60:61], v[84:87]
	v_perm_b32 v16, v24, v16, s73
	s_nop 1
	v_cvt_f32_f16_e32 v84, v51
	v_cvt_f32_f16_sdwa v85, v51 dst_sel:DWORD dst_unused:UNUSED_PAD src0_sel:WORD_1
	s_nop 2
	v_cvt_f16_f32_e32 v32, v49
	ds_read_u16 v33, v200 offset:17248
	ds_read_u16 v40, v200 offset:18304
	;; [unrolled: 1-line block ×4, first 2 shown]
	v_cvt_f16_f32_e32 v20, v46
	v_cvt_f16_f32_e32 v21, v47
	;; [unrolled: 1-line block ×3, first 2 shown]
	v_cvt_f32_f16_e32 v86, v50
	v_cvt_f32_f16_e32 v46, v20
	;; [unrolled: 1-line block ×3, first 2 shown]
	s_waitcnt lgkmcnt(1)
	v_perm_b32 v21, v41, v40, s73
	s_waitcnt lgkmcnt(0)
	v_perm_b32 v20, v49, v33, s73
	v_cvt_f32_f16_e32 v48, v25
	v_cvt_f32_f16_e32 v49, v32
	v_cvt_f32_f16_sdwa v87, v50 dst_sel:DWORD dst_unused:UNUSED_PAD src0_sel:WORD_1
	v_cvt_f16_f32_e32 v33, v45
	v_mfma_f32_16x16x16_f16 v[46:49], v[20:21], v[56:57], v[46:49]
	ds_read_u16 v20, v200 offset:384
	ds_read_u16 v21, v200 offset:1440
	;; [unrolled: 1-line block ×4, first 2 shown]
	v_cvt_f16_f32_e32 v32, v44
	v_cvt_f16_f32_e32 v4, v3
	;; [unrolled: 1-line block ×3, first 2 shown]
	s_waitcnt lgkmcnt(1)
	v_perm_b32 v21, v24, v21, s73
	s_waitcnt lgkmcnt(0)
	v_perm_b32 v20, v25, v20, s73
	ds_read_u16 v45, v200 offset:17280
	ds_read_u16 v25, v200 offset:18336
	;; [unrolled: 1-line block ×4, first 2 shown]
	v_mfma_f32_16x16x16_f16 v[84:87], v[20:21], v[60:61], v[84:87]
	s_waitcnt lgkmcnt(1)
	v_perm_b32 v25, v50, v25, s73
	v_cvt_f16_f32_e32 v66, v7
	v_cvt_f16_f32_e32 v67, v10
	s_nop 3
	v_cvt_f16_f32_e32 v24, v86
	v_cvt_f16_f32_e32 v20, v84
	;; [unrolled: 1-line block ×4, first 2 shown]
	v_cvt_f32_f16_e32 v86, v24
	s_waitcnt lgkmcnt(0)
	v_perm_b32 v24, v51, v45, s73
	v_cvt_f32_f16_e32 v84, v20
	v_cvt_f32_f16_e32 v85, v21
	;; [unrolled: 1-line block ×3, first 2 shown]
	v_perm_b32 v20, v33, v32, s73
	v_cvt_f16_f32_e32 v21, v48
	v_cvt_f16_f32_e32 v32, v49
	v_mfma_f32_16x16x16_f16 v[48:51], v[24:25], v[56:57], v[84:87]
	ds_read_u16 v24, v200 offset:416
	ds_read_u16 v25, v200 offset:1472
	;; [unrolled: 1-line block ×4, first 2 shown]
	v_cvt_f32_f16_e32 v86, v53
	v_cvt_f32_f16_sdwa v87, v53 dst_sel:DWORD dst_unused:UNUSED_PAD src0_sel:WORD_1
	v_perm_b32 v21, v32, v21, s73
	s_waitcnt lgkmcnt(1)
	v_perm_b32 v25, v33, v25, s73
	s_waitcnt lgkmcnt(0)
	v_perm_b32 v24, v44, v24, s73
	ds_read_u16 v44, v200 offset:17312
	ds_read_u16 v45, v200 offset:18368
	;; [unrolled: 1-line block ×4, first 2 shown]
	v_mfma_f32_16x16x16_f16 v[86:89], v[24:25], v[60:61], v[86:89]
	v_cvt_f16_f32_e32 v68, v11
	v_cvt_f16_f32_e32 v69, v14
	;; [unrolled: 1-line block ×3, first 2 shown]
	s_nop 4
	v_cvt_f16_f32_e32 v24, v86
	v_cvt_f16_f32_e32 v25, v87
	;; [unrolled: 1-line block ×4, first 2 shown]
	v_cvt_f32_f16_e32 v88, v24
	v_cvt_f32_f16_e32 v89, v25
	s_waitcnt lgkmcnt(1)
	v_perm_b32 v25, v52, v45, s73
	s_waitcnt lgkmcnt(0)
	v_perm_b32 v24, v53, v44, s73
	v_cvt_f32_f16_e32 v90, v32
	v_cvt_f32_f16_e32 v91, v33
	v_cvt_f16_f32_e32 v44, v50
	v_cvt_f16_f32_e32 v45, v51
	v_mfma_f32_16x16x16_f16 v[50:53], v[24:25], v[56:57], v[88:91]
	ds_read_u16 v24, v200 offset:448
	ds_read_u16 v25, v200 offset:1504
	;; [unrolled: 1-line block ×4, first 2 shown]
	v_cvt_f32_f16_e32 v90, v54
	v_cvt_f32_f16_sdwa v91, v54 dst_sel:DWORD dst_unused:UNUSED_PAD src0_sel:WORD_1
	s_nop 1
	v_cvt_f16_f32_e32 v98, v53
	s_waitcnt lgkmcnt(1)
	v_perm_b32 v33, v32, v25, s73
	s_waitcnt lgkmcnt(0)
	v_perm_b32 v32, v87, v24, s73
	v_perm_b32 v24, v45, v44, s73
	ds_read_u16 v45, v200 offset:17344
	ds_read_u16 v54, v200 offset:18400
	ds_read_u16 v55, v201 offset:17344
	ds_read_u16 v89, v200 offset:17872
	v_mfma_f32_16x16x16_f16 v[90:93], v[32:33], v[60:61], v[90:93]
	v_cvt_f16_f32_e32 v70, v18
	v_cvt_f16_f32_e32 v71, v19
	;; [unrolled: 1-line block ×3, first 2 shown]
	s_nop 4
	v_cvt_f16_f32_e32 v32, v91
	v_cvt_f16_f32_e32 v33, v92
	;; [unrolled: 1-line block ×4, first 2 shown]
	v_cvt_f32_f16_e32 v91, v32
	v_cvt_f32_f16_e32 v92, v33
	s_waitcnt lgkmcnt(1)
	v_perm_b32 v33, v55, v54, s73
	s_waitcnt lgkmcnt(0)
	v_perm_b32 v32, v89, v45, s73
	v_cvt_f32_f16_e32 v90, v25
	v_cvt_f32_f16_e32 v93, v44
	v_cvt_f16_f32_e32 v25, v52
	v_cvt_f16_f32_e32 v77, v23
	v_mfma_f32_16x16x16_f16 v[52:55], v[32:33], v[56:57], v[90:93]
	ds_read_u16 v32, v200 offset:480
	ds_read_u16 v33, v200 offset:1536
	;; [unrolled: 1-line block ×4, first 2 shown]
	v_cvt_f32_f16_e32 v90, v73
	v_cvt_f32_f16_sdwa v91, v73 dst_sel:DWORD dst_unused:UNUSED_PAD src0_sel:WORD_1
	v_cvt_f32_f16_e32 v92, v72
	s_waitcnt lgkmcnt(1)
	v_perm_b32 v45, v44, v33, s73
	s_waitcnt lgkmcnt(0)
	v_perm_b32 v44, v93, v32, s73
	v_cvt_f32_f16_sdwa v93, v72 dst_sel:DWORD dst_unused:UNUSED_PAD src0_sel:WORD_1
	v_cvt_f16_f32_e32 v32, v54
	v_cvt_f16_f32_e32 v33, v55
	v_mfma_f32_16x16x16_f16 v[90:93], v[44:45], v[60:61], v[90:93]
	ds_read_u16 v45, v200 offset:17376
	ds_read_u16 v61, v200 offset:18432
	;; [unrolled: 1-line block ×4, first 2 shown]
	v_perm_b32 v32, v33, v32, s73
	ds_bpermute_b32 v33, v59, v63
	s_nop 1
	v_cvt_f16_f32_e32 v54, v90
	v_cvt_f16_f32_e32 v55, v91
	;; [unrolled: 1-line block ×4, first 2 shown]
	v_cvt_f32_f16_e32 v90, v54
	v_cvt_f32_f16_e32 v91, v55
	s_waitcnt lgkmcnt(2)
	v_perm_b32 v55, v72, v61, s73
	s_waitcnt lgkmcnt(1)
	v_perm_b32 v54, v73, v45, s73
	v_cvt_f32_f16_e32 v92, v60
	v_cvt_f32_f16_e32 v93, v44
	s_waitcnt lgkmcnt(0)
	v_add_f32_e32 v59, v63, v33
	ds_bpermute_b32 v63, v62, v59
	v_mfma_f32_16x16x16_f16 v[54:57], v[54:55], v[56:57], v[90:93]
	v_cvt_f16_f32_e32 v78, v26
	v_cvt_f16_f32_e32 v79, v27
	;; [unrolled: 1-line block ×22, first 2 shown]
	v_cmp_ne_u64_e32 vcc, 0, v[164:165]
	v_perm_b32 v25, v98, v25, s73
	v_perm_b32 v33, v57, v56, s73
	s_waitcnt lgkmcnt(0)
	v_add_f32_e32 v59, v59, v63
	s_and_b64 s[12:13], s[24:25], vcc
	v_perm_b32 v44, v61, v44, s73
	v_perm_b32 v45, v60, v45, s73
	;; [unrolled: 1-line block ×16, first 2 shown]
	s_barrier
	s_and_saveexec_b64 s[10:11], s[12:13]
	s_cbranch_execz .LBB31_58
; %bb.57:                               ;   in Loop: Header=BB31_12 Depth=1
	v_lshlrev_b32_e32 v4, 2, v136
	v_readfirstlane_b32 s12, v164
	v_readfirstlane_b32 s13, v165
	v_cvt_pk_f16_f32 v5, v2, v3
	v_max_f32_e32 v2, v58, v58
	v_cvt_pk_f16_f32 v6, v6, v7
	v_cvt_pk_f16_f32 v7, v10, v11
	;; [unrolled: 1-line block ×3, first 2 shown]
	global_load_dword v4, v4, s[12:13]
	v_cvt_pk_f16_f32 v18, v30, v31
	v_cvt_pk_f16_f32 v19, v34, v35
	;; [unrolled: 1-line block ×11, first 2 shown]
	s_waitcnt vmcnt(0)
	v_max_f32_e32 v3, v4, v4
	v_max_f32_e32 v2, v2, v3
	v_sub_f32_e32 v3, v58, v2
	v_sub_f32_e32 v4, v4, v2
	v_mul_f32_e32 v17, 0x3fb8aa3b, v3
	v_mul_f32_e32 v31, 0x3fb8aa3b, v4
	v_fma_f32 v34, v3, s27, -v17
	v_rndne_f32_e32 v35, v17
	v_fma_f32 v36, v4, s27, -v31
	v_rndne_f32_e32 v37, v31
	v_fmac_f32_e32 v34, 0x32a5705f, v3
	v_sub_f32_e32 v17, v17, v35
	v_fmac_f32_e32 v36, 0x32a5705f, v4
	v_sub_f32_e32 v31, v31, v37
	v_add_f32_e32 v17, v17, v34
	v_cvt_i32_f32_e32 v35, v35
	v_add_f32_e32 v31, v31, v36
	v_exp_f32_e32 v17, v17
	v_cvt_i32_f32_e32 v37, v37
	v_exp_f32_e32 v31, v31
	v_cmp_ngt_f32_e32 vcc, s59, v3
	v_ldexp_f32 v17, v17, v35
	v_cvt_pk_f16_f32 v34, v52, v53
	v_ldexp_f32 v31, v31, v37
	v_cndmask_b32_e32 v17, 0, v17, vcc
	v_cmp_ngt_f32_e32 vcc, s59, v4
	s_nop 1
	v_cndmask_b32_e32 v31, 0, v31, vcc
	v_cmp_nlt_f32_e32 vcc, s81, v3
	s_nop 1
	v_cndmask_b32_e32 v17, v227, v17, vcc
	v_cmp_le_f32_e32 vcc, s70, v3
	s_nop 1
	v_cndmask_b32_e32 v17, 0, v17, vcc
	v_cvt_f16_f32_e32 v35, v17
	v_cmp_nlt_f32_e32 vcc, s81, v4
	v_mul_u32_u24_e32 v4, 0x10001, v35
	s_nop 0
	v_cndmask_b32_e32 v3, v227, v31, vcc
	v_fmac_f32_e32 v3, v59, v17
	v_pk_mul_f16 v65, v5, v4
	v_pk_mul_f16 v64, v64, v4
	;; [unrolled: 1-line block ×32, first 2 shown]
	v_mov_b64_e32 v[58:59], v[2:3]
.LBB31_58:                              ;   in Loop: Header=BB31_12 Depth=1
	s_or_b64 exec, exec, s[10:11]
	s_and_saveexec_b64 s[10:11], s[6:7]
; %bb.59:                               ;   in Loop: Header=BB31_12 Depth=1
	v_add_u32_e32 v2, 0, v209
	ds_write2_b32 v2, v58, v59 offset0:64 offset1:65
; %bb.60:                               ;   in Loop: Header=BB31_12 Depth=1
	s_or_b64 exec, exec, s[10:11]
	s_waitcnt lgkmcnt(0)
	s_barrier
	s_and_saveexec_b64 s[10:11], s[4:5]
	s_xor_b64 s[10:11], exec, s[10:11]
	s_cbranch_execz .LBB31_62
; %bb.61:                               ;   in Loop: Header=BB31_12 Depth=1
	s_barrier
                                        ; implicit-def: $vgpr62
.LBB31_62:                              ;   in Loop: Header=BB31_12 Depth=1
	s_andn2_saveexec_b64 s[10:11], s[10:11]
	s_cbranch_execz .LBB31_68
; %bb.63:                               ;   in Loop: Header=BB31_12 Depth=1
	v_add_u32_e32 v3, 0, v210
	ds_read_b64 v[6:7], v3 offset:256
	s_waitcnt lgkmcnt(0)
	s_barrier
	ds_bpermute_b32 v2, v62, v6
	v_max_f32_e32 v4, v6, v6
	s_waitcnt lgkmcnt(0)
	v_max_f32_e32 v2, v2, v2
	v_max_f32_e32 v2, v4, v2
	v_sub_f32_e32 v4, v6, v2
	v_mul_f32_e32 v5, 0x3fb8aa3b, v4
	v_fma_f32 v6, v4, s27, -v5
	v_rndne_f32_e32 v10, v5
	v_fmac_f32_e32 v6, 0x32a5705f, v4
	v_sub_f32_e32 v5, v5, v10
	v_add_f32_e32 v5, v5, v6
	v_cvt_i32_f32_e32 v10, v10
	v_exp_f32_e32 v5, v5
	v_cmp_ngt_f32_e32 vcc, s59, v4
	v_ldexp_f32 v5, v5, v10
	s_nop 0
	v_cndmask_b32_e32 v5, 0, v5, vcc
	v_cmp_nlt_f32_e32 vcc, s81, v4
	s_nop 1
	v_cndmask_b32_e32 v4, v227, v5, vcc
	v_mul_f32_e32 v5, v7, v4
	ds_bpermute_b32 v5, v62, v5
	s_waitcnt lgkmcnt(0)
	v_fmac_f32_e32 v5, v7, v4
	s_and_saveexec_b64 s[12:13], s[8:9]
; %bb.64:                               ;   in Loop: Header=BB31_12 Depth=1
	ds_write_b64 v3, v[4:5] offset:256
; %bb.65:                               ;   in Loop: Header=BB31_12 Depth=1
	s_or_b64 exec, exec, s[12:13]
	s_and_saveexec_b64 s[12:13], s[6:7]
	s_cbranch_execz .LBB31_67
; %bb.66:                               ;   in Loop: Header=BB31_12 Depth=1
	v_mov_b32_e32 v3, v5
	global_store_dwordx2 v[138:139], v[2:3], off
.LBB31_67:                              ;   in Loop: Header=BB31_12 Depth=1
	s_or_b64 exec, exec, s[12:13]
.LBB31_68:                              ;   in Loop: Header=BB31_12 Depth=1
	s_or_b64 exec, exec, s[10:11]
	v_add_u32_e32 v2, v231, v143
	ds_write2_b32 v202, v65, v64 offset1:1
	ds_write2_b32 v202, v66, v8 offset0:8 offset1:9
	ds_write2_b32 v202, v67, v9 offset0:16 offset1:17
	;; [unrolled: 1-line block ×7, first 2 shown]
	s_waitcnt lgkmcnt(0)
	s_barrier
	s_and_saveexec_b64 s[14:15], s[24:25]
	s_cbranch_execz .LBB31_146
; %bb.69:                               ;   in Loop: Header=BB31_12 Depth=1
	v_or_b32_e32 v3, v140, v97
	v_cmp_gt_i32_e64 s[10:11], s28, v2
	v_cmp_gt_i32_e32 vcc, s3, v3
	s_and_b64 s[12:13], s[10:11], vcc
	v_mov_b32_e32 v3, 0x47
	s_and_saveexec_b64 s[10:11], s[12:13]
	s_cbranch_execz .LBB31_71
; %bb.70:                               ;   in Loop: Header=BB31_12 Depth=1
	v_add_u32_e32 v3, v194, v211
	ds_read2st64_b32 v[6:7], v3 offset1:17
	v_add_u32_e32 v3, 0, v211
	ds_read2st64_b32 v[8:9], v3 offset0:1 offset1:18
	v_mad_u64_u32 v[4:5], s[12:13], v2, s29, v[140:141]
	s_waitcnt lgkmcnt(1)
	v_cvt_f32_f16_e32 v10, v6
	v_cvt_f32_f16_sdwa v11, v6 dst_sel:DWORD dst_unused:UNUSED_PAD src0_sel:WORD_1
	v_cvt_f32_f16_e32 v6, v7
	v_cvt_f32_f16_sdwa v7, v7 dst_sel:DWORD dst_unused:UNUSED_PAD src0_sel:WORD_1
	v_lshl_add_u32 v4, v4, 7, v94
	v_ashrrev_i32_e32 v5, 31, v4
	s_waitcnt lgkmcnt(0)
	v_pk_fma_f32 v[10:11], v[8:9], v[10:11], 0 op_sel_hi:[0,1,0]
	v_mov_b32_e32 v8, v9
	v_lshl_add_u64 v[4:5], v[4:5], 3, v[162:163]
	v_pk_fma_f32 v[6:7], v[8:9], v[6:7], v[10:11] op_sel_hi:[0,1,1]
	v_mov_b32_e32 v3, 0
	global_store_dwordx2 v[4:5], v[6:7], off
.LBB31_71:                              ;   in Loop: Header=BB31_12 Depth=1
	s_or_b64 exec, exec, s[10:11]
	v_cmp_gt_i32_e64 s[10:11], s80, v3
	s_mov_b64 s[12:13], -1
	s_and_saveexec_b64 s[16:17], s[10:11]
; %bb.72:                               ;   in Loop: Header=BB31_12 Depth=1
	v_cmp_eq_u32_e64 s[10:11], 0, v3
	s_orn2_b64 s[12:13], s[10:11], exec
; %bb.73:                               ;   in Loop: Header=BB31_12 Depth=1
	s_or_b64 exec, exec, s[16:17]
	s_and_b64 exec, exec, s[12:13]
	s_cbranch_execz .LBB31_146
; %bb.74:                               ;   in Loop: Header=BB31_12 Depth=1
	v_add_u32_e32 v4, v232, v143
	v_or_b32_e32 v3, v120, v97
	v_cmp_gt_i32_e64 s[10:11], s28, v4
	v_cmp_gt_i32_e64 s[12:13], s3, v3
	s_and_b64 s[12:13], s[10:11], s[12:13]
	v_mov_b32_e32 v3, 0x47
	s_and_saveexec_b64 s[10:11], s[12:13]
	s_cbranch_execz .LBB31_76
; %bb.75:                               ;   in Loop: Header=BB31_12 Depth=1
	v_add_u32_e32 v3, v194, v212
	ds_read2st64_b32 v[6:7], v3 offset1:17
	v_add_u32_e32 v3, 0, v212
	ds_read2st64_b32 v[8:9], v3 offset0:1 offset1:18
	v_mad_u64_u32 v[4:5], s[12:13], v4, s29, v[120:121]
	s_waitcnt lgkmcnt(1)
	v_cvt_f32_f16_e32 v10, v6
	v_cvt_f32_f16_sdwa v11, v6 dst_sel:DWORD dst_unused:UNUSED_PAD src0_sel:WORD_1
	v_cvt_f32_f16_e32 v6, v7
	v_cvt_f32_f16_sdwa v7, v7 dst_sel:DWORD dst_unused:UNUSED_PAD src0_sel:WORD_1
	v_lshl_add_u32 v4, v4, 7, v94
	v_ashrrev_i32_e32 v5, 31, v4
	s_waitcnt lgkmcnt(0)
	v_pk_fma_f32 v[10:11], v[8:9], v[10:11], 0 op_sel_hi:[0,1,0]
	v_mov_b32_e32 v8, v9
	v_lshl_add_u64 v[4:5], v[4:5], 3, v[162:163]
	v_pk_fma_f32 v[6:7], v[8:9], v[6:7], v[10:11] op_sel_hi:[0,1,1]
	v_mov_b32_e32 v3, 0
	global_store_dwordx2 v[4:5], v[6:7], off
.LBB31_76:                              ;   in Loop: Header=BB31_12 Depth=1
	s_or_b64 exec, exec, s[10:11]
	v_cmp_gt_i32_e64 s[10:11], s80, v3
	s_mov_b64 s[12:13], -1
	s_and_saveexec_b64 s[16:17], s[10:11]
; %bb.77:                               ;   in Loop: Header=BB31_12 Depth=1
	v_cmp_eq_u32_e64 s[10:11], 0, v3
	s_orn2_b64 s[12:13], s[10:11], exec
; %bb.78:                               ;   in Loop: Header=BB31_12 Depth=1
	s_or_b64 exec, exec, s[16:17]
	s_and_b64 exec, exec, s[12:13]
	s_cbranch_execz .LBB31_146
; %bb.79:                               ;   in Loop: Header=BB31_12 Depth=1
	v_add_u32_e32 v4, v213, v143
	v_cmp_gt_i32_e64 s[10:11], s28, v4
	s_and_b64 s[12:13], s[10:11], vcc
	v_mov_b32_e32 v3, 0x47
	s_and_saveexec_b64 s[10:11], s[12:13]
	s_cbranch_execz .LBB31_81
; %bb.80:                               ;   in Loop: Header=BB31_12 Depth=1
	v_add_u32_e32 v3, v194, v214
	ds_read2st64_b32 v[6:7], v3 offset1:17
	v_add_u32_e32 v3, 0, v214
	ds_read2st64_b32 v[8:9], v3 offset0:1 offset1:18
	v_mad_u64_u32 v[4:5], s[12:13], v4, s29, v[140:141]
	s_waitcnt lgkmcnt(1)
	v_cvt_f32_f16_e32 v10, v6
	v_cvt_f32_f16_sdwa v11, v6 dst_sel:DWORD dst_unused:UNUSED_PAD src0_sel:WORD_1
	v_cvt_f32_f16_e32 v6, v7
	v_cvt_f32_f16_sdwa v7, v7 dst_sel:DWORD dst_unused:UNUSED_PAD src0_sel:WORD_1
	v_lshl_add_u32 v4, v4, 7, v94
	v_ashrrev_i32_e32 v5, 31, v4
	s_waitcnt lgkmcnt(0)
	v_pk_fma_f32 v[10:11], v[8:9], v[10:11], 0 op_sel_hi:[0,1,0]
	v_mov_b32_e32 v8, v9
	v_lshl_add_u64 v[4:5], v[4:5], 3, v[162:163]
	v_pk_fma_f32 v[6:7], v[8:9], v[6:7], v[10:11] op_sel_hi:[0,1,1]
	v_mov_b32_e32 v3, 0
	global_store_dwordx2 v[4:5], v[6:7], off
.LBB31_81:                              ;   in Loop: Header=BB31_12 Depth=1
	s_or_b64 exec, exec, s[10:11]
	v_cmp_gt_i32_e64 s[10:11], s80, v3
	s_mov_b64 s[12:13], -1
	s_and_saveexec_b64 s[16:17], s[10:11]
; %bb.82:                               ;   in Loop: Header=BB31_12 Depth=1
	v_cmp_eq_u32_e64 s[10:11], 0, v3
	s_orn2_b64 s[12:13], s[10:11], exec
; %bb.83:                               ;   in Loop: Header=BB31_12 Depth=1
	s_or_b64 exec, exec, s[16:17]
	s_and_b64 exec, exec, s[12:13]
	s_cbranch_execz .LBB31_146
; %bb.84:                               ;   in Loop: Header=BB31_12 Depth=1
	v_add_u32_e32 v4, v134, v143
	v_or_b32_e32 v3, v122, v97
	v_cmp_gt_i32_e64 s[10:11], s28, v4
	v_cmp_gt_i32_e64 s[12:13], s3, v3
	s_and_b64 s[12:13], s[10:11], s[12:13]
	v_mov_b32_e32 v3, 0x47
	s_and_saveexec_b64 s[10:11], s[12:13]
	s_cbranch_execz .LBB31_86
; %bb.85:                               ;   in Loop: Header=BB31_12 Depth=1
	v_add_u32_e32 v3, v194, v215
	ds_read2st64_b32 v[6:7], v3 offset1:17
	v_add_u32_e32 v3, 0, v215
	ds_read2st64_b32 v[8:9], v3 offset0:1 offset1:18
	v_mad_u64_u32 v[4:5], s[12:13], v4, s29, v[122:123]
	s_waitcnt lgkmcnt(1)
	v_cvt_f32_f16_e32 v10, v6
	v_cvt_f32_f16_sdwa v11, v6 dst_sel:DWORD dst_unused:UNUSED_PAD src0_sel:WORD_1
	v_cvt_f32_f16_e32 v6, v7
	v_cvt_f32_f16_sdwa v7, v7 dst_sel:DWORD dst_unused:UNUSED_PAD src0_sel:WORD_1
	v_lshl_add_u32 v4, v4, 7, v94
	v_ashrrev_i32_e32 v5, 31, v4
	s_waitcnt lgkmcnt(0)
	v_pk_fma_f32 v[10:11], v[8:9], v[10:11], 0 op_sel_hi:[0,1,0]
	v_mov_b32_e32 v8, v9
	v_lshl_add_u64 v[4:5], v[4:5], 3, v[162:163]
	v_pk_fma_f32 v[6:7], v[8:9], v[6:7], v[10:11] op_sel_hi:[0,1,1]
	v_mov_b32_e32 v3, 0
	global_store_dwordx2 v[4:5], v[6:7], off
.LBB31_86:                              ;   in Loop: Header=BB31_12 Depth=1
	s_or_b64 exec, exec, s[10:11]
	v_cmp_gt_i32_e64 s[10:11], s80, v3
	s_mov_b64 s[12:13], -1
	s_and_saveexec_b64 s[16:17], s[10:11]
; %bb.87:                               ;   in Loop: Header=BB31_12 Depth=1
	v_cmp_eq_u32_e64 s[10:11], 0, v3
	s_orn2_b64 s[12:13], s[10:11], exec
; %bb.88:                               ;   in Loop: Header=BB31_12 Depth=1
	s_or_b64 exec, exec, s[16:17]
	s_and_b64 exec, exec, s[12:13]
	s_cbranch_execz .LBB31_146
; %bb.89:                               ;   in Loop: Header=BB31_12 Depth=1
	v_add_u32_e32 v4, v216, v143
	v_cmp_gt_i32_e64 s[10:11], s28, v4
	s_and_b64 s[12:13], s[10:11], vcc
	v_mov_b32_e32 v3, 0x47
	s_and_saveexec_b64 s[10:11], s[12:13]
	s_cbranch_execz .LBB31_91
; %bb.90:                               ;   in Loop: Header=BB31_12 Depth=1
	v_add_u32_e32 v3, v194, v217
	ds_read2st64_b32 v[6:7], v3 offset1:17
	v_add_u32_e32 v3, 0, v217
	ds_read2st64_b32 v[8:9], v3 offset0:1 offset1:18
	v_mad_u64_u32 v[4:5], s[12:13], v4, s29, v[140:141]
	s_waitcnt lgkmcnt(1)
	v_cvt_f32_f16_e32 v10, v6
	v_cvt_f32_f16_sdwa v11, v6 dst_sel:DWORD dst_unused:UNUSED_PAD src0_sel:WORD_1
	v_cvt_f32_f16_e32 v6, v7
	v_cvt_f32_f16_sdwa v7, v7 dst_sel:DWORD dst_unused:UNUSED_PAD src0_sel:WORD_1
	v_lshl_add_u32 v4, v4, 7, v94
	v_ashrrev_i32_e32 v5, 31, v4
	s_waitcnt lgkmcnt(0)
	v_pk_fma_f32 v[10:11], v[8:9], v[10:11], 0 op_sel_hi:[0,1,0]
	v_mov_b32_e32 v8, v9
	v_lshl_add_u64 v[4:5], v[4:5], 3, v[162:163]
	v_pk_fma_f32 v[6:7], v[8:9], v[6:7], v[10:11] op_sel_hi:[0,1,1]
	v_mov_b32_e32 v3, 0
	global_store_dwordx2 v[4:5], v[6:7], off
.LBB31_91:                              ;   in Loop: Header=BB31_12 Depth=1
	s_or_b64 exec, exec, s[10:11]
	v_cmp_gt_i32_e64 s[10:11], s80, v3
	s_mov_b64 s[12:13], -1
	s_and_saveexec_b64 s[16:17], s[10:11]
; %bb.92:                               ;   in Loop: Header=BB31_12 Depth=1
	v_cmp_eq_u32_e64 s[10:11], 0, v3
	s_orn2_b64 s[12:13], s[10:11], exec
; %bb.93:                               ;   in Loop: Header=BB31_12 Depth=1
	s_or_b64 exec, exec, s[16:17]
	s_and_b64 exec, exec, s[12:13]
	s_cbranch_execz .LBB31_146
; %bb.94:                               ;   in Loop: Header=BB31_12 Depth=1
	scratch_load_dword v3, off, off offset:8 ; 4-byte Folded Reload
	scratch_load_dwordx2 v[6:7], off, off   ; 8-byte Folded Reload
	s_waitcnt vmcnt(1)
	v_add_u32_e32 v4, v3, v143
	s_waitcnt vmcnt(0)
	v_or_b32_e32 v3, v6, v97
	v_cmp_gt_i32_e64 s[10:11], s28, v4
	v_cmp_gt_i32_e64 s[12:13], s3, v3
	s_and_b64 s[12:13], s[10:11], s[12:13]
	v_mov_b32_e32 v3, 0x47
	s_and_saveexec_b64 s[10:11], s[12:13]
	s_cbranch_execz .LBB31_96
; %bb.95:                               ;   in Loop: Header=BB31_12 Depth=1
	scratch_load_dwordx2 v[6:7], off, off   ; 8-byte Folded Reload
	s_waitcnt vmcnt(0)
	v_mad_u64_u32 v[4:5], s[12:13], v4, s29, v[6:7]
	scratch_load_dword v5, off, off offset:12 ; 4-byte Folded Reload
	v_lshl_add_u32 v4, v4, 7, v94
	s_waitcnt vmcnt(0)
	v_add_u32_e32 v3, v194, v5
	ds_read2st64_b32 v[6:7], v3 offset1:17
	v_add_u32_e32 v3, 0, v5
	ds_read2st64_b32 v[8:9], v3 offset0:1 offset1:18
	v_ashrrev_i32_e32 v5, 31, v4
	v_lshl_add_u64 v[4:5], v[4:5], 3, v[162:163]
	s_waitcnt lgkmcnt(1)
	v_cvt_f32_f16_e32 v10, v6
	v_cvt_f32_f16_sdwa v11, v6 dst_sel:DWORD dst_unused:UNUSED_PAD src0_sel:WORD_1
	v_cvt_f32_f16_e32 v6, v7
	v_cvt_f32_f16_sdwa v7, v7 dst_sel:DWORD dst_unused:UNUSED_PAD src0_sel:WORD_1
	v_mov_b32_e32 v3, 0
	s_waitcnt lgkmcnt(0)
	v_pk_fma_f32 v[10:11], v[8:9], v[10:11], 0 op_sel_hi:[0,1,0]
	v_mov_b32_e32 v8, v9
	v_pk_fma_f32 v[6:7], v[8:9], v[6:7], v[10:11] op_sel_hi:[0,1,1]
	global_store_dwordx2 v[4:5], v[6:7], off
.LBB31_96:                              ;   in Loop: Header=BB31_12 Depth=1
	s_or_b64 exec, exec, s[10:11]
	v_cmp_gt_i32_e64 s[10:11], s80, v3
	s_mov_b64 s[12:13], -1
	s_and_saveexec_b64 s[16:17], s[10:11]
; %bb.97:                               ;   in Loop: Header=BB31_12 Depth=1
	v_cmp_eq_u32_e64 s[10:11], 0, v3
	s_orn2_b64 s[12:13], s[10:11], exec
; %bb.98:                               ;   in Loop: Header=BB31_12 Depth=1
	s_or_b64 exec, exec, s[16:17]
	s_and_b64 exec, exec, s[12:13]
	s_cbranch_execz .LBB31_146
; %bb.99:                               ;   in Loop: Header=BB31_12 Depth=1
	scratch_load_dword v3, off, off offset:16 ; 4-byte Folded Reload
	s_waitcnt vmcnt(0)
	v_add_u32_e32 v4, v3, v143
	v_cmp_gt_i32_e64 s[10:11], s28, v4
	s_and_b64 s[12:13], s[10:11], vcc
	v_mov_b32_e32 v3, 0x47
	s_and_saveexec_b64 s[10:11], s[12:13]
	s_cbranch_execz .LBB31_101
; %bb.100:                              ;   in Loop: Header=BB31_12 Depth=1
	v_mad_u64_u32 v[4:5], s[12:13], v4, s29, v[140:141]
	scratch_load_dword v5, off, off offset:28 ; 4-byte Folded Reload
	v_lshl_add_u32 v4, v4, 7, v94
	s_waitcnt vmcnt(0)
	v_add_u32_e32 v3, v194, v5
	ds_read2st64_b32 v[6:7], v3 offset1:17
	v_add_u32_e32 v3, 0, v5
	ds_read2st64_b32 v[8:9], v3 offset0:1 offset1:18
	v_ashrrev_i32_e32 v5, 31, v4
	v_lshl_add_u64 v[4:5], v[4:5], 3, v[162:163]
	s_waitcnt lgkmcnt(1)
	v_cvt_f32_f16_e32 v10, v6
	v_cvt_f32_f16_sdwa v11, v6 dst_sel:DWORD dst_unused:UNUSED_PAD src0_sel:WORD_1
	v_cvt_f32_f16_e32 v6, v7
	v_cvt_f32_f16_sdwa v7, v7 dst_sel:DWORD dst_unused:UNUSED_PAD src0_sel:WORD_1
	v_mov_b32_e32 v3, 0
	s_waitcnt lgkmcnt(0)
	v_pk_fma_f32 v[10:11], v[8:9], v[10:11], 0 op_sel_hi:[0,1,0]
	v_mov_b32_e32 v8, v9
	v_pk_fma_f32 v[6:7], v[8:9], v[6:7], v[10:11] op_sel_hi:[0,1,1]
	global_store_dwordx2 v[4:5], v[6:7], off
.LBB31_101:                             ;   in Loop: Header=BB31_12 Depth=1
	s_or_b64 exec, exec, s[10:11]
	v_cmp_gt_i32_e64 s[10:11], s80, v3
	s_mov_b64 s[12:13], -1
	s_and_saveexec_b64 s[16:17], s[10:11]
; %bb.102:                              ;   in Loop: Header=BB31_12 Depth=1
	v_cmp_eq_u32_e64 s[10:11], 0, v3
	s_orn2_b64 s[12:13], s[10:11], exec
; %bb.103:                              ;   in Loop: Header=BB31_12 Depth=1
	s_or_b64 exec, exec, s[16:17]
	s_and_b64 exec, exec, s[12:13]
	s_cbranch_execz .LBB31_146
; %bb.104:                              ;   in Loop: Header=BB31_12 Depth=1
	scratch_load_dword v3, off, off offset:32 ; 4-byte Folded Reload
	scratch_load_dwordx2 v[6:7], off, off offset:20 ; 8-byte Folded Reload
	s_waitcnt vmcnt(1)
	v_add_u32_e32 v4, v3, v143
	s_waitcnt vmcnt(0)
	v_or_b32_e32 v3, v6, v97
	v_cmp_gt_i32_e64 s[10:11], s28, v4
	v_cmp_gt_i32_e64 s[12:13], s3, v3
	s_and_b64 s[12:13], s[10:11], s[12:13]
	v_mov_b32_e32 v3, 0x47
	s_and_saveexec_b64 s[10:11], s[12:13]
	s_cbranch_execz .LBB31_106
; %bb.105:                              ;   in Loop: Header=BB31_12 Depth=1
	scratch_load_dwordx2 v[6:7], off, off offset:20 ; 8-byte Folded Reload
	s_waitcnt vmcnt(0)
	v_mad_u64_u32 v[4:5], s[12:13], v4, s29, v[6:7]
	scratch_load_dword v5, off, off offset:36 ; 4-byte Folded Reload
	v_lshl_add_u32 v4, v4, 7, v94
	s_waitcnt vmcnt(0)
	v_add_u32_e32 v3, v194, v5
	ds_read2st64_b32 v[6:7], v3 offset1:17
	v_add_u32_e32 v3, 0, v5
	ds_read2st64_b32 v[8:9], v3 offset0:1 offset1:18
	v_ashrrev_i32_e32 v5, 31, v4
	v_lshl_add_u64 v[4:5], v[4:5], 3, v[162:163]
	s_waitcnt lgkmcnt(1)
	v_cvt_f32_f16_e32 v10, v6
	v_cvt_f32_f16_sdwa v11, v6 dst_sel:DWORD dst_unused:UNUSED_PAD src0_sel:WORD_1
	v_cvt_f32_f16_e32 v6, v7
	v_cvt_f32_f16_sdwa v7, v7 dst_sel:DWORD dst_unused:UNUSED_PAD src0_sel:WORD_1
	v_mov_b32_e32 v3, 0
	s_waitcnt lgkmcnt(0)
	v_pk_fma_f32 v[10:11], v[8:9], v[10:11], 0 op_sel_hi:[0,1,0]
	v_mov_b32_e32 v8, v9
	v_pk_fma_f32 v[6:7], v[8:9], v[6:7], v[10:11] op_sel_hi:[0,1,1]
	global_store_dwordx2 v[4:5], v[6:7], off
.LBB31_106:                             ;   in Loop: Header=BB31_12 Depth=1
	s_or_b64 exec, exec, s[10:11]
	v_cmp_gt_i32_e64 s[10:11], s80, v3
	s_mov_b64 s[12:13], -1
	s_and_saveexec_b64 s[16:17], s[10:11]
; %bb.107:                              ;   in Loop: Header=BB31_12 Depth=1
	v_cmp_eq_u32_e64 s[10:11], 0, v3
	s_orn2_b64 s[12:13], s[10:11], exec
; %bb.108:                              ;   in Loop: Header=BB31_12 Depth=1
	s_or_b64 exec, exec, s[16:17]
	s_and_b64 exec, exec, s[12:13]
	s_cbranch_execz .LBB31_146
; %bb.109:                              ;   in Loop: Header=BB31_12 Depth=1
	scratch_load_dword v3, off, off offset:40 ; 4-byte Folded Reload
	s_waitcnt vmcnt(0)
	v_add_u32_e32 v4, v3, v143
	v_cmp_gt_i32_e64 s[10:11], s28, v4
	s_and_b64 s[12:13], s[10:11], vcc
	v_mov_b32_e32 v3, 0x47
	s_and_saveexec_b64 s[10:11], s[12:13]
	s_cbranch_execz .LBB31_111
; %bb.110:                              ;   in Loop: Header=BB31_12 Depth=1
	v_mad_u64_u32 v[4:5], s[12:13], v4, s29, v[140:141]
	scratch_load_dword v5, off, off offset:52 ; 4-byte Folded Reload
	v_lshl_add_u32 v4, v4, 7, v94
	s_waitcnt vmcnt(0)
	v_add_u32_e32 v3, v194, v5
	ds_read2st64_b32 v[6:7], v3 offset1:17
	v_add_u32_e32 v3, 0, v5
	ds_read2st64_b32 v[8:9], v3 offset0:1 offset1:18
	v_ashrrev_i32_e32 v5, 31, v4
	v_lshl_add_u64 v[4:5], v[4:5], 3, v[162:163]
	s_waitcnt lgkmcnt(1)
	v_cvt_f32_f16_e32 v10, v6
	v_cvt_f32_f16_sdwa v11, v6 dst_sel:DWORD dst_unused:UNUSED_PAD src0_sel:WORD_1
	v_cvt_f32_f16_e32 v6, v7
	v_cvt_f32_f16_sdwa v7, v7 dst_sel:DWORD dst_unused:UNUSED_PAD src0_sel:WORD_1
	v_mov_b32_e32 v3, 0
	s_waitcnt lgkmcnt(0)
	v_pk_fma_f32 v[10:11], v[8:9], v[10:11], 0 op_sel_hi:[0,1,0]
	v_mov_b32_e32 v8, v9
	v_pk_fma_f32 v[6:7], v[8:9], v[6:7], v[10:11] op_sel_hi:[0,1,1]
	global_store_dwordx2 v[4:5], v[6:7], off
.LBB31_111:                             ;   in Loop: Header=BB31_12 Depth=1
	s_or_b64 exec, exec, s[10:11]
	v_cmp_gt_i32_e64 s[10:11], s80, v3
	s_mov_b64 s[12:13], -1
	s_and_saveexec_b64 s[16:17], s[10:11]
; %bb.112:                              ;   in Loop: Header=BB31_12 Depth=1
	v_cmp_eq_u32_e64 s[10:11], 0, v3
	s_orn2_b64 s[12:13], s[10:11], exec
; %bb.113:                              ;   in Loop: Header=BB31_12 Depth=1
	s_or_b64 exec, exec, s[16:17]
	s_and_b64 exec, exec, s[12:13]
	s_cbranch_execz .LBB31_146
; %bb.114:                              ;   in Loop: Header=BB31_12 Depth=1
	scratch_load_dword v3, off, off offset:56 ; 4-byte Folded Reload
	scratch_load_dwordx2 v[6:7], off, off offset:44 ; 8-byte Folded Reload
	s_waitcnt vmcnt(1)
	v_add_u32_e32 v4, v3, v143
	s_waitcnt vmcnt(0)
	v_or_b32_e32 v3, v6, v97
	v_cmp_gt_i32_e64 s[10:11], s28, v4
	v_cmp_gt_i32_e64 s[12:13], s3, v3
	s_and_b64 s[12:13], s[10:11], s[12:13]
	v_mov_b32_e32 v3, 0x47
	s_and_saveexec_b64 s[10:11], s[12:13]
	s_cbranch_execz .LBB31_116
; %bb.115:                              ;   in Loop: Header=BB31_12 Depth=1
	scratch_load_dwordx2 v[6:7], off, off offset:44 ; 8-byte Folded Reload
	s_waitcnt vmcnt(0)
	v_mad_u64_u32 v[4:5], s[12:13], v4, s29, v[6:7]
	scratch_load_dword v5, off, off offset:60 ; 4-byte Folded Reload
	v_lshl_add_u32 v4, v4, 7, v94
	s_waitcnt vmcnt(0)
	v_add_u32_e32 v3, v194, v5
	ds_read2st64_b32 v[6:7], v3 offset1:17
	v_add_u32_e32 v3, 0, v5
	ds_read2st64_b32 v[8:9], v3 offset0:1 offset1:18
	v_ashrrev_i32_e32 v5, 31, v4
	v_lshl_add_u64 v[4:5], v[4:5], 3, v[162:163]
	s_waitcnt lgkmcnt(1)
	v_cvt_f32_f16_e32 v10, v6
	v_cvt_f32_f16_sdwa v11, v6 dst_sel:DWORD dst_unused:UNUSED_PAD src0_sel:WORD_1
	v_cvt_f32_f16_e32 v6, v7
	v_cvt_f32_f16_sdwa v7, v7 dst_sel:DWORD dst_unused:UNUSED_PAD src0_sel:WORD_1
	v_mov_b32_e32 v3, 0
	s_waitcnt lgkmcnt(0)
	v_pk_fma_f32 v[10:11], v[8:9], v[10:11], 0 op_sel_hi:[0,1,0]
	v_mov_b32_e32 v8, v9
	v_pk_fma_f32 v[6:7], v[8:9], v[6:7], v[10:11] op_sel_hi:[0,1,1]
	global_store_dwordx2 v[4:5], v[6:7], off
.LBB31_116:                             ;   in Loop: Header=BB31_12 Depth=1
	s_or_b64 exec, exec, s[10:11]
	v_cmp_gt_i32_e64 s[10:11], s80, v3
	s_mov_b64 s[12:13], -1
	s_and_saveexec_b64 s[16:17], s[10:11]
; %bb.117:                              ;   in Loop: Header=BB31_12 Depth=1
	v_cmp_eq_u32_e64 s[10:11], 0, v3
	s_orn2_b64 s[12:13], s[10:11], exec
; %bb.118:                              ;   in Loop: Header=BB31_12 Depth=1
	s_or_b64 exec, exec, s[16:17]
	s_and_b64 exec, exec, s[12:13]
	s_cbranch_execz .LBB31_146
; %bb.119:                              ;   in Loop: Header=BB31_12 Depth=1
	scratch_load_dword v3, off, off offset:64 ; 4-byte Folded Reload
	s_waitcnt vmcnt(0)
	v_add_u32_e32 v4, v3, v143
	v_cmp_gt_i32_e64 s[10:11], s28, v4
	s_and_b64 s[12:13], s[10:11], vcc
	v_mov_b32_e32 v3, 0x47
	s_and_saveexec_b64 s[10:11], s[12:13]
	s_cbranch_execz .LBB31_121
; %bb.120:                              ;   in Loop: Header=BB31_12 Depth=1
	v_mad_u64_u32 v[4:5], s[12:13], v4, s29, v[140:141]
	scratch_load_dword v5, off, off offset:76 ; 4-byte Folded Reload
	v_lshl_add_u32 v4, v4, 7, v94
	s_waitcnt vmcnt(0)
	v_add_u32_e32 v3, v194, v5
	ds_read2st64_b32 v[6:7], v3 offset1:17
	v_add_u32_e32 v3, 0, v5
	ds_read2st64_b32 v[8:9], v3 offset0:1 offset1:18
	v_ashrrev_i32_e32 v5, 31, v4
	v_lshl_add_u64 v[4:5], v[4:5], 3, v[162:163]
	s_waitcnt lgkmcnt(1)
	v_cvt_f32_f16_e32 v10, v6
	v_cvt_f32_f16_sdwa v11, v6 dst_sel:DWORD dst_unused:UNUSED_PAD src0_sel:WORD_1
	v_cvt_f32_f16_e32 v6, v7
	v_cvt_f32_f16_sdwa v7, v7 dst_sel:DWORD dst_unused:UNUSED_PAD src0_sel:WORD_1
	v_mov_b32_e32 v3, 0
	s_waitcnt lgkmcnt(0)
	v_pk_fma_f32 v[10:11], v[8:9], v[10:11], 0 op_sel_hi:[0,1,0]
	v_mov_b32_e32 v8, v9
	v_pk_fma_f32 v[6:7], v[8:9], v[6:7], v[10:11] op_sel_hi:[0,1,1]
	global_store_dwordx2 v[4:5], v[6:7], off
.LBB31_121:                             ;   in Loop: Header=BB31_12 Depth=1
	s_or_b64 exec, exec, s[10:11]
	v_cmp_gt_i32_e64 s[10:11], s80, v3
	s_mov_b64 s[12:13], -1
	s_and_saveexec_b64 s[16:17], s[10:11]
; %bb.122:                              ;   in Loop: Header=BB31_12 Depth=1
	v_cmp_eq_u32_e64 s[10:11], 0, v3
	s_orn2_b64 s[12:13], s[10:11], exec
; %bb.123:                              ;   in Loop: Header=BB31_12 Depth=1
	s_or_b64 exec, exec, s[16:17]
	s_and_b64 exec, exec, s[12:13]
	s_cbranch_execz .LBB31_146
; %bb.124:                              ;   in Loop: Header=BB31_12 Depth=1
	scratch_load_dword v3, off, off offset:80 ; 4-byte Folded Reload
	scratch_load_dwordx2 v[6:7], off, off offset:68 ; 8-byte Folded Reload
	s_waitcnt vmcnt(1)
	v_add_u32_e32 v4, v3, v143
	s_waitcnt vmcnt(0)
	v_or_b32_e32 v3, v6, v97
	v_cmp_gt_i32_e64 s[10:11], s28, v4
	v_cmp_gt_i32_e64 s[12:13], s3, v3
	s_and_b64 s[12:13], s[10:11], s[12:13]
	v_mov_b32_e32 v3, 0x47
	s_and_saveexec_b64 s[10:11], s[12:13]
	s_cbranch_execz .LBB31_126
; %bb.125:                              ;   in Loop: Header=BB31_12 Depth=1
	scratch_load_dwordx2 v[6:7], off, off offset:68 ; 8-byte Folded Reload
	s_waitcnt vmcnt(0)
	v_mad_u64_u32 v[4:5], s[12:13], v4, s29, v[6:7]
	scratch_load_dword v5, off, off offset:84 ; 4-byte Folded Reload
	v_lshl_add_u32 v4, v4, 7, v94
	s_waitcnt vmcnt(0)
	v_add_u32_e32 v3, v194, v5
	ds_read2st64_b32 v[6:7], v3 offset1:17
	v_add_u32_e32 v3, 0, v5
	ds_read2st64_b32 v[8:9], v3 offset0:1 offset1:18
	v_ashrrev_i32_e32 v5, 31, v4
	v_lshl_add_u64 v[4:5], v[4:5], 3, v[162:163]
	s_waitcnt lgkmcnt(1)
	v_cvt_f32_f16_e32 v10, v6
	v_cvt_f32_f16_sdwa v11, v6 dst_sel:DWORD dst_unused:UNUSED_PAD src0_sel:WORD_1
	v_cvt_f32_f16_e32 v6, v7
	v_cvt_f32_f16_sdwa v7, v7 dst_sel:DWORD dst_unused:UNUSED_PAD src0_sel:WORD_1
	v_mov_b32_e32 v3, 0
	s_waitcnt lgkmcnt(0)
	v_pk_fma_f32 v[10:11], v[8:9], v[10:11], 0 op_sel_hi:[0,1,0]
	v_mov_b32_e32 v8, v9
	v_pk_fma_f32 v[6:7], v[8:9], v[6:7], v[10:11] op_sel_hi:[0,1,1]
	global_store_dwordx2 v[4:5], v[6:7], off
.LBB31_126:                             ;   in Loop: Header=BB31_12 Depth=1
	s_or_b64 exec, exec, s[10:11]
	v_cmp_gt_i32_e64 s[10:11], s80, v3
	s_mov_b64 s[12:13], -1
	s_and_saveexec_b64 s[16:17], s[10:11]
; %bb.127:                              ;   in Loop: Header=BB31_12 Depth=1
	v_cmp_eq_u32_e64 s[10:11], 0, v3
	s_orn2_b64 s[12:13], s[10:11], exec
; %bb.128:                              ;   in Loop: Header=BB31_12 Depth=1
	s_or_b64 exec, exec, s[16:17]
	s_and_b64 exec, exec, s[12:13]
	s_cbranch_execz .LBB31_146
; %bb.129:                              ;   in Loop: Header=BB31_12 Depth=1
	scratch_load_dword v3, off, off offset:88 ; 4-byte Folded Reload
	s_waitcnt vmcnt(0)
	v_add_u32_e32 v4, v3, v143
	v_cmp_gt_i32_e64 s[10:11], s28, v4
	s_and_b64 s[12:13], s[10:11], vcc
	v_mov_b32_e32 v3, 0x47
	s_and_saveexec_b64 s[10:11], s[12:13]
	s_cbranch_execz .LBB31_131
; %bb.130:                              ;   in Loop: Header=BB31_12 Depth=1
	v_mad_u64_u32 v[4:5], s[12:13], v4, s29, v[140:141]
	scratch_load_dword v5, off, off offset:100 ; 4-byte Folded Reload
	v_lshl_add_u32 v4, v4, 7, v94
	s_waitcnt vmcnt(0)
	v_add_u32_e32 v3, v194, v5
	ds_read2st64_b32 v[6:7], v3 offset1:17
	v_add_u32_e32 v3, 0, v5
	ds_read2st64_b32 v[8:9], v3 offset0:1 offset1:18
	v_ashrrev_i32_e32 v5, 31, v4
	v_lshl_add_u64 v[4:5], v[4:5], 3, v[162:163]
	s_waitcnt lgkmcnt(1)
	v_cvt_f32_f16_e32 v10, v6
	v_cvt_f32_f16_sdwa v11, v6 dst_sel:DWORD dst_unused:UNUSED_PAD src0_sel:WORD_1
	v_cvt_f32_f16_e32 v6, v7
	v_cvt_f32_f16_sdwa v7, v7 dst_sel:DWORD dst_unused:UNUSED_PAD src0_sel:WORD_1
	v_mov_b32_e32 v3, 0
	s_waitcnt lgkmcnt(0)
	v_pk_fma_f32 v[10:11], v[8:9], v[10:11], 0 op_sel_hi:[0,1,0]
	v_mov_b32_e32 v8, v9
	v_pk_fma_f32 v[6:7], v[8:9], v[6:7], v[10:11] op_sel_hi:[0,1,1]
	global_store_dwordx2 v[4:5], v[6:7], off
.LBB31_131:                             ;   in Loop: Header=BB31_12 Depth=1
	s_or_b64 exec, exec, s[10:11]
	v_cmp_gt_i32_e64 s[10:11], s80, v3
	s_mov_b64 s[12:13], -1
	s_and_saveexec_b64 s[16:17], s[10:11]
; %bb.132:                              ;   in Loop: Header=BB31_12 Depth=1
	v_cmp_eq_u32_e64 s[10:11], 0, v3
	s_orn2_b64 s[12:13], s[10:11], exec
; %bb.133:                              ;   in Loop: Header=BB31_12 Depth=1
	s_or_b64 exec, exec, s[16:17]
	s_and_b64 exec, exec, s[12:13]
	s_cbranch_execz .LBB31_146
; %bb.134:                              ;   in Loop: Header=BB31_12 Depth=1
	scratch_load_dword v3, off, off offset:104 ; 4-byte Folded Reload
	scratch_load_dwordx2 v[6:7], off, off offset:92 ; 8-byte Folded Reload
	s_waitcnt vmcnt(1)
	v_add_u32_e32 v4, v3, v143
	s_waitcnt vmcnt(0)
	v_or_b32_e32 v3, v6, v97
	v_cmp_gt_i32_e64 s[10:11], s28, v4
	v_cmp_gt_i32_e64 s[12:13], s3, v3
	s_and_b64 s[12:13], s[10:11], s[12:13]
	v_mov_b32_e32 v3, 0x47
	s_and_saveexec_b64 s[10:11], s[12:13]
	s_cbranch_execz .LBB31_136
; %bb.135:                              ;   in Loop: Header=BB31_12 Depth=1
	scratch_load_dwordx2 v[6:7], off, off offset:92 ; 8-byte Folded Reload
	s_waitcnt vmcnt(0)
	v_mad_u64_u32 v[4:5], s[12:13], v4, s29, v[6:7]
	scratch_load_dword v5, off, off offset:108 ; 4-byte Folded Reload
	v_lshl_add_u32 v4, v4, 7, v94
	s_waitcnt vmcnt(0)
	v_add_u32_e32 v3, v194, v5
	ds_read2st64_b32 v[6:7], v3 offset1:17
	v_add_u32_e32 v3, 0, v5
	ds_read2st64_b32 v[8:9], v3 offset0:1 offset1:18
	v_ashrrev_i32_e32 v5, 31, v4
	v_lshl_add_u64 v[4:5], v[4:5], 3, v[162:163]
	s_waitcnt lgkmcnt(1)
	v_cvt_f32_f16_e32 v10, v6
	v_cvt_f32_f16_sdwa v11, v6 dst_sel:DWORD dst_unused:UNUSED_PAD src0_sel:WORD_1
	v_cvt_f32_f16_e32 v6, v7
	v_cvt_f32_f16_sdwa v7, v7 dst_sel:DWORD dst_unused:UNUSED_PAD src0_sel:WORD_1
	v_mov_b32_e32 v3, 0
	s_waitcnt lgkmcnt(0)
	v_pk_fma_f32 v[10:11], v[8:9], v[10:11], 0 op_sel_hi:[0,1,0]
	v_mov_b32_e32 v8, v9
	v_pk_fma_f32 v[6:7], v[8:9], v[6:7], v[10:11] op_sel_hi:[0,1,1]
	global_store_dwordx2 v[4:5], v[6:7], off
.LBB31_136:                             ;   in Loop: Header=BB31_12 Depth=1
	s_or_b64 exec, exec, s[10:11]
	v_cmp_gt_i32_e64 s[10:11], s80, v3
	s_mov_b64 s[12:13], -1
	s_and_saveexec_b64 s[16:17], s[10:11]
; %bb.137:                              ;   in Loop: Header=BB31_12 Depth=1
	v_cmp_eq_u32_e64 s[10:11], 0, v3
	s_orn2_b64 s[12:13], s[10:11], exec
; %bb.138:                              ;   in Loop: Header=BB31_12 Depth=1
	s_or_b64 exec, exec, s[16:17]
	s_and_b64 exec, exec, s[12:13]
	s_cbranch_execz .LBB31_146
; %bb.139:                              ;   in Loop: Header=BB31_12 Depth=1
	scratch_load_dword v3, off, off offset:112 ; 4-byte Folded Reload
	s_waitcnt vmcnt(0)
	v_add_u32_e32 v4, v3, v143
	v_cmp_gt_i32_e64 s[10:11], s28, v4
	s_and_b64 s[12:13], s[10:11], vcc
	v_mov_b32_e32 v3, 0x47
	s_and_saveexec_b64 s[10:11], s[12:13]
	s_cbranch_execz .LBB31_141
; %bb.140:                              ;   in Loop: Header=BB31_12 Depth=1
	v_mad_u64_u32 v[4:5], s[12:13], v4, s29, v[140:141]
	scratch_load_dword v5, off, off offset:124 ; 4-byte Folded Reload
	v_lshl_add_u32 v4, v4, 7, v94
	s_waitcnt vmcnt(0)
	v_add_u32_e32 v3, v194, v5
	ds_read2st64_b32 v[6:7], v3 offset1:17
	v_add_u32_e32 v3, 0, v5
	ds_read2st64_b32 v[8:9], v3 offset0:1 offset1:18
	v_ashrrev_i32_e32 v5, 31, v4
	v_lshl_add_u64 v[4:5], v[4:5], 3, v[162:163]
	s_waitcnt lgkmcnt(1)
	v_cvt_f32_f16_e32 v10, v6
	v_cvt_f32_f16_sdwa v11, v6 dst_sel:DWORD dst_unused:UNUSED_PAD src0_sel:WORD_1
	v_cvt_f32_f16_e32 v6, v7
	v_cvt_f32_f16_sdwa v7, v7 dst_sel:DWORD dst_unused:UNUSED_PAD src0_sel:WORD_1
	v_mov_b32_e32 v3, 0
	s_waitcnt lgkmcnt(0)
	v_pk_fma_f32 v[10:11], v[8:9], v[10:11], 0 op_sel_hi:[0,1,0]
	v_mov_b32_e32 v8, v9
	v_pk_fma_f32 v[6:7], v[8:9], v[6:7], v[10:11] op_sel_hi:[0,1,1]
	global_store_dwordx2 v[4:5], v[6:7], off
.LBB31_141:                             ;   in Loop: Header=BB31_12 Depth=1
	s_or_b64 exec, exec, s[10:11]
	v_cmp_gt_i32_e32 vcc, s80, v3
	s_mov_b64 s[10:11], -1
	s_and_saveexec_b64 s[12:13], vcc
; %bb.142:                              ;   in Loop: Header=BB31_12 Depth=1
	v_cmp_eq_u32_e32 vcc, 0, v3
	s_orn2_b64 s[10:11], vcc, exec
; %bb.143:                              ;   in Loop: Header=BB31_12 Depth=1
	s_or_b64 exec, exec, s[12:13]
	s_and_b64 exec, exec, s[10:11]
	s_cbranch_execz .LBB31_146
; %bb.144:                              ;   in Loop: Header=BB31_12 Depth=1
	scratch_load_dword v3, off, off offset:128 ; 4-byte Folded Reload
	scratch_load_dwordx2 v[4:5], off, off offset:116 ; 8-byte Folded Reload
	s_waitcnt vmcnt(1)
	v_add_u32_e32 v3, v3, v143
	s_waitcnt vmcnt(0)
	v_or_b32_e32 v4, v4, v97
	v_cmp_gt_i32_e32 vcc, s28, v3
	v_cmp_gt_i32_e64 s[10:11], s3, v4
	s_and_b64 s[10:11], vcc, s[10:11]
	s_and_b64 exec, exec, s[10:11]
	s_cbranch_execz .LBB31_146
; %bb.145:                              ;   in Loop: Header=BB31_12 Depth=1
	scratch_load_dwordx2 v[4:5], off, off offset:116 ; 8-byte Folded Reload
	s_waitcnt vmcnt(0)
	v_mad_u64_u32 v[4:5], s[10:11], v3, s29, v[4:5]
	scratch_load_dword v5, off, off offset:132 ; 4-byte Folded Reload
	v_lshl_add_u32 v4, v4, 7, v94
	s_waitcnt vmcnt(0)
	v_add_u32_e32 v3, v194, v5
	ds_read2st64_b32 v[6:7], v3 offset1:17
	v_add_u32_e32 v3, 0, v5
	ds_read2st64_b32 v[8:9], v3 offset0:1 offset1:18
	v_ashrrev_i32_e32 v5, 31, v4
	v_lshl_add_u64 v[4:5], v[4:5], 3, v[162:163]
	s_waitcnt lgkmcnt(1)
	v_cvt_f32_f16_e32 v10, v6
	v_cvt_f32_f16_sdwa v11, v6 dst_sel:DWORD dst_unused:UNUSED_PAD src0_sel:WORD_1
	v_cvt_f32_f16_e32 v6, v7
	v_cvt_f32_f16_sdwa v7, v7 dst_sel:DWORD dst_unused:UNUSED_PAD src0_sel:WORD_1
	s_waitcnt lgkmcnt(0)
	v_pk_fma_f32 v[10:11], v[8:9], v[10:11], 0 op_sel_hi:[0,1,0]
	v_mov_b32_e32 v8, v9
	v_pk_fma_f32 v[6:7], v[8:9], v[6:7], v[10:11] op_sel_hi:[0,1,1]
	global_store_dwordx2 v[4:5], v[6:7], off
.LBB31_146:                             ;   in Loop: Header=BB31_12 Depth=1
	s_or_b64 exec, exec, s[14:15]
	s_barrier
	ds_write2_b32 v202, v36, v13 offset1:1
	ds_write2_b32 v202, v40, v16 offset0:8 offset1:9
	ds_write2_b32 v202, v41, v20 offset0:16 offset1:17
	;; [unrolled: 1-line block ×7, first 2 shown]
	s_waitcnt lgkmcnt(0)
	s_barrier
	s_and_saveexec_b64 s[14:15], s[24:25]
	s_cbranch_execz .LBB31_224
; %bb.147:                              ;   in Loop: Header=BB31_12 Depth=1
	v_or_b32_e32 v3, v140, v97
	v_cmp_gt_i32_e64 s[10:11], s28, v2
	v_cmp_gt_i32_e32 vcc, s3, v3
	s_and_b64 s[12:13], s[10:11], vcc
	v_mov_b32_e32 v3, 0x47
	s_and_saveexec_b64 s[10:11], s[12:13]
	s_cbranch_execz .LBB31_149
; %bb.148:                              ;   in Loop: Header=BB31_12 Depth=1
	v_mad_u64_u32 v[2:3], s[12:13], v2, s29, v[140:141]
	v_add_u32_e32 v3, v194, v211
	ds_read2st64_b32 v[4:5], v3 offset1:17
	v_add_u32_e32 v3, 0, v211
	ds_read2st64_b32 v[6:7], v3 offset0:1 offset1:18
	v_lshl_add_u32 v2, v2, 7, v239
	v_ashrrev_i32_e32 v3, 31, v2
	s_waitcnt lgkmcnt(1)
	v_cvt_f32_f16_e32 v8, v4
	v_cvt_f32_f16_sdwa v9, v4 dst_sel:DWORD dst_unused:UNUSED_PAD src0_sel:WORD_1
	v_cvt_f32_f16_e32 v4, v5
	v_cvt_f32_f16_sdwa v5, v5 dst_sel:DWORD dst_unused:UNUSED_PAD src0_sel:WORD_1
	v_lshl_add_u64 v[2:3], v[2:3], 3, v[162:163]
	s_waitcnt lgkmcnt(0)
	v_pk_fma_f32 v[8:9], v[6:7], v[8:9], 0 op_sel_hi:[0,1,0]
	v_mov_b32_e32 v6, v7
	v_pk_fma_f32 v[4:5], v[6:7], v[4:5], v[8:9] op_sel_hi:[0,1,1]
	global_store_dwordx2 v[2:3], v[4:5], off
	v_mov_b32_e32 v3, 0
.LBB31_149:                             ;   in Loop: Header=BB31_12 Depth=1
	s_or_b64 exec, exec, s[10:11]
	v_cmp_gt_i32_e64 s[10:11], s80, v3
	s_mov_b64 s[12:13], -1
	s_and_saveexec_b64 s[16:17], s[10:11]
; %bb.150:                              ;   in Loop: Header=BB31_12 Depth=1
	v_cmp_eq_u32_e64 s[10:11], 0, v3
	s_orn2_b64 s[12:13], s[10:11], exec
; %bb.151:                              ;   in Loop: Header=BB31_12 Depth=1
	s_or_b64 exec, exec, s[16:17]
	s_and_b64 exec, exec, s[12:13]
	s_cbranch_execz .LBB31_224
; %bb.152:                              ;   in Loop: Header=BB31_12 Depth=1
	v_add_u32_e32 v3, v232, v143
	v_or_b32_e32 v2, v120, v97
	v_cmp_gt_i32_e64 s[10:11], s28, v3
	v_cmp_gt_i32_e64 s[12:13], s3, v2
	s_and_b64 s[12:13], s[10:11], s[12:13]
	v_mov_b32_e32 v2, 0x47
	s_and_saveexec_b64 s[10:11], s[12:13]
	s_cbranch_execz .LBB31_154
; %bb.153:                              ;   in Loop: Header=BB31_12 Depth=1
	v_mad_u64_u32 v[2:3], s[12:13], v3, s29, v[120:121]
	v_add_u32_e32 v3, v194, v212
	ds_read2st64_b32 v[4:5], v3 offset1:17
	v_add_u32_e32 v3, 0, v212
	ds_read2st64_b32 v[6:7], v3 offset0:1 offset1:18
	v_lshl_add_u32 v2, v2, 7, v239
	v_ashrrev_i32_e32 v3, 31, v2
	s_waitcnt lgkmcnt(1)
	v_cvt_f32_f16_e32 v8, v4
	v_cvt_f32_f16_sdwa v9, v4 dst_sel:DWORD dst_unused:UNUSED_PAD src0_sel:WORD_1
	v_cvt_f32_f16_e32 v4, v5
	v_cvt_f32_f16_sdwa v5, v5 dst_sel:DWORD dst_unused:UNUSED_PAD src0_sel:WORD_1
	v_lshl_add_u64 v[2:3], v[2:3], 3, v[162:163]
	s_waitcnt lgkmcnt(0)
	v_pk_fma_f32 v[8:9], v[6:7], v[8:9], 0 op_sel_hi:[0,1,0]
	v_mov_b32_e32 v6, v7
	v_pk_fma_f32 v[4:5], v[6:7], v[4:5], v[8:9] op_sel_hi:[0,1,1]
	global_store_dwordx2 v[2:3], v[4:5], off
	v_mov_b32_e32 v2, 0
.LBB31_154:                             ;   in Loop: Header=BB31_12 Depth=1
	s_or_b64 exec, exec, s[10:11]
	v_cmp_gt_i32_e64 s[10:11], s80, v2
	s_mov_b64 s[12:13], -1
	s_and_saveexec_b64 s[16:17], s[10:11]
; %bb.155:                              ;   in Loop: Header=BB31_12 Depth=1
	v_cmp_eq_u32_e64 s[10:11], 0, v2
	s_orn2_b64 s[12:13], s[10:11], exec
; %bb.156:                              ;   in Loop: Header=BB31_12 Depth=1
	s_or_b64 exec, exec, s[16:17]
	s_and_b64 exec, exec, s[12:13]
	s_cbranch_execz .LBB31_224
; %bb.157:                              ;   in Loop: Header=BB31_12 Depth=1
	v_add_u32_e32 v3, v213, v143
	v_cmp_gt_i32_e64 s[10:11], s28, v3
	s_and_b64 s[12:13], s[10:11], vcc
	v_mov_b32_e32 v2, 0x47
	s_and_saveexec_b64 s[10:11], s[12:13]
	s_cbranch_execz .LBB31_159
; %bb.158:                              ;   in Loop: Header=BB31_12 Depth=1
	v_mad_u64_u32 v[2:3], s[12:13], v3, s29, v[140:141]
	v_add_u32_e32 v3, v194, v214
	ds_read2st64_b32 v[4:5], v3 offset1:17
	v_add_u32_e32 v3, 0, v214
	ds_read2st64_b32 v[6:7], v3 offset0:1 offset1:18
	v_lshl_add_u32 v2, v2, 7, v239
	v_ashrrev_i32_e32 v3, 31, v2
	s_waitcnt lgkmcnt(1)
	v_cvt_f32_f16_e32 v8, v4
	v_cvt_f32_f16_sdwa v9, v4 dst_sel:DWORD dst_unused:UNUSED_PAD src0_sel:WORD_1
	v_cvt_f32_f16_e32 v4, v5
	v_cvt_f32_f16_sdwa v5, v5 dst_sel:DWORD dst_unused:UNUSED_PAD src0_sel:WORD_1
	v_lshl_add_u64 v[2:3], v[2:3], 3, v[162:163]
	s_waitcnt lgkmcnt(0)
	v_pk_fma_f32 v[8:9], v[6:7], v[8:9], 0 op_sel_hi:[0,1,0]
	v_mov_b32_e32 v6, v7
	v_pk_fma_f32 v[4:5], v[6:7], v[4:5], v[8:9] op_sel_hi:[0,1,1]
	global_store_dwordx2 v[2:3], v[4:5], off
	v_mov_b32_e32 v2, 0
.LBB31_159:                             ;   in Loop: Header=BB31_12 Depth=1
	s_or_b64 exec, exec, s[10:11]
	v_cmp_gt_i32_e64 s[10:11], s80, v2
	s_mov_b64 s[12:13], -1
	s_and_saveexec_b64 s[16:17], s[10:11]
; %bb.160:                              ;   in Loop: Header=BB31_12 Depth=1
	v_cmp_eq_u32_e64 s[10:11], 0, v2
	s_orn2_b64 s[12:13], s[10:11], exec
; %bb.161:                              ;   in Loop: Header=BB31_12 Depth=1
	s_or_b64 exec, exec, s[16:17]
	s_and_b64 exec, exec, s[12:13]
	s_cbranch_execz .LBB31_224
; %bb.162:                              ;   in Loop: Header=BB31_12 Depth=1
	v_add_u32_e32 v3, v134, v143
	v_or_b32_e32 v2, v122, v97
	v_cmp_gt_i32_e64 s[10:11], s28, v3
	v_cmp_gt_i32_e64 s[12:13], s3, v2
	s_and_b64 s[12:13], s[10:11], s[12:13]
	v_mov_b32_e32 v2, 0x47
	s_and_saveexec_b64 s[10:11], s[12:13]
	s_cbranch_execz .LBB31_164
; %bb.163:                              ;   in Loop: Header=BB31_12 Depth=1
	v_mad_u64_u32 v[2:3], s[12:13], v3, s29, v[122:123]
	v_add_u32_e32 v3, v194, v215
	ds_read2st64_b32 v[4:5], v3 offset1:17
	v_add_u32_e32 v3, 0, v215
	ds_read2st64_b32 v[6:7], v3 offset0:1 offset1:18
	v_lshl_add_u32 v2, v2, 7, v239
	v_ashrrev_i32_e32 v3, 31, v2
	s_waitcnt lgkmcnt(1)
	v_cvt_f32_f16_e32 v8, v4
	v_cvt_f32_f16_sdwa v9, v4 dst_sel:DWORD dst_unused:UNUSED_PAD src0_sel:WORD_1
	v_cvt_f32_f16_e32 v4, v5
	v_cvt_f32_f16_sdwa v5, v5 dst_sel:DWORD dst_unused:UNUSED_PAD src0_sel:WORD_1
	v_lshl_add_u64 v[2:3], v[2:3], 3, v[162:163]
	s_waitcnt lgkmcnt(0)
	v_pk_fma_f32 v[8:9], v[6:7], v[8:9], 0 op_sel_hi:[0,1,0]
	v_mov_b32_e32 v6, v7
	v_pk_fma_f32 v[4:5], v[6:7], v[4:5], v[8:9] op_sel_hi:[0,1,1]
	global_store_dwordx2 v[2:3], v[4:5], off
	v_mov_b32_e32 v2, 0
.LBB31_164:                             ;   in Loop: Header=BB31_12 Depth=1
	s_or_b64 exec, exec, s[10:11]
	v_cmp_gt_i32_e64 s[10:11], s80, v2
	s_mov_b64 s[12:13], -1
	s_and_saveexec_b64 s[16:17], s[10:11]
; %bb.165:                              ;   in Loop: Header=BB31_12 Depth=1
	v_cmp_eq_u32_e64 s[10:11], 0, v2
	s_orn2_b64 s[12:13], s[10:11], exec
; %bb.166:                              ;   in Loop: Header=BB31_12 Depth=1
	s_or_b64 exec, exec, s[16:17]
	s_and_b64 exec, exec, s[12:13]
	s_cbranch_execz .LBB31_224
; %bb.167:                              ;   in Loop: Header=BB31_12 Depth=1
	v_add_u32_e32 v3, v216, v143
	v_cmp_gt_i32_e64 s[10:11], s28, v3
	s_and_b64 s[12:13], s[10:11], vcc
	v_mov_b32_e32 v2, 0x47
	s_and_saveexec_b64 s[10:11], s[12:13]
	s_cbranch_execz .LBB31_169
; %bb.168:                              ;   in Loop: Header=BB31_12 Depth=1
	v_mad_u64_u32 v[2:3], s[12:13], v3, s29, v[140:141]
	v_add_u32_e32 v3, v194, v217
	ds_read2st64_b32 v[4:5], v3 offset1:17
	v_add_u32_e32 v3, 0, v217
	ds_read2st64_b32 v[6:7], v3 offset0:1 offset1:18
	v_lshl_add_u32 v2, v2, 7, v239
	v_ashrrev_i32_e32 v3, 31, v2
	s_waitcnt lgkmcnt(1)
	v_cvt_f32_f16_e32 v8, v4
	v_cvt_f32_f16_sdwa v9, v4 dst_sel:DWORD dst_unused:UNUSED_PAD src0_sel:WORD_1
	v_cvt_f32_f16_e32 v4, v5
	v_cvt_f32_f16_sdwa v5, v5 dst_sel:DWORD dst_unused:UNUSED_PAD src0_sel:WORD_1
	v_lshl_add_u64 v[2:3], v[2:3], 3, v[162:163]
	s_waitcnt lgkmcnt(0)
	v_pk_fma_f32 v[8:9], v[6:7], v[8:9], 0 op_sel_hi:[0,1,0]
	v_mov_b32_e32 v6, v7
	v_pk_fma_f32 v[4:5], v[6:7], v[4:5], v[8:9] op_sel_hi:[0,1,1]
	global_store_dwordx2 v[2:3], v[4:5], off
	v_mov_b32_e32 v2, 0
.LBB31_169:                             ;   in Loop: Header=BB31_12 Depth=1
	s_or_b64 exec, exec, s[10:11]
	v_cmp_gt_i32_e64 s[10:11], s80, v2
	s_mov_b64 s[12:13], -1
	s_and_saveexec_b64 s[16:17], s[10:11]
; %bb.170:                              ;   in Loop: Header=BB31_12 Depth=1
	v_cmp_eq_u32_e64 s[10:11], 0, v2
	s_orn2_b64 s[12:13], s[10:11], exec
; %bb.171:                              ;   in Loop: Header=BB31_12 Depth=1
	s_or_b64 exec, exec, s[16:17]
	s_and_b64 exec, exec, s[12:13]
	s_cbranch_execz .LBB31_224
; %bb.172:                              ;   in Loop: Header=BB31_12 Depth=1
	scratch_load_dword v2, off, off offset:8 ; 4-byte Folded Reload
	scratch_load_dwordx2 v[4:5], off, off   ; 8-byte Folded Reload
	s_waitcnt vmcnt(1)
	v_add_u32_e32 v3, v2, v143
	s_waitcnt vmcnt(0)
	v_or_b32_e32 v2, v4, v97
	v_cmp_gt_i32_e64 s[10:11], s28, v3
	v_cmp_gt_i32_e64 s[12:13], s3, v2
	s_and_b64 s[12:13], s[10:11], s[12:13]
	v_mov_b32_e32 v2, 0x47
	s_and_saveexec_b64 s[10:11], s[12:13]
	s_cbranch_execz .LBB31_174
; %bb.173:                              ;   in Loop: Header=BB31_12 Depth=1
	scratch_load_dwordx2 v[4:5], off, off   ; 8-byte Folded Reload
	scratch_load_dword v6, off, off offset:12 ; 4-byte Folded Reload
	s_waitcnt vmcnt(1)
	v_mad_u64_u32 v[2:3], s[12:13], v3, s29, v[4:5]
	s_waitcnt vmcnt(0)
	v_add_u32_e32 v3, v194, v6
	ds_read2st64_b32 v[4:5], v3 offset1:17
	v_add_u32_e32 v3, 0, v6
	ds_read2st64_b32 v[6:7], v3 offset0:1 offset1:18
	v_lshl_add_u32 v2, v2, 7, v239
	v_ashrrev_i32_e32 v3, 31, v2
	s_waitcnt lgkmcnt(1)
	v_cvt_f32_f16_e32 v8, v4
	v_cvt_f32_f16_sdwa v9, v4 dst_sel:DWORD dst_unused:UNUSED_PAD src0_sel:WORD_1
	v_cvt_f32_f16_e32 v4, v5
	v_cvt_f32_f16_sdwa v5, v5 dst_sel:DWORD dst_unused:UNUSED_PAD src0_sel:WORD_1
	v_lshl_add_u64 v[2:3], v[2:3], 3, v[162:163]
	s_waitcnt lgkmcnt(0)
	v_pk_fma_f32 v[8:9], v[6:7], v[8:9], 0 op_sel_hi:[0,1,0]
	v_mov_b32_e32 v6, v7
	v_pk_fma_f32 v[4:5], v[6:7], v[4:5], v[8:9] op_sel_hi:[0,1,1]
	global_store_dwordx2 v[2:3], v[4:5], off
	v_mov_b32_e32 v2, 0
.LBB31_174:                             ;   in Loop: Header=BB31_12 Depth=1
	s_or_b64 exec, exec, s[10:11]
	v_cmp_gt_i32_e64 s[10:11], s80, v2
	s_mov_b64 s[12:13], -1
	s_and_saveexec_b64 s[16:17], s[10:11]
; %bb.175:                              ;   in Loop: Header=BB31_12 Depth=1
	v_cmp_eq_u32_e64 s[10:11], 0, v2
	s_orn2_b64 s[12:13], s[10:11], exec
; %bb.176:                              ;   in Loop: Header=BB31_12 Depth=1
	s_or_b64 exec, exec, s[16:17]
	s_and_b64 exec, exec, s[12:13]
	s_cbranch_execz .LBB31_224
; %bb.177:                              ;   in Loop: Header=BB31_12 Depth=1
	scratch_load_dword v2, off, off offset:16 ; 4-byte Folded Reload
	s_waitcnt vmcnt(0)
	v_add_u32_e32 v3, v2, v143
	v_cmp_gt_i32_e64 s[10:11], s28, v3
	s_and_b64 s[12:13], s[10:11], vcc
	v_mov_b32_e32 v2, 0x47
	s_and_saveexec_b64 s[10:11], s[12:13]
	s_cbranch_execz .LBB31_179
; %bb.178:                              ;   in Loop: Header=BB31_12 Depth=1
	scratch_load_dword v6, off, off offset:28 ; 4-byte Folded Reload
	v_mad_u64_u32 v[2:3], s[12:13], v3, s29, v[140:141]
	v_lshl_add_u32 v2, v2, 7, v239
	s_waitcnt vmcnt(0)
	v_add_u32_e32 v3, v194, v6
	ds_read2st64_b32 v[4:5], v3 offset1:17
	v_add_u32_e32 v3, 0, v6
	ds_read2st64_b32 v[6:7], v3 offset0:1 offset1:18
	v_ashrrev_i32_e32 v3, 31, v2
	v_lshl_add_u64 v[2:3], v[2:3], 3, v[162:163]
	s_waitcnt lgkmcnt(1)
	v_cvt_f32_f16_e32 v8, v4
	v_cvt_f32_f16_sdwa v9, v4 dst_sel:DWORD dst_unused:UNUSED_PAD src0_sel:WORD_1
	v_cvt_f32_f16_e32 v4, v5
	v_cvt_f32_f16_sdwa v5, v5 dst_sel:DWORD dst_unused:UNUSED_PAD src0_sel:WORD_1
	s_waitcnt lgkmcnt(0)
	v_pk_fma_f32 v[8:9], v[6:7], v[8:9], 0 op_sel_hi:[0,1,0]
	v_mov_b32_e32 v6, v7
	v_pk_fma_f32 v[4:5], v[6:7], v[4:5], v[8:9] op_sel_hi:[0,1,1]
	global_store_dwordx2 v[2:3], v[4:5], off
	v_mov_b32_e32 v2, 0
.LBB31_179:                             ;   in Loop: Header=BB31_12 Depth=1
	s_or_b64 exec, exec, s[10:11]
	v_cmp_gt_i32_e64 s[10:11], s80, v2
	s_mov_b64 s[12:13], -1
	s_and_saveexec_b64 s[16:17], s[10:11]
; %bb.180:                              ;   in Loop: Header=BB31_12 Depth=1
	v_cmp_eq_u32_e64 s[10:11], 0, v2
	s_orn2_b64 s[12:13], s[10:11], exec
; %bb.181:                              ;   in Loop: Header=BB31_12 Depth=1
	s_or_b64 exec, exec, s[16:17]
	s_and_b64 exec, exec, s[12:13]
	s_cbranch_execz .LBB31_224
; %bb.182:                              ;   in Loop: Header=BB31_12 Depth=1
	scratch_load_dword v2, off, off offset:32 ; 4-byte Folded Reload
	scratch_load_dwordx2 v[4:5], off, off offset:20 ; 8-byte Folded Reload
	s_waitcnt vmcnt(1)
	v_add_u32_e32 v3, v2, v143
	s_waitcnt vmcnt(0)
	v_or_b32_e32 v2, v4, v97
	v_cmp_gt_i32_e64 s[10:11], s28, v3
	v_cmp_gt_i32_e64 s[12:13], s3, v2
	s_and_b64 s[12:13], s[10:11], s[12:13]
	v_mov_b32_e32 v2, 0x47
	s_and_saveexec_b64 s[10:11], s[12:13]
	s_cbranch_execz .LBB31_184
; %bb.183:                              ;   in Loop: Header=BB31_12 Depth=1
	scratch_load_dwordx2 v[4:5], off, off offset:20 ; 8-byte Folded Reload
	scratch_load_dword v6, off, off offset:36 ; 4-byte Folded Reload
	s_waitcnt vmcnt(1)
	v_mad_u64_u32 v[2:3], s[12:13], v3, s29, v[4:5]
	s_waitcnt vmcnt(0)
	v_add_u32_e32 v3, v194, v6
	ds_read2st64_b32 v[4:5], v3 offset1:17
	v_add_u32_e32 v3, 0, v6
	ds_read2st64_b32 v[6:7], v3 offset0:1 offset1:18
	v_lshl_add_u32 v2, v2, 7, v239
	v_ashrrev_i32_e32 v3, 31, v2
	s_waitcnt lgkmcnt(1)
	v_cvt_f32_f16_e32 v8, v4
	v_cvt_f32_f16_sdwa v9, v4 dst_sel:DWORD dst_unused:UNUSED_PAD src0_sel:WORD_1
	v_cvt_f32_f16_e32 v4, v5
	v_cvt_f32_f16_sdwa v5, v5 dst_sel:DWORD dst_unused:UNUSED_PAD src0_sel:WORD_1
	v_lshl_add_u64 v[2:3], v[2:3], 3, v[162:163]
	s_waitcnt lgkmcnt(0)
	v_pk_fma_f32 v[8:9], v[6:7], v[8:9], 0 op_sel_hi:[0,1,0]
	v_mov_b32_e32 v6, v7
	v_pk_fma_f32 v[4:5], v[6:7], v[4:5], v[8:9] op_sel_hi:[0,1,1]
	global_store_dwordx2 v[2:3], v[4:5], off
	v_mov_b32_e32 v2, 0
.LBB31_184:                             ;   in Loop: Header=BB31_12 Depth=1
	s_or_b64 exec, exec, s[10:11]
	v_cmp_gt_i32_e64 s[10:11], s80, v2
	s_mov_b64 s[12:13], -1
	s_and_saveexec_b64 s[16:17], s[10:11]
; %bb.185:                              ;   in Loop: Header=BB31_12 Depth=1
	v_cmp_eq_u32_e64 s[10:11], 0, v2
	s_orn2_b64 s[12:13], s[10:11], exec
; %bb.186:                              ;   in Loop: Header=BB31_12 Depth=1
	s_or_b64 exec, exec, s[16:17]
	s_and_b64 exec, exec, s[12:13]
	s_cbranch_execz .LBB31_224
; %bb.187:                              ;   in Loop: Header=BB31_12 Depth=1
	scratch_load_dword v2, off, off offset:40 ; 4-byte Folded Reload
	s_waitcnt vmcnt(0)
	v_add_u32_e32 v3, v2, v143
	v_cmp_gt_i32_e64 s[10:11], s28, v3
	s_and_b64 s[12:13], s[10:11], vcc
	v_mov_b32_e32 v2, 0x47
	s_and_saveexec_b64 s[10:11], s[12:13]
	s_cbranch_execz .LBB31_189
; %bb.188:                              ;   in Loop: Header=BB31_12 Depth=1
	scratch_load_dword v6, off, off offset:52 ; 4-byte Folded Reload
	v_mad_u64_u32 v[2:3], s[12:13], v3, s29, v[140:141]
	v_lshl_add_u32 v2, v2, 7, v239
	s_waitcnt vmcnt(0)
	v_add_u32_e32 v3, v194, v6
	ds_read2st64_b32 v[4:5], v3 offset1:17
	v_add_u32_e32 v3, 0, v6
	ds_read2st64_b32 v[6:7], v3 offset0:1 offset1:18
	v_ashrrev_i32_e32 v3, 31, v2
	v_lshl_add_u64 v[2:3], v[2:3], 3, v[162:163]
	s_waitcnt lgkmcnt(1)
	v_cvt_f32_f16_e32 v8, v4
	v_cvt_f32_f16_sdwa v9, v4 dst_sel:DWORD dst_unused:UNUSED_PAD src0_sel:WORD_1
	v_cvt_f32_f16_e32 v4, v5
	v_cvt_f32_f16_sdwa v5, v5 dst_sel:DWORD dst_unused:UNUSED_PAD src0_sel:WORD_1
	s_waitcnt lgkmcnt(0)
	v_pk_fma_f32 v[8:9], v[6:7], v[8:9], 0 op_sel_hi:[0,1,0]
	v_mov_b32_e32 v6, v7
	v_pk_fma_f32 v[4:5], v[6:7], v[4:5], v[8:9] op_sel_hi:[0,1,1]
	global_store_dwordx2 v[2:3], v[4:5], off
	v_mov_b32_e32 v2, 0
.LBB31_189:                             ;   in Loop: Header=BB31_12 Depth=1
	s_or_b64 exec, exec, s[10:11]
	v_cmp_gt_i32_e64 s[10:11], s80, v2
	s_mov_b64 s[12:13], -1
	s_and_saveexec_b64 s[16:17], s[10:11]
; %bb.190:                              ;   in Loop: Header=BB31_12 Depth=1
	v_cmp_eq_u32_e64 s[10:11], 0, v2
	s_orn2_b64 s[12:13], s[10:11], exec
; %bb.191:                              ;   in Loop: Header=BB31_12 Depth=1
	s_or_b64 exec, exec, s[16:17]
	s_and_b64 exec, exec, s[12:13]
	s_cbranch_execz .LBB31_224
; %bb.192:                              ;   in Loop: Header=BB31_12 Depth=1
	scratch_load_dword v2, off, off offset:56 ; 4-byte Folded Reload
	scratch_load_dwordx2 v[4:5], off, off offset:44 ; 8-byte Folded Reload
	s_waitcnt vmcnt(1)
	v_add_u32_e32 v3, v2, v143
	s_waitcnt vmcnt(0)
	v_or_b32_e32 v2, v4, v97
	v_cmp_gt_i32_e64 s[10:11], s28, v3
	v_cmp_gt_i32_e64 s[12:13], s3, v2
	s_and_b64 s[12:13], s[10:11], s[12:13]
	v_mov_b32_e32 v2, 0x47
	s_and_saveexec_b64 s[10:11], s[12:13]
	s_cbranch_execz .LBB31_194
; %bb.193:                              ;   in Loop: Header=BB31_12 Depth=1
	scratch_load_dwordx2 v[4:5], off, off offset:44 ; 8-byte Folded Reload
	scratch_load_dword v6, off, off offset:60 ; 4-byte Folded Reload
	s_waitcnt vmcnt(1)
	v_mad_u64_u32 v[2:3], s[12:13], v3, s29, v[4:5]
	s_waitcnt vmcnt(0)
	v_add_u32_e32 v3, v194, v6
	ds_read2st64_b32 v[4:5], v3 offset1:17
	v_add_u32_e32 v3, 0, v6
	ds_read2st64_b32 v[6:7], v3 offset0:1 offset1:18
	v_lshl_add_u32 v2, v2, 7, v239
	v_ashrrev_i32_e32 v3, 31, v2
	s_waitcnt lgkmcnt(1)
	v_cvt_f32_f16_e32 v8, v4
	v_cvt_f32_f16_sdwa v9, v4 dst_sel:DWORD dst_unused:UNUSED_PAD src0_sel:WORD_1
	v_cvt_f32_f16_e32 v4, v5
	v_cvt_f32_f16_sdwa v5, v5 dst_sel:DWORD dst_unused:UNUSED_PAD src0_sel:WORD_1
	v_lshl_add_u64 v[2:3], v[2:3], 3, v[162:163]
	s_waitcnt lgkmcnt(0)
	v_pk_fma_f32 v[8:9], v[6:7], v[8:9], 0 op_sel_hi:[0,1,0]
	v_mov_b32_e32 v6, v7
	v_pk_fma_f32 v[4:5], v[6:7], v[4:5], v[8:9] op_sel_hi:[0,1,1]
	global_store_dwordx2 v[2:3], v[4:5], off
	v_mov_b32_e32 v2, 0
.LBB31_194:                             ;   in Loop: Header=BB31_12 Depth=1
	s_or_b64 exec, exec, s[10:11]
	v_cmp_gt_i32_e64 s[10:11], s80, v2
	s_mov_b64 s[12:13], -1
	s_and_saveexec_b64 s[16:17], s[10:11]
; %bb.195:                              ;   in Loop: Header=BB31_12 Depth=1
	v_cmp_eq_u32_e64 s[10:11], 0, v2
	s_orn2_b64 s[12:13], s[10:11], exec
; %bb.196:                              ;   in Loop: Header=BB31_12 Depth=1
	s_or_b64 exec, exec, s[16:17]
	s_and_b64 exec, exec, s[12:13]
	s_cbranch_execz .LBB31_224
; %bb.197:                              ;   in Loop: Header=BB31_12 Depth=1
	scratch_load_dword v2, off, off offset:64 ; 4-byte Folded Reload
	s_waitcnt vmcnt(0)
	v_add_u32_e32 v3, v2, v143
	v_cmp_gt_i32_e64 s[10:11], s28, v3
	s_and_b64 s[12:13], s[10:11], vcc
	v_mov_b32_e32 v2, 0x47
	s_and_saveexec_b64 s[10:11], s[12:13]
	s_cbranch_execz .LBB31_199
; %bb.198:                              ;   in Loop: Header=BB31_12 Depth=1
	scratch_load_dword v6, off, off offset:76 ; 4-byte Folded Reload
	v_mad_u64_u32 v[2:3], s[12:13], v3, s29, v[140:141]
	v_lshl_add_u32 v2, v2, 7, v239
	s_waitcnt vmcnt(0)
	v_add_u32_e32 v3, v194, v6
	ds_read2st64_b32 v[4:5], v3 offset1:17
	v_add_u32_e32 v3, 0, v6
	ds_read2st64_b32 v[6:7], v3 offset0:1 offset1:18
	v_ashrrev_i32_e32 v3, 31, v2
	v_lshl_add_u64 v[2:3], v[2:3], 3, v[162:163]
	s_waitcnt lgkmcnt(1)
	v_cvt_f32_f16_e32 v8, v4
	v_cvt_f32_f16_sdwa v9, v4 dst_sel:DWORD dst_unused:UNUSED_PAD src0_sel:WORD_1
	v_cvt_f32_f16_e32 v4, v5
	v_cvt_f32_f16_sdwa v5, v5 dst_sel:DWORD dst_unused:UNUSED_PAD src0_sel:WORD_1
	s_waitcnt lgkmcnt(0)
	v_pk_fma_f32 v[8:9], v[6:7], v[8:9], 0 op_sel_hi:[0,1,0]
	v_mov_b32_e32 v6, v7
	v_pk_fma_f32 v[4:5], v[6:7], v[4:5], v[8:9] op_sel_hi:[0,1,1]
	global_store_dwordx2 v[2:3], v[4:5], off
	v_mov_b32_e32 v2, 0
.LBB31_199:                             ;   in Loop: Header=BB31_12 Depth=1
	s_or_b64 exec, exec, s[10:11]
	v_cmp_gt_i32_e64 s[10:11], s80, v2
	s_mov_b64 s[12:13], -1
	s_and_saveexec_b64 s[16:17], s[10:11]
; %bb.200:                              ;   in Loop: Header=BB31_12 Depth=1
	v_cmp_eq_u32_e64 s[10:11], 0, v2
	s_orn2_b64 s[12:13], s[10:11], exec
; %bb.201:                              ;   in Loop: Header=BB31_12 Depth=1
	s_or_b64 exec, exec, s[16:17]
	s_and_b64 exec, exec, s[12:13]
	s_cbranch_execz .LBB31_224
; %bb.202:                              ;   in Loop: Header=BB31_12 Depth=1
	scratch_load_dword v2, off, off offset:80 ; 4-byte Folded Reload
	scratch_load_dwordx2 v[4:5], off, off offset:68 ; 8-byte Folded Reload
	s_waitcnt vmcnt(1)
	v_add_u32_e32 v3, v2, v143
	s_waitcnt vmcnt(0)
	v_or_b32_e32 v2, v4, v97
	v_cmp_gt_i32_e64 s[10:11], s28, v3
	v_cmp_gt_i32_e64 s[12:13], s3, v2
	s_and_b64 s[12:13], s[10:11], s[12:13]
	v_mov_b32_e32 v2, 0x47
	s_and_saveexec_b64 s[10:11], s[12:13]
	s_cbranch_execz .LBB31_204
; %bb.203:                              ;   in Loop: Header=BB31_12 Depth=1
	scratch_load_dwordx2 v[4:5], off, off offset:68 ; 8-byte Folded Reload
	scratch_load_dword v6, off, off offset:84 ; 4-byte Folded Reload
	s_waitcnt vmcnt(1)
	v_mad_u64_u32 v[2:3], s[12:13], v3, s29, v[4:5]
	s_waitcnt vmcnt(0)
	v_add_u32_e32 v3, v194, v6
	ds_read2st64_b32 v[4:5], v3 offset1:17
	v_add_u32_e32 v3, 0, v6
	ds_read2st64_b32 v[6:7], v3 offset0:1 offset1:18
	v_lshl_add_u32 v2, v2, 7, v239
	v_ashrrev_i32_e32 v3, 31, v2
	s_waitcnt lgkmcnt(1)
	v_cvt_f32_f16_e32 v8, v4
	v_cvt_f32_f16_sdwa v9, v4 dst_sel:DWORD dst_unused:UNUSED_PAD src0_sel:WORD_1
	v_cvt_f32_f16_e32 v4, v5
	v_cvt_f32_f16_sdwa v5, v5 dst_sel:DWORD dst_unused:UNUSED_PAD src0_sel:WORD_1
	v_lshl_add_u64 v[2:3], v[2:3], 3, v[162:163]
	s_waitcnt lgkmcnt(0)
	v_pk_fma_f32 v[8:9], v[6:7], v[8:9], 0 op_sel_hi:[0,1,0]
	v_mov_b32_e32 v6, v7
	v_pk_fma_f32 v[4:5], v[6:7], v[4:5], v[8:9] op_sel_hi:[0,1,1]
	global_store_dwordx2 v[2:3], v[4:5], off
	v_mov_b32_e32 v2, 0
.LBB31_204:                             ;   in Loop: Header=BB31_12 Depth=1
	s_or_b64 exec, exec, s[10:11]
	v_cmp_gt_i32_e64 s[10:11], s80, v2
	s_mov_b64 s[12:13], -1
	s_and_saveexec_b64 s[16:17], s[10:11]
; %bb.205:                              ;   in Loop: Header=BB31_12 Depth=1
	v_cmp_eq_u32_e64 s[10:11], 0, v2
	s_orn2_b64 s[12:13], s[10:11], exec
; %bb.206:                              ;   in Loop: Header=BB31_12 Depth=1
	s_or_b64 exec, exec, s[16:17]
	s_and_b64 exec, exec, s[12:13]
	s_cbranch_execz .LBB31_224
; %bb.207:                              ;   in Loop: Header=BB31_12 Depth=1
	scratch_load_dword v2, off, off offset:88 ; 4-byte Folded Reload
	s_waitcnt vmcnt(0)
	v_add_u32_e32 v3, v2, v143
	v_cmp_gt_i32_e64 s[10:11], s28, v3
	s_and_b64 s[12:13], s[10:11], vcc
	v_mov_b32_e32 v2, 0x47
	s_and_saveexec_b64 s[10:11], s[12:13]
	s_cbranch_execz .LBB31_209
; %bb.208:                              ;   in Loop: Header=BB31_12 Depth=1
	scratch_load_dword v6, off, off offset:100 ; 4-byte Folded Reload
	v_mad_u64_u32 v[2:3], s[12:13], v3, s29, v[140:141]
	v_lshl_add_u32 v2, v2, 7, v239
	s_waitcnt vmcnt(0)
	v_add_u32_e32 v3, v194, v6
	ds_read2st64_b32 v[4:5], v3 offset1:17
	v_add_u32_e32 v3, 0, v6
	ds_read2st64_b32 v[6:7], v3 offset0:1 offset1:18
	v_ashrrev_i32_e32 v3, 31, v2
	v_lshl_add_u64 v[2:3], v[2:3], 3, v[162:163]
	s_waitcnt lgkmcnt(1)
	v_cvt_f32_f16_e32 v8, v4
	v_cvt_f32_f16_sdwa v9, v4 dst_sel:DWORD dst_unused:UNUSED_PAD src0_sel:WORD_1
	v_cvt_f32_f16_e32 v4, v5
	v_cvt_f32_f16_sdwa v5, v5 dst_sel:DWORD dst_unused:UNUSED_PAD src0_sel:WORD_1
	s_waitcnt lgkmcnt(0)
	v_pk_fma_f32 v[8:9], v[6:7], v[8:9], 0 op_sel_hi:[0,1,0]
	v_mov_b32_e32 v6, v7
	v_pk_fma_f32 v[4:5], v[6:7], v[4:5], v[8:9] op_sel_hi:[0,1,1]
	global_store_dwordx2 v[2:3], v[4:5], off
	v_mov_b32_e32 v2, 0
.LBB31_209:                             ;   in Loop: Header=BB31_12 Depth=1
	s_or_b64 exec, exec, s[10:11]
	v_cmp_gt_i32_e64 s[10:11], s80, v2
	s_mov_b64 s[12:13], -1
	s_and_saveexec_b64 s[16:17], s[10:11]
; %bb.210:                              ;   in Loop: Header=BB31_12 Depth=1
	v_cmp_eq_u32_e64 s[10:11], 0, v2
	s_orn2_b64 s[12:13], s[10:11], exec
; %bb.211:                              ;   in Loop: Header=BB31_12 Depth=1
	s_or_b64 exec, exec, s[16:17]
	s_and_b64 exec, exec, s[12:13]
	s_cbranch_execz .LBB31_224
; %bb.212:                              ;   in Loop: Header=BB31_12 Depth=1
	scratch_load_dword v2, off, off offset:104 ; 4-byte Folded Reload
	scratch_load_dwordx2 v[4:5], off, off offset:92 ; 8-byte Folded Reload
	s_waitcnt vmcnt(1)
	v_add_u32_e32 v3, v2, v143
	s_waitcnt vmcnt(0)
	v_or_b32_e32 v2, v4, v97
	v_cmp_gt_i32_e64 s[10:11], s28, v3
	v_cmp_gt_i32_e64 s[12:13], s3, v2
	s_and_b64 s[12:13], s[10:11], s[12:13]
	v_mov_b32_e32 v2, 0x47
	s_and_saveexec_b64 s[10:11], s[12:13]
	s_cbranch_execz .LBB31_214
; %bb.213:                              ;   in Loop: Header=BB31_12 Depth=1
	scratch_load_dwordx2 v[4:5], off, off offset:92 ; 8-byte Folded Reload
	scratch_load_dword v6, off, off offset:108 ; 4-byte Folded Reload
	s_waitcnt vmcnt(1)
	v_mad_u64_u32 v[2:3], s[12:13], v3, s29, v[4:5]
	s_waitcnt vmcnt(0)
	v_add_u32_e32 v3, v194, v6
	ds_read2st64_b32 v[4:5], v3 offset1:17
	v_add_u32_e32 v3, 0, v6
	ds_read2st64_b32 v[6:7], v3 offset0:1 offset1:18
	v_lshl_add_u32 v2, v2, 7, v239
	v_ashrrev_i32_e32 v3, 31, v2
	s_waitcnt lgkmcnt(1)
	v_cvt_f32_f16_e32 v8, v4
	v_cvt_f32_f16_sdwa v9, v4 dst_sel:DWORD dst_unused:UNUSED_PAD src0_sel:WORD_1
	v_cvt_f32_f16_e32 v4, v5
	v_cvt_f32_f16_sdwa v5, v5 dst_sel:DWORD dst_unused:UNUSED_PAD src0_sel:WORD_1
	v_lshl_add_u64 v[2:3], v[2:3], 3, v[162:163]
	s_waitcnt lgkmcnt(0)
	v_pk_fma_f32 v[8:9], v[6:7], v[8:9], 0 op_sel_hi:[0,1,0]
	v_mov_b32_e32 v6, v7
	v_pk_fma_f32 v[4:5], v[6:7], v[4:5], v[8:9] op_sel_hi:[0,1,1]
	global_store_dwordx2 v[2:3], v[4:5], off
	v_mov_b32_e32 v2, 0
.LBB31_214:                             ;   in Loop: Header=BB31_12 Depth=1
	s_or_b64 exec, exec, s[10:11]
	v_cmp_gt_i32_e64 s[10:11], s80, v2
	s_mov_b64 s[12:13], -1
	s_and_saveexec_b64 s[16:17], s[10:11]
; %bb.215:                              ;   in Loop: Header=BB31_12 Depth=1
	v_cmp_eq_u32_e64 s[10:11], 0, v2
	s_orn2_b64 s[12:13], s[10:11], exec
; %bb.216:                              ;   in Loop: Header=BB31_12 Depth=1
	s_or_b64 exec, exec, s[16:17]
	s_and_b64 exec, exec, s[12:13]
	s_cbranch_execz .LBB31_224
; %bb.217:                              ;   in Loop: Header=BB31_12 Depth=1
	scratch_load_dword v2, off, off offset:112 ; 4-byte Folded Reload
	s_waitcnt vmcnt(0)
	v_add_u32_e32 v3, v2, v143
	v_cmp_gt_i32_e64 s[10:11], s28, v3
	s_and_b64 s[12:13], s[10:11], vcc
	v_mov_b32_e32 v2, 0x47
	s_and_saveexec_b64 s[10:11], s[12:13]
	s_cbranch_execz .LBB31_219
; %bb.218:                              ;   in Loop: Header=BB31_12 Depth=1
	scratch_load_dword v6, off, off offset:124 ; 4-byte Folded Reload
	v_mad_u64_u32 v[2:3], s[12:13], v3, s29, v[140:141]
	v_lshl_add_u32 v2, v2, 7, v239
	s_waitcnt vmcnt(0)
	v_add_u32_e32 v3, v194, v6
	ds_read2st64_b32 v[4:5], v3 offset1:17
	v_add_u32_e32 v3, 0, v6
	ds_read2st64_b32 v[6:7], v3 offset0:1 offset1:18
	v_ashrrev_i32_e32 v3, 31, v2
	v_lshl_add_u64 v[2:3], v[2:3], 3, v[162:163]
	s_waitcnt lgkmcnt(1)
	v_cvt_f32_f16_e32 v8, v4
	v_cvt_f32_f16_sdwa v9, v4 dst_sel:DWORD dst_unused:UNUSED_PAD src0_sel:WORD_1
	v_cvt_f32_f16_e32 v4, v5
	v_cvt_f32_f16_sdwa v5, v5 dst_sel:DWORD dst_unused:UNUSED_PAD src0_sel:WORD_1
	s_waitcnt lgkmcnt(0)
	v_pk_fma_f32 v[8:9], v[6:7], v[8:9], 0 op_sel_hi:[0,1,0]
	v_mov_b32_e32 v6, v7
	v_pk_fma_f32 v[4:5], v[6:7], v[4:5], v[8:9] op_sel_hi:[0,1,1]
	global_store_dwordx2 v[2:3], v[4:5], off
	v_mov_b32_e32 v2, 0
.LBB31_219:                             ;   in Loop: Header=BB31_12 Depth=1
	s_or_b64 exec, exec, s[10:11]
	v_cmp_gt_i32_e32 vcc, s80, v2
	s_mov_b64 s[10:11], -1
	s_and_saveexec_b64 s[12:13], vcc
; %bb.220:                              ;   in Loop: Header=BB31_12 Depth=1
	v_cmp_eq_u32_e32 vcc, 0, v2
	s_orn2_b64 s[10:11], vcc, exec
; %bb.221:                              ;   in Loop: Header=BB31_12 Depth=1
	s_or_b64 exec, exec, s[12:13]
	s_and_b64 exec, exec, s[10:11]
	s_cbranch_execz .LBB31_224
; %bb.222:                              ;   in Loop: Header=BB31_12 Depth=1
	scratch_load_dword v2, off, off offset:128 ; 4-byte Folded Reload
	scratch_load_dwordx2 v[4:5], off, off offset:116 ; 8-byte Folded Reload
	s_waitcnt vmcnt(1)
	v_add_u32_e32 v2, v2, v143
	s_waitcnt vmcnt(0)
	v_or_b32_e32 v3, v4, v97
	v_cmp_gt_i32_e32 vcc, s28, v2
	v_cmp_gt_i32_e64 s[10:11], s3, v3
	s_and_b64 s[10:11], vcc, s[10:11]
	s_and_b64 exec, exec, s[10:11]
	s_cbranch_execz .LBB31_224
; %bb.223:                              ;   in Loop: Header=BB31_12 Depth=1
	scratch_load_dwordx2 v[4:5], off, off offset:116 ; 8-byte Folded Reload
	scratch_load_dword v6, off, off offset:132 ; 4-byte Folded Reload
	s_waitcnt vmcnt(1)
	v_mad_u64_u32 v[2:3], s[10:11], v2, s29, v[4:5]
	s_waitcnt vmcnt(0)
	v_add_u32_e32 v3, v194, v6
	ds_read2st64_b32 v[4:5], v3 offset1:17
	v_add_u32_e32 v3, 0, v6
	ds_read2st64_b32 v[6:7], v3 offset0:1 offset1:18
	v_lshl_add_u32 v2, v2, 7, v239
	v_ashrrev_i32_e32 v3, 31, v2
	s_waitcnt lgkmcnt(1)
	v_cvt_f32_f16_e32 v8, v4
	v_cvt_f32_f16_sdwa v9, v4 dst_sel:DWORD dst_unused:UNUSED_PAD src0_sel:WORD_1
	v_cvt_f32_f16_e32 v4, v5
	v_cvt_f32_f16_sdwa v5, v5 dst_sel:DWORD dst_unused:UNUSED_PAD src0_sel:WORD_1
	v_lshl_add_u64 v[2:3], v[2:3], 3, v[162:163]
	s_waitcnt lgkmcnt(0)
	v_pk_fma_f32 v[8:9], v[6:7], v[8:9], 0 op_sel_hi:[0,1,0]
	v_mov_b32_e32 v6, v7
	v_pk_fma_f32 v[4:5], v[6:7], v[4:5], v[8:9] op_sel_hi:[0,1,1]
	global_store_dwordx2 v[2:3], v[4:5], off
.LBB31_224:                             ;   in Loop: Header=BB31_12 Depth=1
	s_or_b64 exec, exec, s[14:15]
	s_barrier
	s_branch .LBB31_11
.LBB31_225:                             ;   in Loop: Header=BB31_12 Depth=1
	v_cmp_le_i32_e64 s[10:11], s28, v190
	v_cmp_le_i32_e64 s[12:13], s3, v191
	v_cmp_gt_i32_e32 vcc, s3, v191
	s_or_b64 s[10:11], s[10:11], s[12:13]
	s_and_saveexec_b64 s[12:13], s[10:11]
	s_xor_b64 s[10:11], exec, s[12:13]
; %bb.226:                              ;   in Loop: Header=BB31_12 Depth=1
	v_add_u32_e32 v2, v194, v240
	ds_write2st64_b32 v2, v99, v99 offset1:1
                                        ; implicit-def: $vgpr190
; %bb.227:                              ;   in Loop: Header=BB31_12 Depth=1
	s_andn2_saveexec_b64 s[10:11], s[10:11]
	s_cbranch_execz .LBB31_229
; %bb.228:                              ;   in Loop: Header=BB31_12 Depth=1
	v_mad_u64_u32 v[2:3], s[12:13], v190, s69, v[142:143]
	v_ashrrev_i32_e32 v3, 31, v2
	v_lshl_add_u64 v[2:3], v[2:3], 3, v[182:183]
	global_load_dwordx2 v[4:5], v[2:3], off
	s_nop 0
	global_load_dwordx2 v[2:3], v[2:3], off offset:512
	s_waitcnt vmcnt(1)
	v_cvt_pk_f16_f32 v4, v4, v5
	s_waitcnt vmcnt(0)
	v_cvt_pk_f16_f32 v2, v2, v3
	v_pk_mul_f16 v3, v4, v235
	v_pk_mul_f16 v2, v2, v235
	ds_write2st64_b32 v241, v3, v2 offset1:1
.LBB31_229:                             ;   in Loop: Header=BB31_12 Depth=1
	s_or_b64 exec, exec, s[10:11]
	v_add_u32_e32 v2, v242, v143
	v_cmp_le_i32_e64 s[10:11], s28, v2
	s_xor_b64 s[12:13], vcc, -1
	s_or_b64 s[10:11], s[10:11], s[12:13]
	s_and_saveexec_b64 s[14:15], s[10:11]
	s_xor_b64 s[10:11], exec, s[14:15]
; %bb.230:                              ;   in Loop: Header=BB31_12 Depth=1
	v_add_u32_e32 v2, v194, v240
	v_add_u32_e32 v2, 0x80, v2
	ds_write2st64_b32 v2, v99, v99 offset0:16 offset1:17
                                        ; implicit-def: $vgpr2
; %bb.231:                              ;   in Loop: Header=BB31_12 Depth=1
	s_andn2_saveexec_b64 s[10:11], s[10:11]
	s_cbranch_execz .LBB31_233
; %bb.232:                              ;   in Loop: Header=BB31_12 Depth=1
	v_mad_u64_u32 v[2:3], s[14:15], v2, s69, v[142:143]
	v_ashrrev_i32_e32 v3, 31, v2
	v_lshl_add_u64 v[2:3], v[2:3], 3, v[182:183]
	global_load_dwordx2 v[4:5], v[2:3], off
	s_nop 0
	global_load_dwordx2 v[2:3], v[2:3], off offset:512
	s_waitcnt vmcnt(1)
	v_cvt_pk_f16_f32 v4, v4, v5
	s_waitcnt vmcnt(0)
	v_cvt_pk_f16_f32 v2, v2, v3
	v_pk_mul_f16 v3, v4, v235
	v_pk_mul_f16 v2, v2, v235
	ds_write2st64_b32 v243, v3, v2 offset1:1
.LBB31_233:                             ;   in Loop: Header=BB31_12 Depth=1
	s_or_b64 exec, exec, s[10:11]
	v_add_u32_e32 v2, v244, v143
	v_cmp_le_i32_e32 vcc, s28, v2
	s_or_b64 s[10:11], vcc, s[12:13]
	s_and_saveexec_b64 s[14:15], s[10:11]
	s_xor_b64 s[10:11], exec, s[14:15]
; %bb.234:                              ;   in Loop: Header=BB31_12 Depth=1
	v_add_u32_e32 v2, v194, v240
	ds_write2st64_b32 v2, v99, v99 offset0:33 offset1:34
                                        ; implicit-def: $vgpr2
; %bb.235:                              ;   in Loop: Header=BB31_12 Depth=1
	s_andn2_saveexec_b64 s[10:11], s[10:11]
	s_cbranch_execz .LBB31_237
; %bb.236:                              ;   in Loop: Header=BB31_12 Depth=1
	v_mad_u64_u32 v[2:3], s[14:15], v2, s69, v[142:143]
	v_ashrrev_i32_e32 v3, 31, v2
	v_lshl_add_u64 v[2:3], v[2:3], 3, v[182:183]
	global_load_dwordx2 v[4:5], v[2:3], off
	s_nop 0
	global_load_dwordx2 v[2:3], v[2:3], off offset:512
	s_waitcnt vmcnt(1)
	v_cvt_pk_f16_f32 v4, v4, v5
	s_waitcnt vmcnt(0)
	v_cvt_pk_f16_f32 v2, v2, v3
	v_pk_mul_f16 v3, v4, v235
	v_pk_mul_f16 v2, v2, v235
	ds_write2st64_b32 v245, v3, v2 offset1:1
.LBB31_237:                             ;   in Loop: Header=BB31_12 Depth=1
	s_or_b64 exec, exec, s[10:11]
	v_add_u32_e32 v2, v246, v143
	v_cmp_le_i32_e32 vcc, s28, v2
	s_or_b64 s[10:11], vcc, s[12:13]
	s_and_saveexec_b64 s[14:15], s[10:11]
	s_xor_b64 s[10:11], exec, s[14:15]
; %bb.238:                              ;   in Loop: Header=BB31_12 Depth=1
	v_add_u32_e32 v2, v194, v240
	v_add_u32_e32 v2, 0x80, v2
	ds_write2st64_b32 v2, v99, v99 offset0:49 offset1:50
                                        ; implicit-def: $vgpr2
; %bb.239:                              ;   in Loop: Header=BB31_12 Depth=1
	s_andn2_saveexec_b64 s[10:11], s[10:11]
	s_cbranch_execz .LBB31_241
; %bb.240:                              ;   in Loop: Header=BB31_12 Depth=1
	v_mad_u64_u32 v[2:3], s[14:15], v2, s69, v[142:143]
	v_ashrrev_i32_e32 v3, 31, v2
	v_lshl_add_u64 v[2:3], v[2:3], 3, v[182:183]
	global_load_dwordx2 v[4:5], v[2:3], off
	s_nop 0
	global_load_dwordx2 v[2:3], v[2:3], off offset:512
	s_waitcnt vmcnt(1)
	v_cvt_pk_f16_f32 v4, v4, v5
	s_waitcnt vmcnt(0)
	v_cvt_pk_f16_f32 v2, v2, v3
	v_pk_mul_f16 v3, v4, v235
	v_pk_mul_f16 v2, v2, v235
	ds_write2st64_b32 v247, v3, v2 offset1:1
.LBB31_241:                             ;   in Loop: Header=BB31_12 Depth=1
	s_or_b64 exec, exec, s[10:11]
	v_add_u32_e32 v2, v248, v143
	v_cmp_le_i32_e32 vcc, s28, v2
	s_or_b64 s[10:11], vcc, s[12:13]
	s_and_saveexec_b64 s[14:15], s[10:11]
	s_xor_b64 s[10:11], exec, s[14:15]
; %bb.242:                              ;   in Loop: Header=BB31_12 Depth=1
	v_add_u32_e32 v2, v194, v240
	ds_write2st64_b32 v2, v99, v99 offset0:66 offset1:67
                                        ; implicit-def: $vgpr2
; %bb.243:                              ;   in Loop: Header=BB31_12 Depth=1
	s_andn2_saveexec_b64 s[10:11], s[10:11]
	s_cbranch_execz .LBB31_245
; %bb.244:                              ;   in Loop: Header=BB31_12 Depth=1
	v_mad_u64_u32 v[2:3], s[14:15], v2, s69, v[142:143]
	v_ashrrev_i32_e32 v3, 31, v2
	v_lshl_add_u64 v[2:3], v[2:3], 3, v[182:183]
	global_load_dwordx2 v[4:5], v[2:3], off
	s_nop 0
	global_load_dwordx2 v[2:3], v[2:3], off offset:512
	s_waitcnt vmcnt(1)
	v_cvt_pk_f16_f32 v4, v4, v5
	s_waitcnt vmcnt(0)
	v_cvt_pk_f16_f32 v2, v2, v3
	v_pk_mul_f16 v3, v4, v235
	v_pk_mul_f16 v2, v2, v235
	ds_write2st64_b32 v249, v3, v2 offset1:1
.LBB31_245:                             ;   in Loop: Header=BB31_12 Depth=1
	s_or_b64 exec, exec, s[10:11]
	v_add_u32_e32 v2, v250, v143
	v_cmp_le_i32_e32 vcc, s28, v2
	s_or_b64 s[10:11], vcc, s[12:13]
	;; [unrolled: 57-line block ×3, first 2 shown]
	s_and_saveexec_b64 s[12:13], s[10:11]
	s_xor_b64 s[10:11], exec, s[12:13]
; %bb.254:                              ;   in Loop: Header=BB31_12 Depth=1
	v_add_u32_e32 v2, v194, v240
	v_add_u32_e32 v2, 0x80, v2
	ds_write2st64_b32 v2, v99, v99 offset0:115 offset1:116
                                        ; implicit-def: $vgpr2
                                        ; implicit-def: $vgpr182_vgpr183
; %bb.255:                              ;   in Loop: Header=BB31_12 Depth=1
	s_andn2_saveexec_b64 s[10:11], s[10:11]
	s_cbranch_execz .LBB31_257
; %bb.256:                              ;   in Loop: Header=BB31_12 Depth=1
	v_mad_u64_u32 v[2:3], s[12:13], v2, s69, v[142:143]
	v_ashrrev_i32_e32 v3, 31, v2
	v_lshl_add_u64 v[2:3], v[2:3], 3, v[182:183]
	global_load_dwordx2 v[4:5], v[2:3], off
	s_nop 0
	global_load_dwordx2 v[2:3], v[2:3], off offset:512
	s_waitcnt vmcnt(1)
	v_cvt_pk_f16_f32 v4, v4, v5
	s_waitcnt vmcnt(0)
	v_cvt_pk_f16_f32 v2, v2, v3
	v_pk_mul_f16 v3, v4, v235
	v_pk_mul_f16 v2, v2, v235
	ds_write2st64_b32 v233, v3, v2 offset1:1
.LBB31_257:                             ;   in Loop: Header=BB31_12 Depth=1
	s_or_b64 exec, exec, s[10:11]
	s_waitcnt lgkmcnt(0)
	s_barrier
	ds_read2_b64 v[30:33], v195 offset1:4
	ds_read2_b64 v[26:29], v195 offset0:8 offset1:12
	ds_read2_b64 v[22:25], v195 offset0:16 offset1:20
	;; [unrolled: 1-line block ×7, first 2 shown]
	s_cmp_lt_i32 s33, 2
	s_waitcnt lgkmcnt(0)
	s_barrier
	s_cbranch_scc1 .LBB31_262
; %bb.258:                              ;   in Loop: Header=BB31_12 Depth=1
	v_add_u32_e32 v34, v143, v196
	v_mul_hi_u32 v35, s34, v34
	v_add_u32_e32 v35, v34, v35
	v_lshrrev_b32_e32 v35, s35, v35
	v_mul_lo_u32 v35, v35, s28
	v_sub_u32_e32 v34, v34, v35
	v_and_b32_e32 v35, 64, v234
	v_add_u32_e32 v35, 64, v35
	v_xor_b32_e32 v36, 32, v234
	v_cmp_lt_i32_e32 vcc, v36, v35
	v_readlane_b32 s10, v255, 5
	v_readlane_b32 s11, v255, 6
	v_cndmask_b32_e32 v36, v234, v36, vcc
	v_lshlrev_b32_e32 v98, 2, v36
	v_xor_b32_e32 v36, 16, v234
	v_cmp_lt_i32_e32 vcc, v36, v35
	s_add_i32 s12, s33, -1
	v_mov_b32_e32 v190, 0
	v_cndmask_b32_e32 v35, v234, v36, vcc
	v_lshlrev_b32_e32 v225, 2, v35
	v_mad_i64_i32 v[34:35], s[10:11], s10, v34, v[176:177]
	v_lshl_add_u64 v[176:177], v[144:145], 0, v[34:35]
	v_lshl_add_u64 v[34:35], v[178:179], 0, v[180:181]
	;; [unrolled: 1-line block ×11, first 2 shown]
	v_mov_b32_e32 v61, 0xfeffffff
	v_mov_b32_e32 v60, 0
	s_mov_b32 s13, s12
	v_mov_b32_e32 v191, 0
	v_mov_b32_e32 v91, 0
	;; [unrolled: 1-line block ×31, first 2 shown]
	s_and_saveexec_b64 s[10:11], s[0:1]
	s_cbranch_execz .LBB31_260
.LBB31_259:                             ;   in Loop: Header=BB31_12 Depth=1
	global_load_dword v34, v[176:177], off
	s_waitcnt vmcnt(0)
	ds_write_b32 v206, v34 offset:33792
.LBB31_260:                             ;   Parent Loop BB31_12 Depth=1
                                        ; =>  This Inner Loop Header: Depth=2
	s_or_b64 exec, exec, s[10:11]
	v_lshl_add_u64 v[34:35], v[172:173], 0, v[118:119]
	global_load_dwordx4 v[34:37], v[34:35], off
	v_lshl_add_u64 v[40:41], v[174:175], 0, v[118:119]
	v_lshl_add_u64 v[48:49], v[186:187], 0, v[118:119]
	;; [unrolled: 1-line block ×5, first 2 shown]
	s_add_i32 s13, s13, -1
	s_mov_b64 s[10:11], 0x80
	v_lshl_add_u64 v[176:177], v[176:177], 0, s[10:11]
	v_lshl_add_u64 v[182:183], v[182:183], 0, s[82:83]
	;; [unrolled: 1-line block ×7, first 2 shown]
	s_cmp_lg_u32 s13, 0
	s_waitcnt vmcnt(0)
	ds_write_b128 v197, v[34:37]
	global_load_dwordx4 v[34:37], v[40:41], off
	v_add_u32_e32 v40, 0x4000, v198
	s_waitcnt vmcnt(0)
	ds_write_b128 v236, v[34:37]
	global_load_dwordx4 v[34:37], v[48:49], off
	s_waitcnt vmcnt(0)
	ds_write_b128 v237, v[34:37]
	global_load_dwordx4 v[34:37], v[52:53], off
	s_waitcnt vmcnt(0)
	ds_write_b128 v238, v[34:37]
	s_waitcnt lgkmcnt(0)
	s_barrier
	ds_read2_b64 v[34:37], v198 offset1:4
	ds_read2_b64 v[124:127], v40 offset0:72 offset1:76
	s_waitcnt lgkmcnt(1)
	v_mfma_f32_16x16x16_f16 v[220:223], v[34:35], v[30:31], 0
	v_mfma_f32_16x16x16_f16 v[34:37], v[36:37], v[32:33], v[220:223]
	s_nop 6
	ds_read2_b64 v[220:223], v198 offset0:8 offset1:12
	s_waitcnt lgkmcnt(0)
	v_mfma_f32_16x16x16_f16 v[34:37], v[220:221], v[26:27], v[34:37]
	v_mfma_f32_16x16x16_f16 v[34:37], v[222:223], v[28:29], v[34:37]
	ds_read2_b64 v[220:223], v198 offset0:16 offset1:20
	s_waitcnt lgkmcnt(0)
	v_mfma_f32_16x16x16_f16 v[34:37], v[220:221], v[22:23], v[34:37]
	v_mfma_f32_16x16x16_f16 v[34:37], v[222:223], v[24:25], v[34:37]
	;; [unrolled: 4-line block ×8, first 2 shown]
	v_mfma_f32_16x16x16_f16 v[218:221], v[124:125], v[26:27], v[218:221]
	v_mfma_f32_16x16x16_f16 v[124:127], v[126:127], v[28:29], v[218:221]
	s_nop 6
	ds_read2_b64 v[218:221], v40 offset0:80 offset1:84
	s_waitcnt lgkmcnt(0)
	v_mfma_f32_16x16x16_f16 v[124:127], v[218:219], v[22:23], v[124:127]
	v_mfma_f32_16x16x16_f16 v[124:127], v[220:221], v[24:25], v[124:127]
	ds_read2_b64 v[218:221], v40 offset0:88 offset1:92
	s_waitcnt lgkmcnt(0)
	v_mfma_f32_16x16x16_f16 v[124:127], v[218:219], v[18:19], v[124:127]
	v_mfma_f32_16x16x16_f16 v[124:127], v[220:221], v[20:21], v[124:127]
	;; [unrolled: 4-line block ×5, first 2 shown]
	ds_read2_b64 v[218:221], v40 offset0:120 offset1:124
	v_add_u32_e32 v40, 0x8400, v199
	s_waitcnt lgkmcnt(0)
	s_barrier
	ds_read2_b32 v[40:41], v40 offset1:1
	v_mfma_f32_16x16x16_f16 v[124:127], v[218:219], v[2:3], v[124:127]
	s_waitcnt lgkmcnt(0)
	v_cvt_f32_f16_e32 v48, v40
	v_cvt_f32_f16_sdwa v40, v40 dst_sel:DWORD dst_unused:UNUSED_PAD src0_sel:WORD_1
	v_add_f32_e32 v34, v34, v48
	v_add_f32_e32 v35, v35, v40
	v_cvt_f32_f16_e32 v40, v41
	v_cvt_f32_f16_sdwa v41, v41 dst_sel:DWORD dst_unused:UNUSED_PAD src0_sel:WORD_1
	v_mfma_f32_16x16x16_f16 v[124:127], v[220:221], v[4:5], v[124:127]
	v_add_f32_e32 v36, v36, v40
	ds_read_b32 v40, v207 offset:33792
	v_add_f32_e32 v37, v37, v41
	v_add_f32_e32 v48, 0x40051340, v37
	s_waitcnt lgkmcnt(0)
	v_cvt_f32_f16_e32 v41, v40
	v_cvt_f32_f16_sdwa v40, v40 dst_sel:DWORD dst_unused:UNUSED_PAD src0_sel:WORD_1
	s_nop 0
	v_add_f32_e32 v49, v124, v41
	v_add_f32_e32 v53, v125, v40
	ds_read_b32 v40, v208 offset:33792
	s_waitcnt lgkmcnt(0)
	v_cvt_f32_f16_e32 v41, v40
	v_cvt_f32_f16_sdwa v40, v40 dst_sel:DWORD dst_unused:UNUSED_PAD src0_sel:WORD_1
	v_add_f32_e32 v56, v126, v41
	v_add_f32_e32 v57, v127, v40
	;; [unrolled: 1-line block ×4, first 2 shown]
	v_max3_f32 v40, v61, v40, v41
	v_add_f32_e32 v41, 0x40051340, v36
	v_max3_f32 v40, v40, v41, v48
	v_add_f32_e32 v41, 0x40051340, v49
	v_add_f32_e32 v48, 0x40051340, v53
	v_max3_f32 v40, v40, v41, v48
	v_add_f32_e32 v41, 0x40051340, v56
	v_add_f32_e32 v48, 0x40051340, v57
	v_max3_f32 v40, v40, v41, v48
	ds_bpermute_b32 v41, v98, v40
	s_waitcnt lgkmcnt(0)
	v_max_f32_e32 v41, v41, v41
	v_max_f32_e32 v40, v40, v41
	ds_bpermute_b32 v41, v225, v40
	s_waitcnt lgkmcnt(0)
	v_max_f32_e32 v41, v41, v41
	v_max_f32_e32 v132, v40, v41
	v_sub_f32_e32 v34, v34, v132
	v_mul_f32_e32 v40, 0x3fb8aa3b, v34
	v_fma_f32 v41, v34, s27, -v40
	v_rndne_f32_e32 v48, v40
	v_fmac_f32_e32 v41, 0x32a5705f, v34
	v_sub_f32_e32 v40, v40, v48
	v_add_f32_e32 v40, v40, v41
	v_exp_f32_e32 v40, v40
	v_cvt_i32_f32_e32 v41, v48
	v_cmp_ngt_f32_e32 vcc, s59, v34
	v_ldexp_f32 v40, v40, v41
	s_nop 0
	v_cndmask_b32_e32 v40, 0, v40, vcc
	v_cmp_nlt_f32_e32 vcc, s81, v34
	v_sub_f32_e32 v34, v35, v132
	v_mul_f32_e32 v35, 0x3fb8aa3b, v34
	v_fma_f32 v41, v34, s27, -v35
	v_rndne_f32_e32 v48, v35
	v_fmac_f32_e32 v41, 0x32a5705f, v34
	v_sub_f32_e32 v35, v35, v48
	v_add_f32_e32 v35, v35, v41
	v_exp_f32_e32 v35, v35
	v_cvt_i32_f32_e32 v41, v48
	v_cndmask_b32_e32 v40, v227, v40, vcc
	v_cmp_ngt_f32_e32 vcc, s59, v34
	v_ldexp_f32 v35, v35, v41
	s_nop 0
	v_cndmask_b32_e32 v35, 0, v35, vcc
	v_cmp_nlt_f32_e32 vcc, s81, v34
	s_nop 1
	v_cndmask_b32_e32 v41, v227, v35, vcc
	v_sub_f32_e32 v35, v36, v132
	v_mul_f32_e32 v36, 0x3fb8aa3b, v35
	v_fma_f32 v48, v35, s27, -v36
	v_rndne_f32_e32 v52, v36
	v_fmac_f32_e32 v48, 0x32a5705f, v35
	v_sub_f32_e32 v36, v36, v52
	v_add_f32_e32 v36, v36, v48
	v_exp_f32_e32 v36, v36
	v_cvt_i32_f32_e32 v48, v52
	v_cmp_ngt_f32_e32 vcc, s59, v35
	v_add_f32_e32 v34, v40, v41
	v_cvt_pk_f16_f32 v192, v40, v41
	v_ldexp_f32 v36, v36, v48
	v_cndmask_b32_e32 v36, 0, v36, vcc
	v_cmp_nlt_f32_e32 vcc, s81, v35
	v_sub_f32_e32 v35, v37, v132
	s_nop 0
	v_cndmask_b32_e32 v48, v227, v36, vcc
	v_mul_f32_e32 v36, 0x3fb8aa3b, v35
	v_fma_f32 v37, v35, s27, -v36
	v_rndne_f32_e32 v52, v36
	v_fmac_f32_e32 v37, 0x32a5705f, v35
	v_sub_f32_e32 v36, v36, v52
	v_add_f32_e32 v36, v36, v37
	v_exp_f32_e32 v36, v36
	v_cvt_i32_f32_e32 v37, v52
	v_cmp_ngt_f32_e32 vcc, s59, v35
	v_add_f32_e32 v34, v48, v34
	v_ldexp_f32 v36, v36, v37
	v_cndmask_b32_e32 v36, 0, v36, vcc
	v_cmp_nlt_f32_e32 vcc, s81, v35
	v_sub_f32_e32 v35, v49, v132
	s_nop 0
	v_cndmask_b32_e32 v52, v227, v36, vcc
	v_mul_f32_e32 v36, 0x3fb8aa3b, v35
	v_fma_f32 v37, v35, s27, -v36
	v_rndne_f32_e32 v49, v36
	v_fmac_f32_e32 v37, 0x32a5705f, v35
	v_sub_f32_e32 v36, v36, v49
	v_add_f32_e32 v36, v36, v37
	v_exp_f32_e32 v36, v36
	v_cvt_i32_f32_e32 v37, v49
	v_cmp_ngt_f32_e32 vcc, s59, v35
	v_add_f32_e32 v34, v52, v34
	v_cvt_pk_f16_f32 v193, v48, v52
	v_ldexp_f32 v36, v36, v37
	v_cndmask_b32_e32 v36, 0, v36, vcc
	v_cmp_nlt_f32_e32 vcc, s81, v35
	v_sub_f32_e32 v35, v53, v132
	s_nop 0
	v_cndmask_b32_e32 v49, v227, v36, vcc
	v_mul_f32_e32 v36, 0x3fb8aa3b, v35
	v_fma_f32 v37, v35, s27, -v36
	v_rndne_f32_e32 v53, v36
	v_fmac_f32_e32 v37, 0x32a5705f, v35
	v_sub_f32_e32 v36, v36, v53
	v_add_f32_e32 v36, v36, v37
	v_exp_f32_e32 v36, v36
	v_cvt_i32_f32_e32 v37, v53
	v_cmp_ngt_f32_e32 vcc, s59, v35
	v_add_f32_e32 v34, v49, v34
	v_ldexp_f32 v36, v36, v37
	v_cndmask_b32_e32 v36, 0, v36, vcc
	v_cmp_nlt_f32_e32 vcc, s81, v35
	v_sub_f32_e32 v35, v56, v132
	s_nop 0
	v_cndmask_b32_e32 v53, v227, v36, vcc
	v_mul_f32_e32 v36, 0x3fb8aa3b, v35
	v_fma_f32 v37, v35, s27, -v36
	v_rndne_f32_e32 v56, v36
	v_fmac_f32_e32 v37, 0x32a5705f, v35
	v_sub_f32_e32 v36, v36, v56
	v_add_f32_e32 v36, v36, v37
	v_exp_f32_e32 v36, v36
	v_cvt_i32_f32_e32 v37, v56
	v_cmp_ngt_f32_e32 vcc, s59, v35
	v_add_f32_e32 v34, v53, v34
	;; [unrolled: 16-line block ×3, first 2 shown]
	v_ldexp_f32 v36, v36, v37
	v_cndmask_b32_e32 v36, 0, v36, vcc
	v_cmp_nlt_f32_e32 vcc, s81, v35
	s_nop 1
	v_cndmask_b32_e32 v57, v227, v36, vcc
	v_add_f32_e32 v130, v57, v34
	v_sub_f32_e32 v34, v61, v132
	v_mul_f32_e32 v35, 0x3fb8aa3b, v34
	v_fma_f32 v36, v34, s27, -v35
	v_rndne_f32_e32 v37, v35
	v_fmac_f32_e32 v36, 0x32a5705f, v34
	v_sub_f32_e32 v35, v35, v37
	v_add_f32_e32 v35, v35, v36
	v_exp_f32_e32 v35, v35
	v_cvt_i32_f32_e32 v36, v37
	v_cmp_ngt_f32_e32 vcc, s59, v34
	v_ldexp_f32 v35, v35, v36
	s_nop 0
	v_cndmask_b32_e32 v35, 0, v35, vcc
	v_cmp_nlt_f32_e32 vcc, s81, v34
	s_nop 1
	v_cndmask_b32_e32 v35, v227, v35, vcc
	v_cmp_le_f32_e32 vcc, s70, v34
	s_nop 1
	v_cndmask_b32_e32 v34, 0, v35, vcc
	v_fmac_f32_e32 v130, v60, v34
	v_cvt_f16_f32_e32 v34, v34
	v_lshl_add_u64 v[60:61], v[180:181], 0, v[118:119]
	v_lshl_add_u64 v[180:181], v[180:181], 0, s[82:83]
	v_mul_u32_u24_e32 v34, 0x10001, v34
	v_pk_mul_f16 v45, v45, v34
	v_pk_mul_f16 v44, v44, v34
	;; [unrolled: 1-line block ×32, first 2 shown]
	v_lshl_add_u64 v[34:35], v[178:179], 0, v[118:119]
	global_load_dwordx4 v[34:37], v[34:35], off
	v_cvt_pk_f16_f32 v191, v56, v57
	v_cvt_pk_f16_f32 v190, v49, v53
	v_cvt_f32_f16_e32 v124, v39
	v_cvt_f32_f16_sdwa v125, v39 dst_sel:DWORD dst_unused:UNUSED_PAD src0_sel:WORD_1
	v_cvt_f32_f16_e32 v126, v38
	v_cvt_f32_f16_sdwa v127, v38 dst_sel:DWORD dst_unused:UNUSED_PAD src0_sel:WORD_1
	v_lshl_add_u64 v[178:179], v[178:179], 0, s[82:83]
	s_waitcnt vmcnt(0)
	ds_write_b128 v197, v[34:37]
	global_load_dwordx4 v[34:37], v[60:61], off
	s_waitcnt vmcnt(0)
	ds_write_b128 v236, v[34:37]
	global_load_dwordx4 v[34:37], v[64:65], off
	;; [unrolled: 3-line block ×3, first 2 shown]
	s_waitcnt vmcnt(0)
	ds_write_b128 v238, v[34:37]
	s_waitcnt lgkmcnt(0)
	s_barrier
	ds_read_u16 v60, v200 offset:528
	ds_read_u16 v61, v200 offset:1056
	v_cvt_f32_f16_e32 v36, v44
	v_cvt_f32_f16_sdwa v37, v44 dst_sel:DWORD dst_unused:UNUSED_PAD src0_sel:WORD_1
	ds_read_u16 v44, v201
	ds_read_u16 v64, v201 offset:32
	v_cvt_f32_f16_e32 v34, v45
	v_cvt_f32_f16_sdwa v35, v45 dst_sel:DWORD dst_unused:UNUSED_PAD src0_sel:WORD_1
	s_waitcnt lgkmcnt(1)
	v_perm_b32 v45, v44, v61, s73
	ds_read_u16 v44, v200
	ds_read_u16 v61, v200 offset:32
	s_waitcnt lgkmcnt(1)
	v_perm_b32 v44, v60, v44, s73
	s_nop 1
	v_mfma_f32_16x16x16_f16 v[34:37], v[44:45], v[192:193], v[34:37]
	ds_read_u16 v40, v200 offset:16896
	ds_read_u16 v44, v200 offset:17424
	;; [unrolled: 1-line block ×4, first 2 shown]
	s_nop 3
	v_cvt_f16_f32_e32 v34, v34
	v_cvt_f16_f32_e32 v35, v35
	;; [unrolled: 1-line block ×4, first 2 shown]
	s_waitcnt lgkmcnt(0)
	v_perm_b32 v41, v45, v41, s73
	v_perm_b32 v40, v44, v40, s73
	v_cvt_f32_f16_e32 v34, v34
	v_cvt_f32_f16_e32 v35, v35
	;; [unrolled: 1-line block ×4, first 2 shown]
	s_nop 1
	v_mfma_f32_16x16x16_f16 v[34:37], v[40:41], v[190:191], v[34:37]
	ds_read_u16 v40, v200 offset:560
	ds_read_u16 v41, v200 offset:1088
	;; [unrolled: 1-line block ×6, first 2 shown]
	s_waitcnt lgkmcnt(5)
	v_perm_b32 v38, v40, v61, s73
	s_waitcnt lgkmcnt(4)
	v_perm_b32 v39, v64, v41, s73
	;; [unrolled: 2-line block ×3, first 2 shown]
	v_perm_b32 v44, v48, v44, s73
	v_mfma_f32_16x16x16_f16 v[38:41], v[38:39], v[192:193], v[124:127]
	s_nop 2
	v_cvt_f32_f16_e32 v124, v43
	v_cvt_f32_f16_sdwa v125, v43 dst_sel:DWORD dst_unused:UNUSED_PAD src0_sel:WORD_1
	s_nop 2
	v_cvt_f16_f32_e32 v38, v38
	v_cvt_f16_f32_e32 v39, v39
	;; [unrolled: 1-line block ×4, first 2 shown]
	v_cvt_f32_f16_e32 v38, v38
	v_cvt_f32_f16_e32 v39, v39
	;; [unrolled: 1-line block ×5, first 2 shown]
	v_cvt_f32_f16_sdwa v127, v42 dst_sel:DWORD dst_unused:UNUSED_PAD src0_sel:WORD_1
	v_mfma_f32_16x16x16_f16 v[38:41], v[44:45], v[190:191], v[38:41]
	ds_read_u16 v44, v200 offset:64
	ds_read_u16 v45, v200 offset:592
	;; [unrolled: 1-line block ×4, first 2 shown]
	s_waitcnt lgkmcnt(2)
	v_perm_b32 v42, v45, v44, s73
	s_nop 1
	v_cvt_pk_f16_f32 v39, v38, v39
	s_waitcnt lgkmcnt(0)
	v_perm_b32 v43, v49, v48, s73
	ds_read_u16 v48, v200 offset:16960
	ds_read_u16 v52, v200 offset:17488
	ds_read_u16 v49, v200 offset:18016
	ds_read_u16 v53, v201 offset:16960
	v_mfma_f32_16x16x16_f16 v[42:45], v[42:43], v[192:193], v[124:127]
	s_waitcnt lgkmcnt(0)
	v_perm_b32 v49, v53, v49, s73
	v_perm_b32 v48, v52, v48, s73
	v_cvt_f32_f16_e32 v124, v47
	s_nop 3
	v_cvt_f16_f32_e32 v42, v42
	v_cvt_f16_f32_e32 v43, v43
	v_cvt_f16_f32_e32 v44, v44
	v_cvt_f16_f32_e32 v45, v45
	v_cvt_f32_f16_e32 v42, v42
	v_cvt_f32_f16_e32 v43, v43
	v_cvt_f32_f16_e32 v44, v44
	v_cvt_f32_f16_e32 v45, v45
	v_cvt_f32_f16_sdwa v125, v47 dst_sel:DWORD dst_unused:UNUSED_PAD src0_sel:WORD_1
	v_cvt_f32_f16_e32 v126, v46
	v_mfma_f32_16x16x16_f16 v[42:45], v[48:49], v[190:191], v[42:45]
	ds_read_u16 v48, v200 offset:96
	ds_read_u16 v49, v200 offset:624
	ds_read_u16 v52, v200 offset:1152
	ds_read_u16 v53, v201 offset:96
	v_cvt_f32_f16_sdwa v127, v46 dst_sel:DWORD dst_unused:UNUSED_PAD src0_sel:WORD_1
	v_cvt_pk_f16_f32 v38, v40, v41
	s_waitcnt lgkmcnt(2)
	v_perm_b32 v46, v49, v48, s73
	v_cvt_pk_f16_f32 v43, v42, v43
	s_waitcnt lgkmcnt(0)
	v_perm_b32 v47, v53, v52, s73
	ds_read_u16 v52, v200 offset:16992
	ds_read_u16 v56, v200 offset:17520
	ds_read_u16 v53, v200 offset:18048
	ds_read_u16 v57, v201 offset:16992
	v_mfma_f32_16x16x16_f16 v[46:49], v[46:47], v[192:193], v[124:127]
	s_waitcnt lgkmcnt(0)
	v_perm_b32 v53, v57, v53, s73
	v_perm_b32 v52, v56, v52, s73
	v_cvt_f32_f16_e32 v124, v51
	s_nop 3
	v_cvt_f16_f32_e32 v46, v46
	v_cvt_f16_f32_e32 v47, v47
	v_cvt_f16_f32_e32 v48, v48
	v_cvt_f16_f32_e32 v49, v49
	v_cvt_f32_f16_e32 v46, v46
	v_cvt_f32_f16_e32 v47, v47
	v_cvt_f32_f16_e32 v48, v48
	v_cvt_f32_f16_e32 v49, v49
	v_cvt_f32_f16_sdwa v125, v51 dst_sel:DWORD dst_unused:UNUSED_PAD src0_sel:WORD_1
	v_cvt_f32_f16_e32 v126, v50
	v_mfma_f32_16x16x16_f16 v[46:49], v[52:53], v[190:191], v[46:49]
	ds_read_u16 v52, v200 offset:128
	ds_read_u16 v53, v200 offset:656
	ds_read_u16 v56, v200 offset:1184
	ds_read_u16 v57, v201 offset:128
	v_cvt_f32_f16_sdwa v127, v50 dst_sel:DWORD dst_unused:UNUSED_PAD src0_sel:WORD_1
	v_cvt_pk_f16_f32 v42, v44, v45
	s_waitcnt lgkmcnt(2)
	v_perm_b32 v50, v53, v52, s73
	;; [unrolled: 32-line block ×5, first 2 shown]
	v_cvt_pk_f16_f32 v59, v58, v59
	s_waitcnt lgkmcnt(0)
	v_perm_b32 v63, v69, v68, s73
	v_cvt_pk_f16_f32 v58, v60, v61
	v_cvt_pk_f16_f32 v45, v34, v35
	v_mfma_f32_16x16x16_f16 v[124:127], v[62:63], v[192:193], v[124:127]
	ds_read_u16 v62, v200 offset:17120
	ds_read_u16 v63, v200 offset:17648
	;; [unrolled: 1-line block ×4, first 2 shown]
	v_cvt_pk_f16_f32 v44, v36, v37
	s_nop 2
	v_cvt_f16_f32_e32 v64, v124
	v_cvt_f16_f32_e32 v65, v125
	;; [unrolled: 1-line block ×4, first 2 shown]
	v_cvt_f32_f16_e32 v124, v64
	v_cvt_f32_f16_e32 v125, v65
	;; [unrolled: 1-line block ×4, first 2 shown]
	s_waitcnt lgkmcnt(0)
	v_perm_b32 v65, v73, v72, s73
	v_perm_b32 v64, v63, v62, s73
	ds_read_u16 v68, v200 offset:256
	ds_read_u16 v69, v200 offset:784
	;; [unrolled: 1-line block ×4, first 2 shown]
	v_mfma_f32_16x16x16_f16 v[62:65], v[64:65], v[190:191], v[124:127]
	s_nop 2
	v_cvt_f32_f16_e32 v124, v67
	v_cvt_f32_f16_sdwa v125, v67 dst_sel:DWORD dst_unused:UNUSED_PAD src0_sel:WORD_1
	v_cvt_f32_f16_e32 v126, v66
	v_cvt_f32_f16_sdwa v127, v66 dst_sel:DWORD dst_unused:UNUSED_PAD src0_sel:WORD_1
	s_waitcnt lgkmcnt(0)
	v_perm_b32 v67, v73, v72, s73
	v_perm_b32 v66, v69, v68, s73
	ds_read_u16 v72, v200 offset:17152
	ds_read_u16 v76, v200 offset:17680
	ds_read_u16 v73, v200 offset:18208
	ds_read_u16 v77, v201 offset:17152
	v_mfma_f32_16x16x16_f16 v[66:69], v[66:67], v[192:193], v[124:127]
	s_waitcnt lgkmcnt(0)
	v_perm_b32 v73, v77, v73, s73
	v_perm_b32 v72, v76, v72, s73
	v_cvt_f32_f16_e32 v124, v71
	s_nop 3
	v_cvt_f16_f32_e32 v66, v66
	v_cvt_f16_f32_e32 v67, v67
	v_cvt_f16_f32_e32 v68, v68
	v_cvt_f16_f32_e32 v69, v69
	v_cvt_f32_f16_e32 v66, v66
	v_cvt_f32_f16_e32 v67, v67
	v_cvt_f32_f16_e32 v68, v68
	v_cvt_f32_f16_e32 v69, v69
	v_cvt_f32_f16_sdwa v125, v71 dst_sel:DWORD dst_unused:UNUSED_PAD src0_sel:WORD_1
	v_cvt_f32_f16_e32 v126, v70
	v_mfma_f32_16x16x16_f16 v[66:69], v[72:73], v[190:191], v[66:69]
	ds_read_u16 v72, v200 offset:288
	ds_read_u16 v73, v200 offset:816
	ds_read_u16 v76, v200 offset:1344
	ds_read_u16 v77, v201 offset:288
	v_cvt_f32_f16_sdwa v127, v70 dst_sel:DWORD dst_unused:UNUSED_PAD src0_sel:WORD_1
	v_cvt_pk_f16_f32 v63, v62, v63
	s_waitcnt lgkmcnt(2)
	v_perm_b32 v70, v73, v72, s73
	v_cvt_pk_f16_f32 v67, v66, v67
	s_waitcnt lgkmcnt(0)
	v_perm_b32 v71, v77, v76, s73
	ds_read_u16 v76, v200 offset:17184
	ds_read_u16 v80, v200 offset:17712
	ds_read_u16 v77, v200 offset:18240
	ds_read_u16 v81, v201 offset:17184
	v_mfma_f32_16x16x16_f16 v[70:73], v[70:71], v[192:193], v[124:127]
	s_waitcnt lgkmcnt(0)
	v_perm_b32 v77, v81, v77, s73
	v_perm_b32 v76, v80, v76, s73
	v_cvt_f32_f16_e32 v124, v75
	s_nop 3
	v_cvt_f16_f32_e32 v70, v70
	v_cvt_f16_f32_e32 v71, v71
	v_cvt_f16_f32_e32 v72, v72
	v_cvt_f16_f32_e32 v73, v73
	v_cvt_f32_f16_e32 v70, v70
	v_cvt_f32_f16_e32 v71, v71
	v_cvt_f32_f16_e32 v72, v72
	v_cvt_f32_f16_e32 v73, v73
	v_cvt_f32_f16_sdwa v125, v75 dst_sel:DWORD dst_unused:UNUSED_PAD src0_sel:WORD_1
	v_cvt_f32_f16_e32 v126, v74
	v_mfma_f32_16x16x16_f16 v[70:73], v[76:77], v[190:191], v[70:73]
	ds_read_u16 v76, v200 offset:320
	ds_read_u16 v77, v200 offset:848
	ds_read_u16 v80, v200 offset:1376
	ds_read_u16 v81, v201 offset:320
	v_cvt_f32_f16_sdwa v127, v74 dst_sel:DWORD dst_unused:UNUSED_PAD src0_sel:WORD_1
	v_cvt_pk_f16_f32 v66, v68, v69
	s_waitcnt lgkmcnt(2)
	v_perm_b32 v74, v77, v76, s73
	v_cvt_pk_f16_f32 v71, v70, v71
	s_waitcnt lgkmcnt(0)
	;; [unrolled: 32-line block ×5, first 2 shown]
	v_perm_b32 v87, v93, v92, s73
	v_cvt_pk_f16_f32 v82, v84, v85
	v_cvt_pk_f16_f32 v62, v64, v65
	v_mfma_f32_16x16x16_f16 v[86:89], v[86:87], v[192:193], v[124:127]
	ds_read_u16 v92, v200 offset:17312
	s_nop 1
	ds_read_u16 v124, v200 offset:17840
	ds_read_u16 v93, v200 offset:18368
	;; [unrolled: 1-line block ×3, first 2 shown]
	v_cvt_f32_f16_e32 v126, v90
	v_cvt_f32_f16_sdwa v127, v90 dst_sel:DWORD dst_unused:UNUSED_PAD src0_sel:WORD_1
	v_cvt_f16_f32_e32 v86, v86
	v_cvt_f16_f32_e32 v87, v87
	v_cvt_f16_f32_e32 v88, v88
	v_cvt_f16_f32_e32 v89, v89
	s_waitcnt lgkmcnt(0)
	v_perm_b32 v93, v125, v93, s73
	v_perm_b32 v92, v124, v92, s73
	v_cvt_f32_f16_e32 v86, v86
	v_cvt_f32_f16_e32 v87, v87
	;; [unrolled: 1-line block ×5, first 2 shown]
	v_cvt_f32_f16_sdwa v125, v91 dst_sel:DWORD dst_unused:UNUSED_PAD src0_sel:WORD_1
	v_mfma_f32_16x16x16_f16 v[86:89], v[92:93], v[190:191], v[86:89]
	ds_read_u16 v92, v200 offset:448
	ds_read_u16 v93, v200 offset:976
	;; [unrolled: 1-line block ×4, first 2 shown]
	s_waitcnt lgkmcnt(2)
	v_perm_b32 v90, v93, v92, s73
	s_nop 1
	v_cvt_pk_f16_f32 v87, v86, v87
	s_waitcnt lgkmcnt(0)
	v_perm_b32 v91, v218, v128, s73
	v_cvt_pk_f16_f32 v86, v88, v89
	s_nop 0
	v_mfma_f32_16x16x16_f16 v[90:93], v[90:91], v[192:193], v[124:127]
	s_nop 2
	ds_read_u16 v124, v200 offset:17344
	ds_read_u16 v126, v200 offset:17872
	ds_read_u16 v125, v200 offset:18400
	ds_read_u16 v127, v201 offset:17344
	ds_read_u16 v128, v200 offset:480
	ds_read_u16 v218, v200 offset:1008
	ds_read_u16 v219, v200 offset:1536
	ds_read_u16 v220, v201 offset:480
	v_cvt_f16_f32_e32 v90, v90
	v_cvt_f16_f32_e32 v91, v91
	;; [unrolled: 1-line block ×4, first 2 shown]
	s_waitcnt lgkmcnt(4)
	v_perm_b32 v125, v127, v125, s73
	v_perm_b32 v124, v126, v124, s73
	v_cvt_f32_f16_e32 v90, v90
	v_cvt_f32_f16_e32 v91, v91
	;; [unrolled: 1-line block ×4, first 2 shown]
	s_waitcnt lgkmcnt(0)
	v_perm_b32 v219, v220, v219, s73
	v_perm_b32 v218, v218, v128, s73
	v_mfma_f32_16x16x16_f16 v[90:93], v[124:125], v[190:191], v[90:93]
	v_cvt_f32_f16_e32 v124, v224
	v_cvt_f32_f16_sdwa v125, v224 dst_sel:DWORD dst_unused:UNUSED_PAD src0_sel:WORD_1
	v_cvt_f32_f16_e32 v126, v226
	v_cvt_f32_f16_sdwa v127, v226 dst_sel:DWORD dst_unused:UNUSED_PAD src0_sel:WORD_1
	s_nop 3
	v_cvt_pk_f16_f32 v91, v90, v91
	v_cvt_pk_f16_f32 v90, v92, v93
	v_mfma_f32_16x16x16_f16 v[124:127], v[218:219], v[192:193], v[124:127]
	ds_read_u16 v192, v200 offset:17376
	ds_read_u16 v193, v200 offset:17904
	;; [unrolled: 1-line block ×4, first 2 shown]
	s_waitcnt lgkmcnt(0)
	s_barrier
	s_nop 1
	v_cvt_f16_f32_e32 v224, v124
	v_cvt_f16_f32_e32 v226, v125
	;; [unrolled: 1-line block ×4, first 2 shown]
	v_perm_b32 v219, v219, v218, s73
	v_perm_b32 v218, v193, v192, s73
	v_cvt_f32_f16_e32 v124, v224
	v_cvt_f32_f16_e32 v125, v226
	;; [unrolled: 1-line block ×4, first 2 shown]
	s_nop 1
	v_mfma_f32_16x16x16_f16 v[124:127], v[218:219], v[190:191], v[124:127]
	s_nop 7
	v_cvt_pk_f16_f32 v190, v124, v125
	v_cvt_pk_f16_f32 v191, v126, v127
	s_cbranch_scc0 .LBB31_263
; %bb.261:                              ;   in Loop: Header=BB31_260 Depth=2
	v_mov_b32_e32 v60, v130
	v_mov_b32_e32 v61, v132
	s_and_saveexec_b64 s[10:11], s[0:1]
	s_cbranch_execnz .LBB31_259
	s_branch .LBB31_260
.LBB31_262:                             ;   in Loop: Header=BB31_12 Depth=1
	v_mov_b32_e32 v132, 0xfeffffff
	v_mov_b32_e32 v130, 0
	s_mov_b64 s[10:11], 0
	v_mov_b32_e32 v44, 0
	v_mov_b32_e32 v45, 0
	;; [unrolled: 1-line block ×32, first 2 shown]
	s_and_saveexec_b64 s[12:13], s[0:1]
	s_cbranch_execnz .LBB31_264
	s_branch .LBB31_265
.LBB31_263:                             ;   in Loop: Header=BB31_12 Depth=1
	s_lshl_b32 s74, s12, 6
	s_mov_b64 s[10:11], s[74:75]
	s_and_saveexec_b64 s[12:13], s[0:1]
	s_cbranch_execz .LBB31_265
.LBB31_264:                             ;   in Loop: Header=BB31_12 Depth=1
	v_or_b32_e32 v36, v143, v196
	v_mul_hi_u32 v37, s34, v36
	v_add_u32_e32 v37, v36, v37
	v_lshrrev_b32_e32 v37, s35, v37
	v_mul_lo_u32 v37, v37, s28
	s_lshl_b64 s[14:15], s[10:11], 1
	v_sub_u32_e32 v36, v36, v37
	v_lshl_add_u64 v[34:35], v[170:171], 0, s[14:15]
	v_mad_i64_i32 v[36:37], s[14:15], v36, s58, 0
	v_lshl_add_u64 v[34:35], v[36:37], 1, v[34:35]
	v_lshlrev_b32_e32 v98, 1, v100
	v_lshl_add_u64 v[34:35], v[34:35], 0, v[98:99]
	global_load_dword v34, v[34:35], off
	s_waitcnt vmcnt(0)
	ds_write_b32 v206, v34 offset:33792
.LBB31_265:                             ;   in Loop: Header=BB31_12 Depth=1
	s_or_b64 exec, exec, s[12:13]
	s_mul_i32 s11, s10, s57
	s_mul_hi_u32 s12, s10, s56
	s_add_i32 s13, s12, s11
	s_mul_i32 s12, s10, s56
	s_lshl_b64 s[12:13], s[12:13], 2
	v_lshl_add_u64 v[34:35], v[168:169], 0, s[12:13]
	v_lshl_add_u64 v[36:37], v[102:103], 2, v[34:35]
	v_lshlrev_b32_e32 v98, 2, v96
	v_lshl_add_u64 v[36:37], v[36:37], 0, v[98:99]
	v_lshl_add_u64 v[40:41], v[104:105], 2, v[34:35]
	;; [unrolled: 1-line block ×5, first 2 shown]
	global_load_dwordx4 v[34:37], v[36:37], off
	v_lshl_add_u64 v[40:41], v[40:41], 0, v[98:99]
	v_lshl_add_u64 v[48:49], v[48:49], 0, v[98:99]
	s_mul_i32 s11, s10, s31
	s_mul_hi_u32 s12, s10, s30
	s_add_i32 s11, s12, s11
	s_mul_i32 s10, s10, s30
	s_lshl_b64 s[10:11], s[10:11], 2
	s_waitcnt vmcnt(0)
	ds_write_b128 v197, v[34:37]
	global_load_dwordx4 v[34:37], v[40:41], off
	v_add_u32_e32 v40, 0x4000, v198
	s_waitcnt vmcnt(0)
	ds_write_b128 v236, v[34:37]
	global_load_dwordx4 v[34:37], v[48:49], off
	s_waitcnt vmcnt(0)
	ds_write_b128 v237, v[34:37]
	global_load_dwordx4 v[34:37], v[52:53], off
	s_waitcnt vmcnt(0)
	ds_write_b128 v238, v[34:37]
	s_waitcnt lgkmcnt(0)
	s_barrier
	ds_read2_b64 v[34:37], v198 offset1:4
	s_waitcnt lgkmcnt(0)
	v_mfma_f32_16x16x16_f16 v[124:127], v[34:35], v[30:31], 0
	v_mfma_f32_16x16x16_f16 v[34:37], v[36:37], v[32:33], v[124:127]
	s_nop 6
	ds_read2_b64 v[124:127], v198 offset0:8 offset1:12
	s_waitcnt lgkmcnt(0)
	v_mfma_f32_16x16x16_f16 v[34:37], v[124:125], v[26:27], v[34:37]
	v_mfma_f32_16x16x16_f16 v[34:37], v[126:127], v[28:29], v[34:37]
	ds_read2_b64 v[124:127], v198 offset0:16 offset1:20
	s_waitcnt lgkmcnt(0)
	v_mfma_f32_16x16x16_f16 v[34:37], v[124:125], v[22:23], v[34:37]
	v_mfma_f32_16x16x16_f16 v[34:37], v[126:127], v[24:25], v[34:37]
	;; [unrolled: 4-line block ×9, first 2 shown]
	s_nop 6
	ds_read2_b64 v[30:33], v40 offset0:80 offset1:84
	s_waitcnt lgkmcnt(0)
	v_mfma_f32_16x16x16_f16 v[26:29], v[30:31], v[22:23], v[26:29]
	v_mfma_f32_16x16x16_f16 v[22:25], v[32:33], v[24:25], v[26:29]
	s_nop 6
	ds_read2_b64 v[26:29], v40 offset0:88 offset1:92
	s_waitcnt lgkmcnt(0)
	v_mfma_f32_16x16x16_f16 v[22:25], v[26:27], v[18:19], v[22:25]
	v_mfma_f32_16x16x16_f16 v[18:21], v[28:29], v[20:21], v[22:25]
	;; [unrolled: 5-line block ×5, first 2 shown]
	s_nop 6
	ds_read2_b64 v[10:13], v40 offset0:120 offset1:124
	s_waitcnt lgkmcnt(0)
	v_mfma_f32_16x16x16_f16 v[6:9], v[10:11], v[2:3], v[6:9]
	v_add_u32_e32 v2, 0x8400, v199
	s_barrier
	ds_read2_b32 v[2:3], v2 offset1:1
	v_mfma_f32_16x16x16_f16 v[10:13], v[12:13], v[4:5], v[6:9]
	s_waitcnt lgkmcnt(0)
	v_cvt_f32_f16_e32 v4, v2
	v_cvt_f32_f16_sdwa v2, v2 dst_sel:DWORD dst_unused:UNUSED_PAD src0_sel:WORD_1
	s_nop 0
	v_add_f32_e32 v6, v34, v4
	v_add_f32_e32 v7, v35, v2
	v_cvt_f32_f16_e32 v2, v3
	v_cvt_f32_f16_sdwa v3, v3 dst_sel:DWORD dst_unused:UNUSED_PAD src0_sel:WORD_1
	v_add_f32_e32 v8, v36, v2
	ds_read_b32 v2, v207 offset:33792
	v_add_f32_e32 v9, v37, v3
	s_waitcnt lgkmcnt(0)
	v_cvt_f32_f16_e32 v3, v2
	v_cvt_f32_f16_sdwa v2, v2 dst_sel:DWORD dst_unused:UNUSED_PAD src0_sel:WORD_1
	v_add_f32_e32 v5, v10, v3
	v_add_f32_e32 v4, v11, v2
	ds_read_b32 v2, v208 offset:33792
	v_add_f32_e32 v10, 0x40051340, v6
	v_add_f32_e32 v11, 0x40051340, v7
	v_max3_f32 v10, v132, v10, v11
	v_add_f32_e32 v11, 0x40051340, v8
	s_waitcnt lgkmcnt(0)
	v_cvt_f32_f16_e32 v3, v2
	v_cvt_f32_f16_sdwa v2, v2 dst_sel:DWORD dst_unused:UNUSED_PAD src0_sel:WORD_1
	v_add_f32_e32 v3, v12, v3
	v_add_f32_e32 v12, 0x40051340, v9
	;; [unrolled: 1-line block ×3, first 2 shown]
	v_max3_f32 v10, v10, v11, v12
	v_add_f32_e32 v11, 0x40051340, v5
	v_add_f32_e32 v12, 0x40051340, v4
	v_max3_f32 v10, v10, v11, v12
	v_add_f32_e32 v11, 0x40051340, v3
	v_add_f32_e32 v12, 0x40051340, v2
	v_max3_f32 v10, v10, v11, v12
	v_and_b32_e32 v11, 64, v234
	v_add_u32_e32 v11, 64, v11
	v_xor_b32_e32 v12, 32, v234
	v_cmp_lt_i32_e32 vcc, v12, v11
	s_nop 1
	v_cndmask_b32_e32 v12, v234, v12, vcc
	v_lshlrev_b32_e32 v37, 2, v12
	ds_bpermute_b32 v12, v37, v10
	s_waitcnt lgkmcnt(0)
	v_max_f32_e32 v12, v12, v12
	v_max_f32_e32 v10, v10, v12
	v_xor_b32_e32 v12, 16, v234
	v_cmp_lt_i32_e32 vcc, v12, v11
	s_nop 1
	v_cndmask_b32_e32 v11, v234, v12, vcc
	v_lshlrev_b32_e32 v40, 2, v11
	ds_bpermute_b32 v11, v40, v10
	s_waitcnt lgkmcnt(0)
	v_max_f32_e32 v11, v11, v11
	v_max_f32_e32 v36, v10, v11
	v_sub_f32_e32 v6, v6, v36
	v_mul_f32_e32 v10, 0x3fb8aa3b, v6
	v_fma_f32 v11, v6, s27, -v10
	v_rndne_f32_e32 v12, v10
	v_fmac_f32_e32 v11, 0x32a5705f, v6
	v_sub_f32_e32 v10, v10, v12
	v_add_f32_e32 v10, v10, v11
	v_exp_f32_e32 v10, v10
	v_cvt_i32_f32_e32 v11, v12
	v_cmp_ngt_f32_e32 vcc, s59, v6
	v_sub_f32_e32 v7, v7, v36
	v_sub_f32_e32 v8, v8, v36
	v_ldexp_f32 v10, v10, v11
	v_cndmask_b32_e32 v10, 0, v10, vcc
	v_cmp_nlt_f32_e32 vcc, s81, v6
	v_sub_f32_e32 v9, v9, v36
	v_sub_f32_e32 v5, v5, v36
	v_cndmask_b32_e32 v6, v227, v10, vcc
	v_mul_f32_e32 v10, 0x3fb8aa3b, v7
	v_fma_f32 v11, v7, s27, -v10
	v_rndne_f32_e32 v12, v10
	v_fmac_f32_e32 v11, 0x32a5705f, v7
	v_sub_f32_e32 v10, v10, v12
	v_add_f32_e32 v10, v10, v11
	v_exp_f32_e32 v10, v10
	v_cvt_i32_f32_e32 v11, v12
	v_cmp_ngt_f32_e32 vcc, s59, v7
	v_sub_f32_e32 v4, v4, v36
	v_sub_f32_e32 v3, v3, v36
	v_ldexp_f32 v10, v10, v11
	v_mul_f32_e32 v11, 0x3fb8aa3b, v8
	v_fma_f32 v12, v8, s27, -v11
	v_rndne_f32_e32 v13, v11
	v_fmac_f32_e32 v12, 0x32a5705f, v8
	v_sub_f32_e32 v11, v11, v13
	v_add_f32_e32 v11, v11, v12
	v_exp_f32_e32 v11, v11
	v_cvt_i32_f32_e32 v12, v13
	v_cndmask_b32_e32 v10, 0, v10, vcc
	v_cmp_nlt_f32_e32 vcc, s81, v7
	v_sub_f32_e32 v2, v2, v36
	v_ldexp_f32 v11, v11, v12
	v_cndmask_b32_e32 v7, v227, v10, vcc
	v_cmp_ngt_f32_e32 vcc, s59, v8
	v_add_f32_e32 v10, v6, v7
	s_nop 0
	v_cndmask_b32_e32 v11, 0, v11, vcc
	v_cmp_nlt_f32_e32 vcc, s81, v8
	s_nop 1
	v_cndmask_b32_e32 v8, v227, v11, vcc
	v_mul_f32_e32 v11, 0x3fb8aa3b, v9
	v_fma_f32 v12, v9, s27, -v11
	v_rndne_f32_e32 v13, v11
	v_fmac_f32_e32 v12, 0x32a5705f, v9
	v_sub_f32_e32 v11, v11, v13
	v_add_f32_e32 v11, v11, v12
	v_exp_f32_e32 v11, v11
	v_cvt_i32_f32_e32 v12, v13
	v_cmp_ngt_f32_e32 vcc, s59, v9
	v_add_f32_e32 v10, v8, v10
	v_ldexp_f32 v11, v11, v12
	v_cndmask_b32_e32 v11, 0, v11, vcc
	v_cmp_nlt_f32_e32 vcc, s81, v9
	s_nop 1
	v_cndmask_b32_e32 v9, v227, v11, vcc
	v_mul_f32_e32 v11, 0x3fb8aa3b, v5
	v_fma_f32 v12, v5, s27, -v11
	v_rndne_f32_e32 v13, v11
	v_fmac_f32_e32 v12, 0x32a5705f, v5
	v_sub_f32_e32 v11, v11, v13
	v_add_f32_e32 v11, v11, v12
	v_exp_f32_e32 v11, v11
	v_cvt_i32_f32_e32 v12, v13
	v_cmp_ngt_f32_e32 vcc, s59, v5
	v_add_f32_e32 v10, v9, v10
	v_ldexp_f32 v11, v11, v12
	v_cndmask_b32_e32 v11, 0, v11, vcc
	v_cmp_nlt_f32_e32 vcc, s81, v5
	s_nop 1
	v_cndmask_b32_e32 v34, v227, v11, vcc
	v_add_f32_e32 v5, v34, v10
	v_mul_f32_e32 v10, 0x3fb8aa3b, v4
	v_fma_f32 v11, v4, s27, -v10
	v_rndne_f32_e32 v12, v10
	v_fmac_f32_e32 v11, 0x32a5705f, v4
	v_sub_f32_e32 v10, v10, v12
	v_add_f32_e32 v10, v10, v11
	v_exp_f32_e32 v10, v10
	v_cvt_i32_f32_e32 v11, v12
	v_cmp_ngt_f32_e32 vcc, s59, v4
	v_ldexp_f32 v10, v10, v11
	s_nop 0
	v_cndmask_b32_e32 v10, 0, v10, vcc
	v_cmp_nlt_f32_e32 vcc, s81, v4
	s_nop 1
	v_cndmask_b32_e32 v53, v227, v10, vcc
	v_add_f32_e32 v4, v53, v5
	v_mul_f32_e32 v5, 0x3fb8aa3b, v3
	v_fma_f32 v10, v3, s27, -v5
	v_rndne_f32_e32 v11, v5
	v_fmac_f32_e32 v10, 0x32a5705f, v3
	v_sub_f32_e32 v5, v5, v11
	v_add_f32_e32 v5, v5, v10
	v_exp_f32_e32 v5, v5
	v_cvt_i32_f32_e32 v10, v11
	v_cmp_ngt_f32_e32 vcc, s59, v3
	v_cvt_pk_f16_f32 v34, v34, v53
	v_ldexp_f32 v5, v5, v10
	v_cndmask_b32_e32 v5, 0, v5, vcc
	v_cmp_nlt_f32_e32 vcc, s81, v3
	s_nop 1
	v_cndmask_b32_e32 v35, v227, v5, vcc
	v_add_f32_e32 v3, v35, v4
	v_mul_f32_e32 v4, 0x3fb8aa3b, v2
	v_fma_f32 v5, v2, s27, -v4
	v_rndne_f32_e32 v10, v4
	v_fmac_f32_e32 v5, 0x32a5705f, v2
	v_sub_f32_e32 v4, v4, v10
	v_add_f32_e32 v4, v4, v5
	v_exp_f32_e32 v4, v4
	v_cvt_i32_f32_e32 v5, v10
	v_cmp_ngt_f32_e32 vcc, s59, v2
	v_ldexp_f32 v4, v4, v5
	s_nop 0
	v_cndmask_b32_e32 v4, 0, v4, vcc
	v_cmp_nlt_f32_e32 vcc, s81, v2
	v_sub_f32_e32 v2, v132, v36
	s_nop 0
	v_cndmask_b32_e32 v56, v227, v4, vcc
	v_add_f32_e32 v41, v56, v3
	v_mul_f32_e32 v3, 0x3fb8aa3b, v2
	v_fma_f32 v4, v2, s27, -v3
	v_rndne_f32_e32 v5, v3
	v_fmac_f32_e32 v4, 0x32a5705f, v2
	v_sub_f32_e32 v3, v3, v5
	v_add_f32_e32 v3, v3, v4
	v_exp_f32_e32 v3, v3
	v_cvt_i32_f32_e32 v4, v5
	v_cmp_ngt_f32_e32 vcc, s59, v2
	v_cvt_pk_f16_f32 v35, v35, v56
	v_ldexp_f32 v3, v3, v4
	v_cndmask_b32_e32 v3, 0, v3, vcc
	v_cmp_nlt_f32_e32 vcc, s81, v2
	s_nop 1
	v_cndmask_b32_e32 v3, v227, v3, vcc
	v_cmp_le_f32_e32 vcc, s70, v2
	s_nop 1
	v_cndmask_b32_e32 v2, 0, v3, vcc
	v_fmac_f32_e32 v41, v130, v2
	v_cvt_f16_f32_e32 v2, v2
	v_cmp_ne_u64_e32 vcc, 0, v[164:165]
	s_and_b64 s[12:13], s[24:25], vcc
	v_mul_u32_u24_e32 v2, 0x10001, v2
	v_pk_mul_f16 v60, v45, v2
	v_pk_mul_f16 v57, v44, v2
	;; [unrolled: 1-line block ×32, first 2 shown]
	v_lshl_add_u64 v[2:3], v[166:167], 0, s[10:11]
	v_lshl_add_u64 v[4:5], v[110:111], 2, v[2:3]
	;; [unrolled: 1-line block ×7, first 2 shown]
	global_load_dwordx4 v[2:5], v[4:5], off
	v_lshl_add_u64 v[38:39], v[38:39], 0, v[98:99]
	v_lshl_add_u64 v[42:43], v[42:43], 0, v[98:99]
	v_cvt_f32_f16_e32 v58, v11
	v_cvt_f32_f16_sdwa v59, v11 dst_sel:DWORD dst_unused:UNUSED_PAD src0_sel:WORD_1
	v_cvt_f32_f16_sdwa v61, v10 dst_sel:DWORD dst_unused:UNUSED_PAD src0_sel:WORD_1
	v_cvt_f32_f16_e32 v64, v13
	v_cvt_f32_f16_sdwa v65, v13 dst_sel:DWORD dst_unused:UNUSED_PAD src0_sel:WORD_1
	v_cvt_f32_f16_e32 v66, v12
	;; [unrolled: 2-line block ×15, first 2 shown]
	v_cvt_f32_f16_sdwa v93, v49 dst_sel:DWORD dst_unused:UNUSED_PAD src0_sel:WORD_1
	s_waitcnt vmcnt(0)
	ds_write_b128 v197, v[2:5]
	global_load_dwordx4 v[2:5], v[38:39], off
	s_waitcnt vmcnt(0)
	ds_write_b128 v236, v[2:5]
	global_load_dwordx4 v[2:5], v[42:43], off
	;; [unrolled: 3-line block ×3, first 2 shown]
	s_waitcnt vmcnt(0)
	ds_write_b128 v238, v[2:5]
	s_waitcnt lgkmcnt(0)
	s_barrier
	ds_read_u16 v38, v200 offset:528
	ds_read_u16 v39, v200 offset:1056
	ds_read_u16 v42, v201
	ds_read_u16 v51, v201 offset:32
	v_cvt_f32_f16_e32 v2, v60
	v_cvt_f32_f16_sdwa v3, v60 dst_sel:DWORD dst_unused:UNUSED_PAD src0_sel:WORD_1
	v_cvt_f32_f16_e32 v4, v57
	s_waitcnt lgkmcnt(1)
	v_perm_b32 v43, v42, v39, s73
	ds_read_u16 v39, v200
	ds_read_u16 v54, v200 offset:32
	v_cvt_f32_f16_sdwa v5, v57 dst_sel:DWORD dst_unused:UNUSED_PAD src0_sel:WORD_1
	v_cvt_f32_f16_e32 v60, v10
	s_waitcnt lgkmcnt(1)
	v_perm_b32 v42, v38, v39, s73
	v_cvt_pk_f16_f32 v39, v8, v9
	v_cvt_pk_f16_f32 v38, v6, v7
	ds_read_u16 v6, v200 offset:16896
	ds_read_u16 v8, v200 offset:17424
	;; [unrolled: 1-line block ×4, first 2 shown]
	v_mfma_f32_16x16x16_f16 v[2:5], v[42:43], v[38:39], v[2:5]
	s_waitcnt lgkmcnt(2)
	v_perm_b32 v6, v8, v6, s73
	s_waitcnt lgkmcnt(0)
	v_perm_b32 v7, v9, v7, s73
	ds_read_u16 v8, v200 offset:560
	ds_read_u16 v9, v200 offset:1088
	s_nop 1
	v_cvt_f16_f32_e32 v2, v2
	v_cvt_f16_f32_e32 v3, v3
	;; [unrolled: 1-line block ×4, first 2 shown]
	v_cvt_f32_f16_e32 v2, v2
	v_cvt_f32_f16_e32 v3, v3
	;; [unrolled: 1-line block ×4, first 2 shown]
	s_waitcnt lgkmcnt(0)
	v_perm_b32 v9, v51, v9, s73
	v_perm_b32 v8, v8, v54, s73
	v_mfma_f32_16x16x16_f16 v[2:5], v[6:7], v[34:35], v[2:5]
	v_cvt_f32_f16_e32 v6, v48
	v_cvt_f32_f16_sdwa v7, v48 dst_sel:DWORD dst_unused:UNUSED_PAD src0_sel:WORD_1
	s_nop 5
	v_cvt_f16_f32_e32 v4, v4
	v_cvt_f16_f32_e32 v5, v5
	;; [unrolled: 1-line block ×4, first 2 shown]
	v_perm_b32 v42, v5, v4, s73
	v_cvt_f32_f16_e32 v4, v52
	v_cvt_f32_f16_sdwa v5, v52 dst_sel:DWORD dst_unused:UNUSED_PAD src0_sel:WORD_1
	v_perm_b32 v46, v47, v46, s73
	s_nop 0
	v_mfma_f32_16x16x16_f16 v[4:7], v[8:9], v[38:39], v[4:7]
	ds_read_u16 v8, v200 offset:16928
	ds_read_u16 v43, v200 offset:17456
	;; [unrolled: 1-line block ×4, first 2 shown]
	s_nop 3
	v_cvt_f16_f32_e32 v4, v4
	v_cvt_f16_f32_e32 v5, v5
	v_cvt_f16_f32_e32 v6, v6
	v_cvt_f16_f32_e32 v7, v7
	s_waitcnt lgkmcnt(0)
	v_perm_b32 v9, v48, v9, s73
	v_perm_b32 v8, v43, v8, s73
	v_cvt_f32_f16_e32 v4, v4
	v_cvt_f32_f16_e32 v5, v5
	;; [unrolled: 1-line block ×4, first 2 shown]
	ds_read_u16 v48, v200 offset:64
	ds_read_u16 v51, v200 offset:592
	ds_read_u16 v53, v200 offset:1120
	ds_read_u16 v55, v201 offset:64
	v_mfma_f32_16x16x16_f16 v[4:7], v[8:9], v[34:35], v[4:7]
	v_cvt_f32_f16_e32 v8, v44
	v_cvt_f32_f16_sdwa v9, v44 dst_sel:DWORD dst_unused:UNUSED_PAD src0_sel:WORD_1
	s_waitcnt lgkmcnt(2)
	v_perm_b32 v44, v51, v48, s73
	s_nop 3
	v_cvt_f16_f32_e32 v6, v6
	v_cvt_f16_f32_e32 v7, v7
	;; [unrolled: 1-line block ×4, first 2 shown]
	v_perm_b32 v43, v7, v6, s73
	v_cvt_f32_f16_e32 v6, v45
	v_cvt_f32_f16_sdwa v7, v45 dst_sel:DWORD dst_unused:UNUSED_PAD src0_sel:WORD_1
	s_waitcnt lgkmcnt(0)
	v_perm_b32 v45, v55, v53, s73
	v_perm_b32 v52, v54, v52, s73
	s_nop 0
	v_mfma_f32_16x16x16_f16 v[6:9], v[44:45], v[38:39], v[6:9]
	ds_read_u16 v44, v200 offset:16960
	ds_read_u16 v48, v200 offset:17488
	;; [unrolled: 1-line block ×4, first 2 shown]
	s_nop 3
	v_cvt_f16_f32_e32 v6, v6
	v_cvt_f16_f32_e32 v7, v7
	;; [unrolled: 1-line block ×4, first 2 shown]
	s_waitcnt lgkmcnt(0)
	v_perm_b32 v45, v51, v45, s73
	v_perm_b32 v44, v48, v44, s73
	v_cvt_f32_f16_e32 v6, v6
	v_cvt_f32_f16_e32 v7, v7
	;; [unrolled: 1-line block ×4, first 2 shown]
	s_nop 1
	v_mfma_f32_16x16x16_f16 v[6:9], v[44:45], v[34:35], v[6:9]
	s_nop 7
	v_cvt_f16_f32_e32 v8, v8
	v_cvt_f16_f32_e32 v9, v9
	;; [unrolled: 1-line block ×4, first 2 shown]
	v_perm_b32 v45, v9, v8, s73
	ds_read_u16 v8, v200 offset:96
	ds_read_u16 v44, v200 offset:624
	;; [unrolled: 1-line block ×4, first 2 shown]
	v_perm_b32 v56, v57, v56, s73
	s_waitcnt lgkmcnt(2)
	v_perm_b32 v8, v44, v8, s73
	s_waitcnt lgkmcnt(0)
	v_perm_b32 v9, v48, v9, s73
	ds_read_u16 v44, v200 offset:16992
	ds_read_u16 v48, v200 offset:17520
	;; [unrolled: 1-line block ×4, first 2 shown]
	v_mfma_f32_16x16x16_f16 v[8:11], v[8:9], v[38:39], v[58:61]
	s_waitcnt lgkmcnt(0)
	s_nop 1
	v_perm_b32 v59, v53, v51, s73
	v_perm_b32 v58, v48, v44, s73
	s_nop 2
	v_cvt_f16_f32_e32 v8, v8
	v_cvt_f16_f32_e32 v9, v9
	;; [unrolled: 1-line block ×4, first 2 shown]
	v_cvt_f32_f16_e32 v8, v8
	v_cvt_f32_f16_e32 v9, v9
	;; [unrolled: 1-line block ×4, first 2 shown]
	s_nop 1
	v_mfma_f32_16x16x16_f16 v[8:11], v[58:59], v[34:35], v[8:11]
	s_nop 7
	v_cvt_f16_f32_e32 v10, v10
	v_cvt_f16_f32_e32 v11, v11
	v_cvt_f16_f32_e32 v61, v8
	v_cvt_f16_f32_e32 v62, v9
	v_perm_b32 v51, v11, v10, s73
	ds_read_u16 v10, v200 offset:128
	ds_read_u16 v44, v200 offset:656
	;; [unrolled: 1-line block ×4, first 2 shown]
	v_perm_b32 v61, v62, v61, s73
	s_waitcnt lgkmcnt(2)
	v_perm_b32 v10, v44, v10, s73
	s_waitcnt lgkmcnt(0)
	v_perm_b32 v11, v48, v11, s73
	ds_read_u16 v44, v200 offset:17024
	ds_read_u16 v48, v200 offset:17552
	ds_read_u16 v53, v200 offset:18080
	ds_read_u16 v55, v201 offset:17024
	v_mfma_f32_16x16x16_f16 v[10:13], v[10:11], v[38:39], v[64:67]
	s_waitcnt lgkmcnt(0)
	v_perm_b32 v59, v55, v53, s73
	v_perm_b32 v58, v48, v44, s73
	s_nop 4
	v_cvt_f16_f32_e32 v10, v10
	v_cvt_f16_f32_e32 v11, v11
	v_cvt_f16_f32_e32 v12, v12
	v_cvt_f16_f32_e32 v13, v13
	v_cvt_f32_f16_e32 v10, v10
	v_cvt_f32_f16_e32 v11, v11
	;; [unrolled: 1-line block ×4, first 2 shown]
	s_nop 1
	v_mfma_f32_16x16x16_f16 v[10:13], v[58:59], v[34:35], v[10:13]
	s_nop 7
	v_cvt_f16_f32_e32 v12, v12
	v_cvt_f16_f32_e32 v13, v13
	;; [unrolled: 1-line block ×4, first 2 shown]
	v_perm_b32 v55, v13, v12, s73
	ds_read_u16 v12, v200 offset:160
	ds_read_u16 v44, v200 offset:688
	;; [unrolled: 1-line block ×4, first 2 shown]
	v_perm_b32 v65, v66, v65, s73
	s_waitcnt lgkmcnt(2)
	v_perm_b32 v12, v44, v12, s73
	s_waitcnt lgkmcnt(0)
	v_perm_b32 v13, v48, v13, s73
	ds_read_u16 v44, v200 offset:17056
	ds_read_u16 v48, v200 offset:17584
	;; [unrolled: 1-line block ×4, first 2 shown]
	v_mfma_f32_16x16x16_f16 v[12:15], v[12:13], v[38:39], v[68:71]
	s_waitcnt lgkmcnt(0)
	v_perm_b32 v59, v58, v53, s73
	v_perm_b32 v58, v48, v44, s73
	v_cvt_f32_f16_e32 v70, v17
	s_nop 3
	v_cvt_f16_f32_e32 v12, v12
	v_cvt_f16_f32_e32 v13, v13
	;; [unrolled: 1-line block ×4, first 2 shown]
	v_cvt_f32_f16_e32 v12, v12
	v_cvt_f32_f16_e32 v13, v13
	;; [unrolled: 1-line block ×4, first 2 shown]
	v_cvt_f32_f16_sdwa v71, v17 dst_sel:DWORD dst_unused:UNUSED_PAD src0_sel:WORD_1
	s_nop 0
	v_mfma_f32_16x16x16_f16 v[12:15], v[58:59], v[34:35], v[12:15]
	s_nop 7
	v_cvt_f16_f32_e32 v14, v14
	v_cvt_f16_f32_e32 v15, v15
	;; [unrolled: 1-line block ×4, first 2 shown]
	v_perm_b32 v59, v15, v14, s73
	ds_read_u16 v14, v200 offset:192
	ds_read_u16 v44, v200 offset:720
	;; [unrolled: 1-line block ×4, first 2 shown]
	v_perm_b32 v68, v69, v68, s73
	s_waitcnt lgkmcnt(2)
	v_perm_b32 v14, v44, v14, s73
	s_waitcnt lgkmcnt(0)
	v_perm_b32 v15, v48, v15, s73
	ds_read_u16 v44, v200 offset:17088
	ds_read_u16 v48, v200 offset:17616
	;; [unrolled: 1-line block ×4, first 2 shown]
	v_mfma_f32_16x16x16_f16 v[14:17], v[14:15], v[38:39], v[70:73]
	s_waitcnt lgkmcnt(0)
	s_nop 1
	v_perm_b32 v71, v58, v53, s73
	v_perm_b32 v70, v48, v44, s73
	v_cvt_f32_f16_e32 v72, v19
	s_nop 1
	v_cvt_f16_f32_e32 v14, v14
	v_cvt_f16_f32_e32 v15, v15
	;; [unrolled: 1-line block ×4, first 2 shown]
	v_cvt_f32_f16_e32 v14, v14
	v_cvt_f32_f16_e32 v15, v15
	;; [unrolled: 1-line block ×4, first 2 shown]
	v_cvt_f32_f16_sdwa v73, v19 dst_sel:DWORD dst_unused:UNUSED_PAD src0_sel:WORD_1
	s_nop 0
	v_mfma_f32_16x16x16_f16 v[14:17], v[70:71], v[34:35], v[14:17]
	s_nop 7
	v_cvt_f16_f32_e32 v16, v16
	v_cvt_f16_f32_e32 v17, v17
	;; [unrolled: 1-line block ×4, first 2 shown]
	v_perm_b32 v63, v17, v16, s73
	ds_read_u16 v16, v200 offset:224
	ds_read_u16 v44, v200 offset:752
	;; [unrolled: 1-line block ×4, first 2 shown]
	v_perm_b32 v70, v71, v70, s73
	s_waitcnt lgkmcnt(2)
	v_perm_b32 v16, v44, v16, s73
	s_waitcnt lgkmcnt(0)
	v_perm_b32 v17, v48, v17, s73
	s_nop 1
	v_mfma_f32_16x16x16_f16 v[72:75], v[16:17], v[38:39], v[72:75]
	ds_read_u16 v16, v200 offset:17120
	ds_read_u16 v17, v200 offset:17648
	;; [unrolled: 1-line block ×4, first 2 shown]
	s_nop 3
	v_cvt_f16_f32_e32 v18, v72
	v_cvt_f16_f32_e32 v19, v73
	;; [unrolled: 1-line block ×4, first 2 shown]
	v_cvt_f32_f16_e32 v72, v18
	v_cvt_f32_f16_e32 v73, v19
	s_waitcnt lgkmcnt(0)
	v_perm_b32 v19, v58, v53, s73
	v_perm_b32 v18, v17, v16, s73
	v_cvt_f32_f16_e32 v74, v44
	v_cvt_f32_f16_e32 v75, v48
	s_nop 1
	v_mfma_f32_16x16x16_f16 v[16:19], v[18:19], v[34:35], v[72:75]
	s_nop 7
	v_cvt_f16_f32_e32 v18, v18
	v_cvt_f16_f32_e32 v19, v19
	v_cvt_f16_f32_e32 v73, v16
	v_cvt_f16_f32_e32 v74, v17
	v_perm_b32 v72, v19, v18, s73
	ds_read_u16 v18, v200 offset:256
	ds_read_u16 v44, v200 offset:784
	ds_read_u16 v19, v200 offset:1312
	ds_read_u16 v48, v201 offset:256
	v_perm_b32 v73, v74, v73, s73
	s_waitcnt lgkmcnt(2)
	v_perm_b32 v18, v44, v18, s73
	s_waitcnt lgkmcnt(0)
	v_perm_b32 v19, v48, v19, s73
	ds_read_u16 v44, v200 offset:17152
	ds_read_u16 v48, v200 offset:17680
	ds_read_u16 v53, v200 offset:18208
	ds_read_u16 v58, v201 offset:17152
	v_mfma_f32_16x16x16_f16 v[18:21], v[18:19], v[38:39], v[76:79]
	s_waitcnt lgkmcnt(0)
	s_nop 1
	v_perm_b32 v77, v58, v53, s73
	v_perm_b32 v76, v48, v44, s73
	v_cvt_f32_f16_e32 v78, v23
	s_nop 1
	v_cvt_f16_f32_e32 v18, v18
	v_cvt_f16_f32_e32 v19, v19
	v_cvt_f16_f32_e32 v20, v20
	v_cvt_f16_f32_e32 v21, v21
	v_cvt_f32_f16_e32 v18, v18
	v_cvt_f32_f16_e32 v19, v19
	v_cvt_f32_f16_e32 v20, v20
	v_cvt_f32_f16_e32 v21, v21
	v_cvt_f32_f16_sdwa v79, v23 dst_sel:DWORD dst_unused:UNUSED_PAD src0_sel:WORD_1
	s_nop 0
	v_mfma_f32_16x16x16_f16 v[18:21], v[76:77], v[34:35], v[18:21]
	s_nop 7
	v_cvt_f16_f32_e32 v20, v20
	v_cvt_f16_f32_e32 v21, v21
	v_cvt_f16_f32_e32 v75, v18
	v_cvt_f16_f32_e32 v76, v19
	v_perm_b32 v44, v21, v20, s73
	ds_read_u16 v20, v200 offset:288
	ds_read_u16 v48, v200 offset:816
	ds_read_u16 v21, v200 offset:1344
	ds_read_u16 v53, v201 offset:288
	v_perm_b32 v75, v76, v75, s73
	s_waitcnt lgkmcnt(2)
	v_perm_b32 v20, v48, v20, s73
	s_waitcnt lgkmcnt(0)
	v_perm_b32 v21, v53, v21, s73
	ds_read_u16 v48, v200 offset:17184
	ds_read_u16 v53, v200 offset:17712
	ds_read_u16 v58, v200 offset:18240
	ds_read_u16 v60, v201 offset:17184
	v_mfma_f32_16x16x16_f16 v[20:23], v[20:21], v[38:39], v[78:81]
	s_waitcnt lgkmcnt(0)
	s_nop 1
	v_perm_b32 v79, v60, v58, s73
	v_perm_b32 v78, v53, v48, s73
	v_cvt_f32_f16_e32 v80, v25
	s_nop 1
	v_cvt_f16_f32_e32 v20, v20
	v_cvt_f16_f32_e32 v21, v21
	v_cvt_f16_f32_e32 v22, v22
	v_cvt_f16_f32_e32 v23, v23
	v_cvt_f32_f16_e32 v20, v20
	v_cvt_f32_f16_e32 v21, v21
	v_cvt_f32_f16_e32 v22, v22
	v_cvt_f32_f16_e32 v23, v23
	v_cvt_f32_f16_sdwa v81, v25 dst_sel:DWORD dst_unused:UNUSED_PAD src0_sel:WORD_1
	;; [unrolled: 37-line block ×3, first 2 shown]
	s_nop 0
	v_mfma_f32_16x16x16_f16 v[22:25], v[80:81], v[34:35], v[22:25]
	s_nop 7
	v_cvt_f16_f32_e32 v24, v24
	v_cvt_f16_f32_e32 v25, v25
	;; [unrolled: 1-line block ×4, first 2 shown]
	v_perm_b32 v53, v25, v24, s73
	ds_read_u16 v24, v200 offset:352
	ds_read_u16 v58, v200 offset:880
	;; [unrolled: 1-line block ×4, first 2 shown]
	s_waitcnt lgkmcnt(2)
	v_perm_b32 v24, v58, v24, s73
	s_waitcnt lgkmcnt(0)
	v_perm_b32 v25, v60, v25, s73
	ds_read_u16 v58, v200 offset:17248
	ds_read_u16 v60, v200 offset:17776
	;; [unrolled: 1-line block ×4, first 2 shown]
	v_mfma_f32_16x16x16_f16 v[24:27], v[24:25], v[38:39], v[82:85]
	s_waitcnt lgkmcnt(0)
	s_nop 1
	v_perm_b32 v83, v67, v64, s73
	v_perm_b32 v82, v60, v58, s73
	v_cvt_f32_f16_e32 v84, v29
	s_nop 1
	v_cvt_f16_f32_e32 v24, v24
	v_cvt_f16_f32_e32 v25, v25
	v_cvt_f16_f32_e32 v26, v26
	v_cvt_f16_f32_e32 v27, v27
	v_cvt_f32_f16_e32 v24, v24
	v_cvt_f32_f16_e32 v25, v25
	;; [unrolled: 1-line block ×4, first 2 shown]
	v_cvt_f32_f16_sdwa v85, v29 dst_sel:DWORD dst_unused:UNUSED_PAD src0_sel:WORD_1
	s_nop 0
	v_mfma_f32_16x16x16_f16 v[24:27], v[82:83], v[34:35], v[24:27]
	s_nop 7
	v_cvt_f16_f32_e32 v26, v26
	v_cvt_f16_f32_e32 v27, v27
	;; [unrolled: 1-line block ×4, first 2 shown]
	v_perm_b32 v58, v27, v26, s73
	ds_read_u16 v26, v200 offset:384
	ds_read_u16 v60, v200 offset:912
	;; [unrolled: 1-line block ×4, first 2 shown]
	s_waitcnt lgkmcnt(2)
	v_perm_b32 v26, v60, v26, s73
	s_waitcnt lgkmcnt(0)
	v_perm_b32 v27, v64, v27, s73
	ds_read_u16 v60, v200 offset:17280
	ds_read_u16 v64, v200 offset:17808
	;; [unrolled: 1-line block ×4, first 2 shown]
	v_mfma_f32_16x16x16_f16 v[26:29], v[26:27], v[38:39], v[84:87]
	s_waitcnt lgkmcnt(0)
	s_nop 1
	v_perm_b32 v85, v83, v67, s73
	v_perm_b32 v84, v64, v60, s73
	v_cvt_f32_f16_e32 v86, v31
	s_nop 1
	v_cvt_f16_f32_e32 v26, v26
	v_cvt_f16_f32_e32 v27, v27
	;; [unrolled: 1-line block ×4, first 2 shown]
	v_cvt_f32_f16_e32 v26, v26
	v_cvt_f32_f16_e32 v27, v27
	;; [unrolled: 1-line block ×4, first 2 shown]
	v_cvt_f32_f16_sdwa v87, v31 dst_sel:DWORD dst_unused:UNUSED_PAD src0_sel:WORD_1
	s_nop 0
	v_mfma_f32_16x16x16_f16 v[26:29], v[84:85], v[34:35], v[26:29]
	s_nop 7
	v_cvt_f16_f32_e32 v28, v28
	v_cvt_f16_f32_e32 v29, v29
	;; [unrolled: 1-line block ×4, first 2 shown]
	v_perm_b32 v60, v29, v28, s73
	ds_read_u16 v28, v200 offset:416
	ds_read_u16 v64, v200 offset:944
	;; [unrolled: 1-line block ×4, first 2 shown]
	s_waitcnt lgkmcnt(2)
	v_perm_b32 v28, v64, v28, s73
	s_waitcnt lgkmcnt(0)
	v_perm_b32 v29, v67, v29, s73
	s_nop 1
	v_mfma_f32_16x16x16_f16 v[28:31], v[28:29], v[38:39], v[86:89]
	ds_read_u16 v64, v200 offset:17312
	ds_read_u16 v67, v200 offset:17840
	ds_read_u16 v85, v200 offset:18368
	ds_read_u16 v86, v201 offset:17312
	v_cvt_f32_f16_e32 v88, v33
	v_cvt_f32_f16_sdwa v89, v33 dst_sel:DWORD dst_unused:UNUSED_PAD src0_sel:WORD_1
	s_nop 1
	v_cvt_f16_f32_e32 v28, v28
	v_cvt_f16_f32_e32 v29, v29
	;; [unrolled: 1-line block ×4, first 2 shown]
	s_waitcnt lgkmcnt(0)
	v_perm_b32 v87, v86, v85, s73
	v_perm_b32 v86, v67, v64, s73
	v_cvt_f32_f16_e32 v28, v28
	v_cvt_f32_f16_e32 v29, v29
	;; [unrolled: 1-line block ×4, first 2 shown]
	s_nop 1
	v_mfma_f32_16x16x16_f16 v[28:31], v[86:87], v[34:35], v[28:31]
	s_nop 7
	v_cvt_f16_f32_e32 v30, v30
	v_cvt_f16_f32_e32 v31, v31
	;; [unrolled: 1-line block ×4, first 2 shown]
	v_perm_b32 v64, v31, v30, s73
	ds_read_u16 v30, v200 offset:448
	ds_read_u16 v67, v200 offset:976
	;; [unrolled: 1-line block ×4, first 2 shown]
	s_waitcnt lgkmcnt(2)
	v_perm_b32 v30, v67, v30, s73
	s_waitcnt lgkmcnt(0)
	v_perm_b32 v31, v87, v31, s73
	s_nop 1
	v_mfma_f32_16x16x16_f16 v[30:33], v[30:31], v[38:39], v[88:91]
	ds_read_u16 v67, v200 offset:17344
	ds_read_u16 v87, v200 offset:17872
	s_nop 0
	ds_read_u16 v88, v200 offset:18400
	ds_read_u16 v89, v201 offset:17344
	v_cvt_f32_f16_e32 v90, v50
	v_cvt_f32_f16_sdwa v91, v50 dst_sel:DWORD dst_unused:UNUSED_PAD src0_sel:WORD_1
	s_nop 0
	v_cvt_f16_f32_e32 v30, v30
	v_cvt_f16_f32_e32 v31, v31
	;; [unrolled: 1-line block ×4, first 2 shown]
	s_waitcnt lgkmcnt(0)
	v_perm_b32 v89, v89, v88, s73
	v_perm_b32 v88, v87, v67, s73
	v_cvt_f32_f16_e32 v30, v30
	v_cvt_f32_f16_e32 v31, v31
	;; [unrolled: 1-line block ×4, first 2 shown]
	s_nop 1
	v_mfma_f32_16x16x16_f16 v[30:33], v[88:89], v[34:35], v[30:33]
	s_nop 7
	v_cvt_f16_f32_e32 v32, v32
	v_cvt_f16_f32_e32 v33, v33
	v_cvt_f16_f32_e32 v87, v30
	v_cvt_f16_f32_e32 v88, v31
	v_perm_b32 v67, v33, v32, s73
	ds_read_u16 v32, v200 offset:480
	ds_read_u16 v89, v200 offset:1008
	;; [unrolled: 1-line block ×4, first 2 shown]
	s_waitcnt lgkmcnt(2)
	v_perm_b32 v32, v89, v32, s73
	s_waitcnt lgkmcnt(0)
	v_perm_b32 v33, v98, v33, s73
	s_nop 1
	v_mfma_f32_16x16x16_f16 v[90:93], v[32:33], v[38:39], v[90:93]
	s_nop 7
	v_cvt_f16_f32_e32 v38, v90
	ds_read_u16 v32, v200 offset:17376
	ds_read_u16 v33, v200 offset:17904
	;; [unrolled: 1-line block ×4, first 2 shown]
	v_cvt_f16_f32_e32 v39, v91
	v_cvt_f16_f32_e32 v49, v92
	;; [unrolled: 1-line block ×3, first 2 shown]
	v_cvt_f32_f16_e32 v124, v38
	v_cvt_f32_f16_e32 v125, v39
	s_waitcnt lgkmcnt(0)
	v_perm_b32 v39, v90, v89, s73
	v_perm_b32 v38, v33, v32, s73
	v_cvt_f32_f16_e32 v126, v49
	v_cvt_f32_f16_e32 v127, v50
	v_perm_b32 v49, v82, v81, s73
	v_perm_b32 v50, v80, v79, s73
	v_mfma_f32_16x16x16_f16 v[32:35], v[38:39], v[34:35], v[124:127]
	s_barrier
	s_nop 6
	v_cvt_f16_f32_e32 v34, v34
	v_cvt_f16_f32_e32 v35, v35
	;; [unrolled: 1-line block ×4, first 2 shown]
	v_perm_b32 v34, v35, v34, s73
	ds_bpermute_b32 v35, v37, v41
	s_waitcnt lgkmcnt(0)
	v_add_f32_e32 v35, v41, v35
	ds_bpermute_b32 v37, v40, v35
	v_perm_b32 v41, v84, v83, s73
	s_waitcnt lgkmcnt(0)
	v_add_f32_e32 v37, v35, v37
	v_perm_b32 v35, v39, v38, s73
	v_perm_b32 v38, v88, v87, s73
	;; [unrolled: 1-line block ×3, first 2 shown]
	s_and_saveexec_b64 s[10:11], s[12:13]
	s_cbranch_execz .LBB31_267
; %bb.266:                              ;   in Loop: Header=BB31_12 Depth=1
	v_lshlrev_b32_e32 v35, 2, v136
	v_readfirstlane_b32 s12, v164
	v_readfirstlane_b32 s13, v165
	v_cvt_pk_f16_f32 v38, v2, v3
	v_max_f32_e32 v2, v36, v36
	v_cvt_pk_f16_f32 v4, v4, v5
	v_cvt_pk_f16_f32 v5, v6, v7
	;; [unrolled: 1-line block ×3, first 2 shown]
	global_load_dword v35, v35, s[12:13]
	v_cvt_pk_f16_f32 v10, v16, v17
	v_cvt_pk_f16_f32 v11, v18, v19
	;; [unrolled: 1-line block ×10, first 2 shown]
	s_waitcnt vmcnt(0)
	v_max_f32_e32 v3, v35, v35
	v_max_f32_e32 v2, v2, v3
	v_sub_f32_e32 v3, v36, v2
	v_sub_f32_e32 v17, v35, v2
	v_mul_f32_e32 v18, 0x3fb8aa3b, v3
	v_mul_f32_e32 v19, 0x3fb8aa3b, v17
	v_fma_f32 v20, v3, s27, -v18
	v_rndne_f32_e32 v21, v18
	v_fma_f32 v22, v17, s27, -v19
	v_rndne_f32_e32 v23, v19
	v_fmac_f32_e32 v20, 0x32a5705f, v3
	v_sub_f32_e32 v18, v18, v21
	v_fmac_f32_e32 v22, 0x32a5705f, v17
	v_sub_f32_e32 v19, v19, v23
	v_add_f32_e32 v18, v18, v20
	v_cvt_i32_f32_e32 v21, v21
	v_add_f32_e32 v19, v19, v22
	v_exp_f32_e32 v18, v18
	v_cvt_i32_f32_e32 v23, v23
	v_exp_f32_e32 v19, v19
	v_cmp_ngt_f32_e32 vcc, s59, v3
	v_ldexp_f32 v18, v18, v21
	v_cvt_pk_f16_f32 v20, v30, v31
	v_ldexp_f32 v19, v19, v23
	v_cndmask_b32_e32 v18, 0, v18, vcc
	v_cmp_ngt_f32_e32 vcc, s59, v17
	v_cvt_pk_f16_f32 v22, v32, v33
	s_nop 0
	v_cndmask_b32_e32 v19, 0, v19, vcc
	v_cmp_nlt_f32_e32 vcc, s81, v3
	s_nop 1
	v_cndmask_b32_e32 v18, v227, v18, vcc
	v_cmp_le_f32_e32 vcc, s70, v3
	s_nop 1
	v_cndmask_b32_e32 v18, 0, v18, vcc
	v_cvt_f16_f32_e32 v21, v18
	v_cmp_nlt_f32_e32 vcc, s81, v17
	v_mul_u32_u24_e32 v17, 0x10001, v21
	s_nop 0
	v_cndmask_b32_e32 v3, v227, v19, vcc
	v_fmac_f32_e32 v3, v37, v18
	v_pk_mul_f16 v46, v38, v17
	v_pk_mul_f16 v42, v42, v17
	;; [unrolled: 1-line block ×32, first 2 shown]
	v_mov_b64_e32 v[36:37], v[2:3]
.LBB31_267:                             ;   in Loop: Header=BB31_12 Depth=1
	s_or_b64 exec, exec, s[10:11]
	s_and_saveexec_b64 s[10:11], s[6:7]
; %bb.268:                              ;   in Loop: Header=BB31_12 Depth=1
	v_add_u32_e32 v2, 0, v209
	ds_write2_b32 v2, v36, v37 offset0:64 offset1:65
; %bb.269:                              ;   in Loop: Header=BB31_12 Depth=1
	s_or_b64 exec, exec, s[10:11]
	s_waitcnt lgkmcnt(0)
	s_barrier
	s_and_saveexec_b64 s[10:11], s[4:5]
	s_xor_b64 s[10:11], exec, s[10:11]
	s_cbranch_execz .LBB31_271
; %bb.270:                              ;   in Loop: Header=BB31_12 Depth=1
	s_barrier
                                        ; implicit-def: $vgpr40
.LBB31_271:                             ;   in Loop: Header=BB31_12 Depth=1
	s_andn2_saveexec_b64 s[10:11], s[10:11]
	s_cbranch_execz .LBB31_275
; %bb.272:                              ;   in Loop: Header=BB31_12 Depth=1
	v_add_u32_e32 v4, 0, v210
	ds_read_b64 v[2:3], v4 offset:256
	s_waitcnt lgkmcnt(0)
	s_barrier
	ds_bpermute_b32 v5, v40, v2
	v_max_f32_e32 v6, v2, v2
	s_waitcnt lgkmcnt(0)
	v_max_f32_e32 v5, v5, v5
	v_max_f32_e32 v5, v6, v5
	v_sub_f32_e32 v2, v2, v5
	v_mul_f32_e32 v5, 0x3fb8aa3b, v2
	v_fma_f32 v6, v2, s27, -v5
	v_rndne_f32_e32 v7, v5
	v_fmac_f32_e32 v6, 0x32a5705f, v2
	v_sub_f32_e32 v5, v5, v7
	v_add_f32_e32 v5, v5, v6
	v_cvt_i32_f32_e32 v7, v7
	v_exp_f32_e32 v5, v5
	v_cmp_ngt_f32_e32 vcc, s59, v2
	v_ldexp_f32 v5, v5, v7
	s_nop 0
	v_cndmask_b32_e32 v5, 0, v5, vcc
	v_cmp_nlt_f32_e32 vcc, s81, v2
	s_nop 1
	v_cndmask_b32_e32 v2, v227, v5, vcc
	v_mul_f32_e32 v3, v3, v2
	ds_bpermute_b32 v5, v40, v3
	s_and_saveexec_b64 s[12:13], s[8:9]
	s_cbranch_execz .LBB31_274
; %bb.273:                              ;   in Loop: Header=BB31_12 Depth=1
	s_waitcnt lgkmcnt(0)
	v_add_f32_e32 v3, v3, v5
	ds_write_b64 v4, v[2:3] offset:256
.LBB31_274:                             ;   in Loop: Header=BB31_12 Depth=1
	s_or_b64 exec, exec, s[12:13]
.LBB31_275:                             ;   in Loop: Header=BB31_12 Depth=1
	s_or_b64 exec, exec, s[10:11]
	ds_write2_b32 v202, v46, v42 offset1:1
	ds_write2_b32 v202, v52, v43 offset0:8 offset1:9
	ds_write2_b32 v202, v56, v45 offset0:16 offset1:17
	;; [unrolled: 1-line block ×7, first 2 shown]
	s_waitcnt lgkmcnt(0)
	s_barrier
	s_and_saveexec_b64 s[14:15], s[24:25]
	s_cbranch_execz .LBB31_353
; %bb.276:                              ;   in Loop: Header=BB31_12 Depth=1
	v_add_u32_e32 v2, v231, v143
	v_or_b32_e32 v3, v140, v97
	v_cmp_gt_i32_e32 vcc, s28, v2
	v_cmp_gt_i32_e64 s[10:11], s3, v3
	s_and_b64 s[16:17], vcc, s[10:11]
	v_mov_b32_e32 v3, 0x47
	s_and_saveexec_b64 s[12:13], s[16:17]
	s_cbranch_execz .LBB31_278
; %bb.277:                              ;   in Loop: Header=BB31_12 Depth=1
	v_add_u32_e32 v3, v194, v211
	ds_read2st64_b32 v[4:5], v3 offset1:17
	v_add_u32_e32 v3, 0, v211
	ds_read2_b32 v[6:7], v3 offset0:64 offset1:65
	ds_read_b32 v8, v3 offset:4608
	v_mad_u64_u32 v[2:3], s[16:17], v2, s29, v[140:141]
	s_waitcnt lgkmcnt(2)
	v_cvt_f32_f16_e32 v10, v4
	v_cvt_f32_f16_sdwa v11, v4 dst_sel:DWORD dst_unused:UNUSED_PAD src0_sel:WORD_1
	v_cvt_f32_f16_e32 v4, v5
	v_cvt_f32_f16_sdwa v5, v5 dst_sel:DWORD dst_unused:UNUSED_PAD src0_sel:WORD_1
	v_lshl_add_u32 v2, v2, 7, v94
	s_waitcnt lgkmcnt(1)
	v_pk_fma_f32 v[10:11], v[6:7], v[10:11], 0 op_sel_hi:[0,1,0]
	v_ashrrev_i32_e32 v3, 31, v2
	s_waitcnt lgkmcnt(0)
	v_pk_fma_f32 v[4:5], v[8:9], v[4:5], v[10:11] op_sel_hi:[0,1,1]
	v_div_scale_f32 v6, s[16:17], v7, v7, v5
	v_rcp_f32_e32 v8, v6
	v_lshl_add_u64 v[2:3], v[2:3], 3, v[162:163]
	v_fma_f32 v9, -v6, v8, 1.0
	v_fmac_f32_e32 v8, v9, v8
	v_div_scale_f32 v9, vcc, v5, v7, v5
	v_mul_f32_e32 v10, v9, v8
	v_fma_f32 v11, -v6, v10, v9
	v_fmac_f32_e32 v10, v11, v8
	v_fma_f32 v6, -v6, v10, v9
	v_div_scale_f32 v9, s[16:17], v7, v7, v4
	v_rcp_f32_e32 v11, v9
	v_div_fmas_f32 v6, v6, v8, v10
	v_div_fixup_f32 v5, v6, v7, v5
	v_fma_f32 v6, -v9, v11, 1.0
	v_fmac_f32_e32 v11, v6, v11
	v_div_scale_f32 v6, vcc, v4, v7, v4
	v_mul_f32_e32 v8, v6, v11
	v_fma_f32 v10, -v9, v8, v6
	v_fmac_f32_e32 v8, v10, v11
	v_fma_f32 v6, -v9, v8, v6
	v_div_fmas_f32 v6, v6, v11, v8
	v_div_fixup_f32 v4, v6, v7, v4
	global_store_dwordx2 v[2:3], v[4:5], off
	v_mov_b32_e32 v3, 0
.LBB31_278:                             ;   in Loop: Header=BB31_12 Depth=1
	s_or_b64 exec, exec, s[12:13]
	v_cmp_gt_i32_e32 vcc, s80, v3
	s_mov_b64 s[12:13], -1
	s_and_saveexec_b64 s[16:17], vcc
; %bb.279:                              ;   in Loop: Header=BB31_12 Depth=1
	v_cmp_eq_u32_e32 vcc, 0, v3
	s_orn2_b64 s[12:13], vcc, exec
; %bb.280:                              ;   in Loop: Header=BB31_12 Depth=1
	s_or_b64 exec, exec, s[16:17]
	s_and_b64 exec, exec, s[12:13]
	s_cbranch_execz .LBB31_353
; %bb.281:                              ;   in Loop: Header=BB31_12 Depth=1
	v_add_u32_e32 v2, v232, v143
	v_or_b32_e32 v3, v120, v97
	v_cmp_gt_i32_e32 vcc, s28, v2
	v_cmp_gt_i32_e64 s[12:13], s3, v3
	s_and_b64 s[16:17], vcc, s[12:13]
	v_mov_b32_e32 v3, 0x47
	s_and_saveexec_b64 s[12:13], s[16:17]
	s_cbranch_execz .LBB31_283
; %bb.282:                              ;   in Loop: Header=BB31_12 Depth=1
	v_add_u32_e32 v3, v194, v212
	ds_read2st64_b32 v[4:5], v3 offset1:17
	v_add_u32_e32 v3, 0, v212
	ds_read2_b32 v[6:7], v3 offset0:64 offset1:65
	ds_read_b32 v8, v3 offset:4608
	v_mad_u64_u32 v[2:3], s[16:17], v2, s29, v[120:121]
	s_waitcnt lgkmcnt(2)
	v_cvt_f32_f16_e32 v10, v4
	v_cvt_f32_f16_sdwa v11, v4 dst_sel:DWORD dst_unused:UNUSED_PAD src0_sel:WORD_1
	v_cvt_f32_f16_e32 v4, v5
	v_cvt_f32_f16_sdwa v5, v5 dst_sel:DWORD dst_unused:UNUSED_PAD src0_sel:WORD_1
	v_lshl_add_u32 v2, v2, 7, v94
	s_waitcnt lgkmcnt(1)
	v_pk_fma_f32 v[10:11], v[6:7], v[10:11], 0 op_sel_hi:[0,1,0]
	v_ashrrev_i32_e32 v3, 31, v2
	s_waitcnt lgkmcnt(0)
	v_pk_fma_f32 v[4:5], v[8:9], v[4:5], v[10:11] op_sel_hi:[0,1,1]
	v_div_scale_f32 v6, s[16:17], v7, v7, v5
	v_rcp_f32_e32 v8, v6
	v_lshl_add_u64 v[2:3], v[2:3], 3, v[162:163]
	v_fma_f32 v9, -v6, v8, 1.0
	v_fmac_f32_e32 v8, v9, v8
	v_div_scale_f32 v9, vcc, v5, v7, v5
	v_mul_f32_e32 v10, v9, v8
	v_fma_f32 v11, -v6, v10, v9
	v_fmac_f32_e32 v10, v11, v8
	v_fma_f32 v6, -v6, v10, v9
	v_div_scale_f32 v9, s[16:17], v7, v7, v4
	v_rcp_f32_e32 v11, v9
	v_div_fmas_f32 v6, v6, v8, v10
	v_div_fixup_f32 v5, v6, v7, v5
	v_fma_f32 v6, -v9, v11, 1.0
	v_fmac_f32_e32 v11, v6, v11
	v_div_scale_f32 v6, vcc, v4, v7, v4
	v_mul_f32_e32 v8, v6, v11
	v_fma_f32 v10, -v9, v8, v6
	v_fmac_f32_e32 v8, v10, v11
	v_fma_f32 v6, -v9, v8, v6
	v_div_fmas_f32 v6, v6, v11, v8
	v_div_fixup_f32 v4, v6, v7, v4
	global_store_dwordx2 v[2:3], v[4:5], off
	v_mov_b32_e32 v3, 0
.LBB31_283:                             ;   in Loop: Header=BB31_12 Depth=1
	s_or_b64 exec, exec, s[12:13]
	v_cmp_gt_i32_e32 vcc, s80, v3
	s_mov_b64 s[12:13], -1
	s_and_saveexec_b64 s[16:17], vcc
; %bb.284:                              ;   in Loop: Header=BB31_12 Depth=1
	v_cmp_eq_u32_e32 vcc, 0, v3
	s_orn2_b64 s[12:13], vcc, exec
; %bb.285:                              ;   in Loop: Header=BB31_12 Depth=1
	s_or_b64 exec, exec, s[16:17]
	s_and_b64 exec, exec, s[12:13]
	s_cbranch_execz .LBB31_353
; %bb.286:                              ;   in Loop: Header=BB31_12 Depth=1
	v_add_u32_e32 v2, v213, v143
	v_cmp_gt_i32_e32 vcc, s28, v2
	s_and_b64 s[16:17], vcc, s[10:11]
	v_mov_b32_e32 v3, 0x47
	s_and_saveexec_b64 s[12:13], s[16:17]
	s_cbranch_execz .LBB31_288
; %bb.287:                              ;   in Loop: Header=BB31_12 Depth=1
	v_add_u32_e32 v3, v194, v214
	ds_read2st64_b32 v[4:5], v3 offset1:17
	v_add_u32_e32 v3, 0, v214
	ds_read2_b32 v[6:7], v3 offset0:64 offset1:65
	ds_read_b32 v8, v3 offset:4608
	v_mad_u64_u32 v[2:3], s[16:17], v2, s29, v[140:141]
	s_waitcnt lgkmcnt(2)
	v_cvt_f32_f16_e32 v10, v4
	v_cvt_f32_f16_sdwa v11, v4 dst_sel:DWORD dst_unused:UNUSED_PAD src0_sel:WORD_1
	v_cvt_f32_f16_e32 v4, v5
	v_cvt_f32_f16_sdwa v5, v5 dst_sel:DWORD dst_unused:UNUSED_PAD src0_sel:WORD_1
	v_lshl_add_u32 v2, v2, 7, v94
	s_waitcnt lgkmcnt(1)
	v_pk_fma_f32 v[10:11], v[6:7], v[10:11], 0 op_sel_hi:[0,1,0]
	v_ashrrev_i32_e32 v3, 31, v2
	s_waitcnt lgkmcnt(0)
	v_pk_fma_f32 v[4:5], v[8:9], v[4:5], v[10:11] op_sel_hi:[0,1,1]
	v_div_scale_f32 v6, s[16:17], v7, v7, v5
	v_rcp_f32_e32 v8, v6
	v_lshl_add_u64 v[2:3], v[2:3], 3, v[162:163]
	v_fma_f32 v9, -v6, v8, 1.0
	v_fmac_f32_e32 v8, v9, v8
	v_div_scale_f32 v9, vcc, v5, v7, v5
	v_mul_f32_e32 v10, v9, v8
	v_fma_f32 v11, -v6, v10, v9
	v_fmac_f32_e32 v10, v11, v8
	v_fma_f32 v6, -v6, v10, v9
	v_div_scale_f32 v9, s[16:17], v7, v7, v4
	v_rcp_f32_e32 v11, v9
	v_div_fmas_f32 v6, v6, v8, v10
	v_div_fixup_f32 v5, v6, v7, v5
	v_fma_f32 v6, -v9, v11, 1.0
	v_fmac_f32_e32 v11, v6, v11
	v_div_scale_f32 v6, vcc, v4, v7, v4
	v_mul_f32_e32 v8, v6, v11
	v_fma_f32 v10, -v9, v8, v6
	v_fmac_f32_e32 v8, v10, v11
	v_fma_f32 v6, -v9, v8, v6
	v_div_fmas_f32 v6, v6, v11, v8
	v_div_fixup_f32 v4, v6, v7, v4
	global_store_dwordx2 v[2:3], v[4:5], off
	v_mov_b32_e32 v3, 0
.LBB31_288:                             ;   in Loop: Header=BB31_12 Depth=1
	s_or_b64 exec, exec, s[12:13]
	v_cmp_gt_i32_e32 vcc, s80, v3
	s_mov_b64 s[12:13], -1
	s_and_saveexec_b64 s[16:17], vcc
; %bb.289:                              ;   in Loop: Header=BB31_12 Depth=1
	v_cmp_eq_u32_e32 vcc, 0, v3
	s_orn2_b64 s[12:13], vcc, exec
; %bb.290:                              ;   in Loop: Header=BB31_12 Depth=1
	s_or_b64 exec, exec, s[16:17]
	s_and_b64 exec, exec, s[12:13]
	s_cbranch_execz .LBB31_353
; %bb.291:                              ;   in Loop: Header=BB31_12 Depth=1
	v_add_u32_e32 v2, v134, v143
	v_or_b32_e32 v3, v122, v97
	v_cmp_gt_i32_e32 vcc, s28, v2
	v_cmp_gt_i32_e64 s[12:13], s3, v3
	s_and_b64 s[16:17], vcc, s[12:13]
	v_mov_b32_e32 v3, 0x47
	s_and_saveexec_b64 s[12:13], s[16:17]
	s_cbranch_execz .LBB31_293
; %bb.292:                              ;   in Loop: Header=BB31_12 Depth=1
	v_add_u32_e32 v3, v194, v215
	ds_read2st64_b32 v[4:5], v3 offset1:17
	v_add_u32_e32 v3, 0, v215
	ds_read2_b32 v[6:7], v3 offset0:64 offset1:65
	ds_read_b32 v8, v3 offset:4608
	v_mad_u64_u32 v[2:3], s[16:17], v2, s29, v[122:123]
	s_waitcnt lgkmcnt(2)
	v_cvt_f32_f16_e32 v10, v4
	v_cvt_f32_f16_sdwa v11, v4 dst_sel:DWORD dst_unused:UNUSED_PAD src0_sel:WORD_1
	v_cvt_f32_f16_e32 v4, v5
	v_cvt_f32_f16_sdwa v5, v5 dst_sel:DWORD dst_unused:UNUSED_PAD src0_sel:WORD_1
	v_lshl_add_u32 v2, v2, 7, v94
	s_waitcnt lgkmcnt(1)
	v_pk_fma_f32 v[10:11], v[6:7], v[10:11], 0 op_sel_hi:[0,1,0]
	v_ashrrev_i32_e32 v3, 31, v2
	s_waitcnt lgkmcnt(0)
	v_pk_fma_f32 v[4:5], v[8:9], v[4:5], v[10:11] op_sel_hi:[0,1,1]
	v_div_scale_f32 v6, s[16:17], v7, v7, v5
	v_rcp_f32_e32 v8, v6
	v_lshl_add_u64 v[2:3], v[2:3], 3, v[162:163]
	v_fma_f32 v9, -v6, v8, 1.0
	v_fmac_f32_e32 v8, v9, v8
	v_div_scale_f32 v9, vcc, v5, v7, v5
	v_mul_f32_e32 v10, v9, v8
	v_fma_f32 v11, -v6, v10, v9
	v_fmac_f32_e32 v10, v11, v8
	v_fma_f32 v6, -v6, v10, v9
	v_div_scale_f32 v9, s[16:17], v7, v7, v4
	v_rcp_f32_e32 v11, v9
	v_div_fmas_f32 v6, v6, v8, v10
	v_div_fixup_f32 v5, v6, v7, v5
	v_fma_f32 v6, -v9, v11, 1.0
	v_fmac_f32_e32 v11, v6, v11
	v_div_scale_f32 v6, vcc, v4, v7, v4
	v_mul_f32_e32 v8, v6, v11
	v_fma_f32 v10, -v9, v8, v6
	v_fmac_f32_e32 v8, v10, v11
	v_fma_f32 v6, -v9, v8, v6
	v_div_fmas_f32 v6, v6, v11, v8
	v_div_fixup_f32 v4, v6, v7, v4
	global_store_dwordx2 v[2:3], v[4:5], off
	v_mov_b32_e32 v3, 0
.LBB31_293:                             ;   in Loop: Header=BB31_12 Depth=1
	s_or_b64 exec, exec, s[12:13]
	v_cmp_gt_i32_e32 vcc, s80, v3
	s_mov_b64 s[12:13], -1
	s_and_saveexec_b64 s[16:17], vcc
; %bb.294:                              ;   in Loop: Header=BB31_12 Depth=1
	v_cmp_eq_u32_e32 vcc, 0, v3
	s_orn2_b64 s[12:13], vcc, exec
; %bb.295:                              ;   in Loop: Header=BB31_12 Depth=1
	s_or_b64 exec, exec, s[16:17]
	s_and_b64 exec, exec, s[12:13]
	s_cbranch_execz .LBB31_353
; %bb.296:                              ;   in Loop: Header=BB31_12 Depth=1
	v_add_u32_e32 v2, v216, v143
	v_cmp_gt_i32_e32 vcc, s28, v2
	s_and_b64 s[16:17], vcc, s[10:11]
	v_mov_b32_e32 v3, 0x47
	s_and_saveexec_b64 s[12:13], s[16:17]
	s_cbranch_execz .LBB31_298
; %bb.297:                              ;   in Loop: Header=BB31_12 Depth=1
	v_add_u32_e32 v3, v194, v217
	ds_read2st64_b32 v[4:5], v3 offset1:17
	v_add_u32_e32 v3, 0, v217
	ds_read2_b32 v[6:7], v3 offset0:64 offset1:65
	ds_read_b32 v8, v3 offset:4608
	v_mad_u64_u32 v[2:3], s[16:17], v2, s29, v[140:141]
	s_waitcnt lgkmcnt(2)
	v_cvt_f32_f16_e32 v10, v4
	v_cvt_f32_f16_sdwa v11, v4 dst_sel:DWORD dst_unused:UNUSED_PAD src0_sel:WORD_1
	v_cvt_f32_f16_e32 v4, v5
	v_cvt_f32_f16_sdwa v5, v5 dst_sel:DWORD dst_unused:UNUSED_PAD src0_sel:WORD_1
	v_lshl_add_u32 v2, v2, 7, v94
	s_waitcnt lgkmcnt(1)
	v_pk_fma_f32 v[10:11], v[6:7], v[10:11], 0 op_sel_hi:[0,1,0]
	v_ashrrev_i32_e32 v3, 31, v2
	s_waitcnt lgkmcnt(0)
	v_pk_fma_f32 v[4:5], v[8:9], v[4:5], v[10:11] op_sel_hi:[0,1,1]
	v_div_scale_f32 v6, s[16:17], v7, v7, v5
	v_rcp_f32_e32 v8, v6
	v_lshl_add_u64 v[2:3], v[2:3], 3, v[162:163]
	v_fma_f32 v9, -v6, v8, 1.0
	v_fmac_f32_e32 v8, v9, v8
	v_div_scale_f32 v9, vcc, v5, v7, v5
	v_mul_f32_e32 v10, v9, v8
	v_fma_f32 v11, -v6, v10, v9
	v_fmac_f32_e32 v10, v11, v8
	v_fma_f32 v6, -v6, v10, v9
	v_div_scale_f32 v9, s[16:17], v7, v7, v4
	v_rcp_f32_e32 v11, v9
	v_div_fmas_f32 v6, v6, v8, v10
	v_div_fixup_f32 v5, v6, v7, v5
	v_fma_f32 v6, -v9, v11, 1.0
	v_fmac_f32_e32 v11, v6, v11
	v_div_scale_f32 v6, vcc, v4, v7, v4
	v_mul_f32_e32 v8, v6, v11
	v_fma_f32 v10, -v9, v8, v6
	v_fmac_f32_e32 v8, v10, v11
	v_fma_f32 v6, -v9, v8, v6
	v_div_fmas_f32 v6, v6, v11, v8
	v_div_fixup_f32 v4, v6, v7, v4
	global_store_dwordx2 v[2:3], v[4:5], off
	v_mov_b32_e32 v3, 0
.LBB31_298:                             ;   in Loop: Header=BB31_12 Depth=1
	s_or_b64 exec, exec, s[12:13]
	v_cmp_gt_i32_e32 vcc, s80, v3
	s_mov_b64 s[12:13], -1
	s_and_saveexec_b64 s[16:17], vcc
; %bb.299:                              ;   in Loop: Header=BB31_12 Depth=1
	v_cmp_eq_u32_e32 vcc, 0, v3
	s_orn2_b64 s[12:13], vcc, exec
; %bb.300:                              ;   in Loop: Header=BB31_12 Depth=1
	s_or_b64 exec, exec, s[16:17]
	s_and_b64 exec, exec, s[12:13]
	s_cbranch_execz .LBB31_353
; %bb.301:                              ;   in Loop: Header=BB31_12 Depth=1
	scratch_load_dword v2, off, off offset:8 ; 4-byte Folded Reload
	scratch_load_dwordx2 v[4:5], off, off   ; 8-byte Folded Reload
	s_waitcnt vmcnt(1)
	v_add_u32_e32 v2, v2, v143
	s_waitcnt vmcnt(0)
	v_or_b32_e32 v3, v4, v97
	v_cmp_gt_i32_e32 vcc, s28, v2
	v_cmp_gt_i32_e64 s[12:13], s3, v3
	s_and_b64 s[16:17], vcc, s[12:13]
	v_mov_b32_e32 v3, 0x47
	s_and_saveexec_b64 s[12:13], s[16:17]
	s_cbranch_execz .LBB31_303
; %bb.302:                              ;   in Loop: Header=BB31_12 Depth=1
	scratch_load_dword v6, off, off offset:12 ; 4-byte Folded Reload
	s_waitcnt vmcnt(0)
	v_add_u32_e32 v3, v194, v6
	ds_read2st64_b32 v[4:5], v3 offset1:17
	v_add_u32_e32 v3, 0, v6
	ds_read2_b32 v[6:7], v3 offset0:64 offset1:65
	ds_read_b32 v8, v3 offset:4608
	scratch_load_dwordx2 v[12:13], off, off ; 8-byte Folded Reload
	s_waitcnt lgkmcnt(2)
	v_cvt_f32_f16_e32 v10, v4
	v_cvt_f32_f16_sdwa v11, v4 dst_sel:DWORD dst_unused:UNUSED_PAD src0_sel:WORD_1
	v_cvt_f32_f16_e32 v4, v5
	v_cvt_f32_f16_sdwa v5, v5 dst_sel:DWORD dst_unused:UNUSED_PAD src0_sel:WORD_1
	s_waitcnt lgkmcnt(1)
	v_pk_fma_f32 v[10:11], v[6:7], v[10:11], 0 op_sel_hi:[0,1,0]
	s_waitcnt lgkmcnt(0)
	v_pk_fma_f32 v[4:5], v[8:9], v[4:5], v[10:11] op_sel_hi:[0,1,1]
	v_div_scale_f32 v6, s[16:17], v7, v7, v5
	v_rcp_f32_e32 v8, v6
	s_waitcnt vmcnt(0)
	v_mad_u64_u32 v[2:3], s[16:17], v2, s29, v[12:13]
	v_fma_f32 v9, -v6, v8, 1.0
	v_fmac_f32_e32 v8, v9, v8
	v_div_scale_f32 v9, vcc, v5, v7, v5
	v_mul_f32_e32 v10, v9, v8
	v_fma_f32 v11, -v6, v10, v9
	v_fmac_f32_e32 v10, v11, v8
	v_fma_f32 v6, -v6, v10, v9
	v_div_scale_f32 v9, s[16:17], v7, v7, v4
	v_rcp_f32_e32 v11, v9
	v_div_fmas_f32 v6, v6, v8, v10
	v_div_fixup_f32 v5, v6, v7, v5
	v_lshl_add_u32 v2, v2, 7, v94
	v_fma_f32 v6, -v9, v11, 1.0
	v_fmac_f32_e32 v11, v6, v11
	v_div_scale_f32 v6, vcc, v4, v7, v4
	v_mul_f32_e32 v8, v6, v11
	v_fma_f32 v10, -v9, v8, v6
	v_fmac_f32_e32 v8, v10, v11
	v_fma_f32 v6, -v9, v8, v6
	v_ashrrev_i32_e32 v3, 31, v2
	v_div_fmas_f32 v6, v6, v11, v8
	v_lshl_add_u64 v[2:3], v[2:3], 3, v[162:163]
	v_div_fixup_f32 v4, v6, v7, v4
	global_store_dwordx2 v[2:3], v[4:5], off
	v_mov_b32_e32 v3, 0
.LBB31_303:                             ;   in Loop: Header=BB31_12 Depth=1
	s_or_b64 exec, exec, s[12:13]
	v_cmp_gt_i32_e32 vcc, s80, v3
	s_mov_b64 s[12:13], -1
	s_and_saveexec_b64 s[16:17], vcc
; %bb.304:                              ;   in Loop: Header=BB31_12 Depth=1
	v_cmp_eq_u32_e32 vcc, 0, v3
	s_orn2_b64 s[12:13], vcc, exec
; %bb.305:                              ;   in Loop: Header=BB31_12 Depth=1
	s_or_b64 exec, exec, s[16:17]
	s_and_b64 exec, exec, s[12:13]
	s_cbranch_execz .LBB31_353
; %bb.306:                              ;   in Loop: Header=BB31_12 Depth=1
	scratch_load_dword v2, off, off offset:16 ; 4-byte Folded Reload
	v_mov_b32_e32 v3, 0x47
	s_waitcnt vmcnt(0)
	v_add_u32_e32 v2, v2, v143
	v_cmp_gt_i32_e32 vcc, s28, v2
	s_and_b64 s[16:17], vcc, s[10:11]
	s_and_saveexec_b64 s[12:13], s[16:17]
	s_cbranch_execz .LBB31_308
; %bb.307:                              ;   in Loop: Header=BB31_12 Depth=1
	scratch_load_dword v6, off, off offset:28 ; 4-byte Folded Reload
	s_waitcnt vmcnt(0)
	v_add_u32_e32 v3, v194, v6
	ds_read2st64_b32 v[4:5], v3 offset1:17
	v_add_u32_e32 v3, 0, v6
	ds_read2_b32 v[6:7], v3 offset0:64 offset1:65
	ds_read_b32 v8, v3 offset:4608
	v_mad_u64_u32 v[2:3], s[16:17], v2, s29, v[140:141]
	s_waitcnt lgkmcnt(2)
	v_cvt_f32_f16_e32 v10, v4
	v_cvt_f32_f16_sdwa v11, v4 dst_sel:DWORD dst_unused:UNUSED_PAD src0_sel:WORD_1
	v_cvt_f32_f16_e32 v4, v5
	v_cvt_f32_f16_sdwa v5, v5 dst_sel:DWORD dst_unused:UNUSED_PAD src0_sel:WORD_1
	v_lshl_add_u32 v2, v2, 7, v94
	s_waitcnt lgkmcnt(1)
	v_pk_fma_f32 v[10:11], v[6:7], v[10:11], 0 op_sel_hi:[0,1,0]
	v_ashrrev_i32_e32 v3, 31, v2
	s_waitcnt lgkmcnt(0)
	v_pk_fma_f32 v[4:5], v[8:9], v[4:5], v[10:11] op_sel_hi:[0,1,1]
	v_div_scale_f32 v6, s[16:17], v7, v7, v5
	v_rcp_f32_e32 v8, v6
	v_lshl_add_u64 v[2:3], v[2:3], 3, v[162:163]
	v_fma_f32 v9, -v6, v8, 1.0
	v_fmac_f32_e32 v8, v9, v8
	v_div_scale_f32 v9, vcc, v5, v7, v5
	v_mul_f32_e32 v10, v9, v8
	v_fma_f32 v11, -v6, v10, v9
	v_fmac_f32_e32 v10, v11, v8
	v_fma_f32 v6, -v6, v10, v9
	v_div_scale_f32 v9, s[16:17], v7, v7, v4
	v_rcp_f32_e32 v11, v9
	v_div_fmas_f32 v6, v6, v8, v10
	v_div_fixup_f32 v5, v6, v7, v5
	v_fma_f32 v6, -v9, v11, 1.0
	v_fmac_f32_e32 v11, v6, v11
	v_div_scale_f32 v6, vcc, v4, v7, v4
	v_mul_f32_e32 v8, v6, v11
	v_fma_f32 v10, -v9, v8, v6
	v_fmac_f32_e32 v8, v10, v11
	v_fma_f32 v6, -v9, v8, v6
	v_div_fmas_f32 v6, v6, v11, v8
	v_div_fixup_f32 v4, v6, v7, v4
	global_store_dwordx2 v[2:3], v[4:5], off
	v_mov_b32_e32 v3, 0
.LBB31_308:                             ;   in Loop: Header=BB31_12 Depth=1
	s_or_b64 exec, exec, s[12:13]
	v_cmp_gt_i32_e32 vcc, s80, v3
	s_mov_b64 s[12:13], -1
	s_and_saveexec_b64 s[16:17], vcc
; %bb.309:                              ;   in Loop: Header=BB31_12 Depth=1
	v_cmp_eq_u32_e32 vcc, 0, v3
	s_orn2_b64 s[12:13], vcc, exec
; %bb.310:                              ;   in Loop: Header=BB31_12 Depth=1
	s_or_b64 exec, exec, s[16:17]
	s_and_b64 exec, exec, s[12:13]
	s_cbranch_execz .LBB31_353
; %bb.311:                              ;   in Loop: Header=BB31_12 Depth=1
	scratch_load_dword v2, off, off offset:32 ; 4-byte Folded Reload
	scratch_load_dwordx2 v[4:5], off, off offset:20 ; 8-byte Folded Reload
	s_waitcnt vmcnt(1)
	v_add_u32_e32 v2, v2, v143
	s_waitcnt vmcnt(0)
	v_or_b32_e32 v3, v4, v97
	v_cmp_gt_i32_e32 vcc, s28, v2
	v_cmp_gt_i32_e64 s[12:13], s3, v3
	s_and_b64 s[16:17], vcc, s[12:13]
	v_mov_b32_e32 v3, 0x47
	s_and_saveexec_b64 s[12:13], s[16:17]
	s_cbranch_execz .LBB31_313
; %bb.312:                              ;   in Loop: Header=BB31_12 Depth=1
	scratch_load_dword v6, off, off offset:36 ; 4-byte Folded Reload
	s_waitcnt vmcnt(0)
	v_add_u32_e32 v3, v194, v6
	ds_read2st64_b32 v[4:5], v3 offset1:17
	v_add_u32_e32 v3, 0, v6
	ds_read2_b32 v[6:7], v3 offset0:64 offset1:65
	ds_read_b32 v8, v3 offset:4608
	scratch_load_dwordx2 v[12:13], off, off offset:20 ; 8-byte Folded Reload
	s_waitcnt lgkmcnt(2)
	v_cvt_f32_f16_e32 v10, v4
	v_cvt_f32_f16_sdwa v11, v4 dst_sel:DWORD dst_unused:UNUSED_PAD src0_sel:WORD_1
	v_cvt_f32_f16_e32 v4, v5
	v_cvt_f32_f16_sdwa v5, v5 dst_sel:DWORD dst_unused:UNUSED_PAD src0_sel:WORD_1
	s_waitcnt lgkmcnt(1)
	v_pk_fma_f32 v[10:11], v[6:7], v[10:11], 0 op_sel_hi:[0,1,0]
	s_waitcnt lgkmcnt(0)
	v_pk_fma_f32 v[4:5], v[8:9], v[4:5], v[10:11] op_sel_hi:[0,1,1]
	v_div_scale_f32 v6, s[16:17], v7, v7, v5
	v_rcp_f32_e32 v8, v6
	s_waitcnt vmcnt(0)
	v_mad_u64_u32 v[2:3], s[16:17], v2, s29, v[12:13]
	v_fma_f32 v9, -v6, v8, 1.0
	v_fmac_f32_e32 v8, v9, v8
	v_div_scale_f32 v9, vcc, v5, v7, v5
	v_mul_f32_e32 v10, v9, v8
	v_fma_f32 v11, -v6, v10, v9
	v_fmac_f32_e32 v10, v11, v8
	v_fma_f32 v6, -v6, v10, v9
	v_div_scale_f32 v9, s[16:17], v7, v7, v4
	v_rcp_f32_e32 v11, v9
	v_div_fmas_f32 v6, v6, v8, v10
	v_div_fixup_f32 v5, v6, v7, v5
	v_lshl_add_u32 v2, v2, 7, v94
	v_fma_f32 v6, -v9, v11, 1.0
	v_fmac_f32_e32 v11, v6, v11
	v_div_scale_f32 v6, vcc, v4, v7, v4
	v_mul_f32_e32 v8, v6, v11
	v_fma_f32 v10, -v9, v8, v6
	v_fmac_f32_e32 v8, v10, v11
	v_fma_f32 v6, -v9, v8, v6
	v_ashrrev_i32_e32 v3, 31, v2
	v_div_fmas_f32 v6, v6, v11, v8
	v_lshl_add_u64 v[2:3], v[2:3], 3, v[162:163]
	v_div_fixup_f32 v4, v6, v7, v4
	global_store_dwordx2 v[2:3], v[4:5], off
	v_mov_b32_e32 v3, 0
.LBB31_313:                             ;   in Loop: Header=BB31_12 Depth=1
	s_or_b64 exec, exec, s[12:13]
	v_cmp_gt_i32_e32 vcc, s80, v3
	s_mov_b64 s[12:13], -1
	s_and_saveexec_b64 s[16:17], vcc
; %bb.314:                              ;   in Loop: Header=BB31_12 Depth=1
	v_cmp_eq_u32_e32 vcc, 0, v3
	s_orn2_b64 s[12:13], vcc, exec
; %bb.315:                              ;   in Loop: Header=BB31_12 Depth=1
	s_or_b64 exec, exec, s[16:17]
	s_and_b64 exec, exec, s[12:13]
	s_cbranch_execz .LBB31_353
; %bb.316:                              ;   in Loop: Header=BB31_12 Depth=1
	scratch_load_dword v2, off, off offset:40 ; 4-byte Folded Reload
	v_mov_b32_e32 v3, 0x47
	s_waitcnt vmcnt(0)
	v_add_u32_e32 v2, v2, v143
	v_cmp_gt_i32_e32 vcc, s28, v2
	s_and_b64 s[16:17], vcc, s[10:11]
	s_and_saveexec_b64 s[12:13], s[16:17]
	s_cbranch_execz .LBB31_318
; %bb.317:                              ;   in Loop: Header=BB31_12 Depth=1
	scratch_load_dword v6, off, off offset:52 ; 4-byte Folded Reload
	s_waitcnt vmcnt(0)
	v_add_u32_e32 v3, v194, v6
	ds_read2st64_b32 v[4:5], v3 offset1:17
	v_add_u32_e32 v3, 0, v6
	ds_read2_b32 v[6:7], v3 offset0:64 offset1:65
	ds_read_b32 v8, v3 offset:4608
	v_mad_u64_u32 v[2:3], s[16:17], v2, s29, v[140:141]
	s_waitcnt lgkmcnt(2)
	v_cvt_f32_f16_e32 v10, v4
	v_cvt_f32_f16_sdwa v11, v4 dst_sel:DWORD dst_unused:UNUSED_PAD src0_sel:WORD_1
	v_cvt_f32_f16_e32 v4, v5
	v_cvt_f32_f16_sdwa v5, v5 dst_sel:DWORD dst_unused:UNUSED_PAD src0_sel:WORD_1
	v_lshl_add_u32 v2, v2, 7, v94
	s_waitcnt lgkmcnt(1)
	v_pk_fma_f32 v[10:11], v[6:7], v[10:11], 0 op_sel_hi:[0,1,0]
	v_ashrrev_i32_e32 v3, 31, v2
	s_waitcnt lgkmcnt(0)
	v_pk_fma_f32 v[4:5], v[8:9], v[4:5], v[10:11] op_sel_hi:[0,1,1]
	v_div_scale_f32 v6, s[16:17], v7, v7, v5
	v_rcp_f32_e32 v8, v6
	v_lshl_add_u64 v[2:3], v[2:3], 3, v[162:163]
	v_fma_f32 v9, -v6, v8, 1.0
	v_fmac_f32_e32 v8, v9, v8
	v_div_scale_f32 v9, vcc, v5, v7, v5
	v_mul_f32_e32 v10, v9, v8
	v_fma_f32 v11, -v6, v10, v9
	v_fmac_f32_e32 v10, v11, v8
	v_fma_f32 v6, -v6, v10, v9
	v_div_scale_f32 v9, s[16:17], v7, v7, v4
	v_rcp_f32_e32 v11, v9
	v_div_fmas_f32 v6, v6, v8, v10
	v_div_fixup_f32 v5, v6, v7, v5
	v_fma_f32 v6, -v9, v11, 1.0
	v_fmac_f32_e32 v11, v6, v11
	v_div_scale_f32 v6, vcc, v4, v7, v4
	v_mul_f32_e32 v8, v6, v11
	v_fma_f32 v10, -v9, v8, v6
	v_fmac_f32_e32 v8, v10, v11
	v_fma_f32 v6, -v9, v8, v6
	v_div_fmas_f32 v6, v6, v11, v8
	v_div_fixup_f32 v4, v6, v7, v4
	global_store_dwordx2 v[2:3], v[4:5], off
	v_mov_b32_e32 v3, 0
.LBB31_318:                             ;   in Loop: Header=BB31_12 Depth=1
	s_or_b64 exec, exec, s[12:13]
	v_cmp_gt_i32_e32 vcc, s80, v3
	s_mov_b64 s[12:13], -1
	s_and_saveexec_b64 s[16:17], vcc
; %bb.319:                              ;   in Loop: Header=BB31_12 Depth=1
	v_cmp_eq_u32_e32 vcc, 0, v3
	s_orn2_b64 s[12:13], vcc, exec
; %bb.320:                              ;   in Loop: Header=BB31_12 Depth=1
	s_or_b64 exec, exec, s[16:17]
	s_and_b64 exec, exec, s[12:13]
	s_cbranch_execz .LBB31_353
; %bb.321:                              ;   in Loop: Header=BB31_12 Depth=1
	scratch_load_dword v2, off, off offset:56 ; 4-byte Folded Reload
	scratch_load_dwordx2 v[4:5], off, off offset:44 ; 8-byte Folded Reload
	s_waitcnt vmcnt(1)
	v_add_u32_e32 v2, v2, v143
	s_waitcnt vmcnt(0)
	v_or_b32_e32 v3, v4, v97
	v_cmp_gt_i32_e32 vcc, s28, v2
	v_cmp_gt_i32_e64 s[12:13], s3, v3
	s_and_b64 s[16:17], vcc, s[12:13]
	v_mov_b32_e32 v3, 0x47
	s_and_saveexec_b64 s[12:13], s[16:17]
	s_cbranch_execz .LBB31_323
; %bb.322:                              ;   in Loop: Header=BB31_12 Depth=1
	scratch_load_dword v6, off, off offset:60 ; 4-byte Folded Reload
	s_waitcnt vmcnt(0)
	v_add_u32_e32 v3, v194, v6
	ds_read2st64_b32 v[4:5], v3 offset1:17
	v_add_u32_e32 v3, 0, v6
	ds_read2_b32 v[6:7], v3 offset0:64 offset1:65
	ds_read_b32 v8, v3 offset:4608
	scratch_load_dwordx2 v[12:13], off, off offset:44 ; 8-byte Folded Reload
	s_waitcnt lgkmcnt(2)
	v_cvt_f32_f16_e32 v10, v4
	v_cvt_f32_f16_sdwa v11, v4 dst_sel:DWORD dst_unused:UNUSED_PAD src0_sel:WORD_1
	v_cvt_f32_f16_e32 v4, v5
	v_cvt_f32_f16_sdwa v5, v5 dst_sel:DWORD dst_unused:UNUSED_PAD src0_sel:WORD_1
	s_waitcnt lgkmcnt(1)
	v_pk_fma_f32 v[10:11], v[6:7], v[10:11], 0 op_sel_hi:[0,1,0]
	s_waitcnt lgkmcnt(0)
	v_pk_fma_f32 v[4:5], v[8:9], v[4:5], v[10:11] op_sel_hi:[0,1,1]
	v_div_scale_f32 v6, s[16:17], v7, v7, v5
	v_rcp_f32_e32 v8, v6
	s_waitcnt vmcnt(0)
	v_mad_u64_u32 v[2:3], s[16:17], v2, s29, v[12:13]
	v_fma_f32 v9, -v6, v8, 1.0
	v_fmac_f32_e32 v8, v9, v8
	v_div_scale_f32 v9, vcc, v5, v7, v5
	v_mul_f32_e32 v10, v9, v8
	v_fma_f32 v11, -v6, v10, v9
	v_fmac_f32_e32 v10, v11, v8
	v_fma_f32 v6, -v6, v10, v9
	v_div_scale_f32 v9, s[16:17], v7, v7, v4
	v_rcp_f32_e32 v11, v9
	v_div_fmas_f32 v6, v6, v8, v10
	v_div_fixup_f32 v5, v6, v7, v5
	v_lshl_add_u32 v2, v2, 7, v94
	v_fma_f32 v6, -v9, v11, 1.0
	v_fmac_f32_e32 v11, v6, v11
	v_div_scale_f32 v6, vcc, v4, v7, v4
	v_mul_f32_e32 v8, v6, v11
	v_fma_f32 v10, -v9, v8, v6
	v_fmac_f32_e32 v8, v10, v11
	v_fma_f32 v6, -v9, v8, v6
	v_ashrrev_i32_e32 v3, 31, v2
	v_div_fmas_f32 v6, v6, v11, v8
	v_lshl_add_u64 v[2:3], v[2:3], 3, v[162:163]
	v_div_fixup_f32 v4, v6, v7, v4
	global_store_dwordx2 v[2:3], v[4:5], off
	v_mov_b32_e32 v3, 0
.LBB31_323:                             ;   in Loop: Header=BB31_12 Depth=1
	s_or_b64 exec, exec, s[12:13]
	v_cmp_gt_i32_e32 vcc, s80, v3
	s_mov_b64 s[12:13], -1
	s_and_saveexec_b64 s[16:17], vcc
; %bb.324:                              ;   in Loop: Header=BB31_12 Depth=1
	v_cmp_eq_u32_e32 vcc, 0, v3
	s_orn2_b64 s[12:13], vcc, exec
; %bb.325:                              ;   in Loop: Header=BB31_12 Depth=1
	s_or_b64 exec, exec, s[16:17]
	s_and_b64 exec, exec, s[12:13]
	s_cbranch_execz .LBB31_353
; %bb.326:                              ;   in Loop: Header=BB31_12 Depth=1
	scratch_load_dword v2, off, off offset:64 ; 4-byte Folded Reload
	v_mov_b32_e32 v3, 0x47
	s_waitcnt vmcnt(0)
	v_add_u32_e32 v2, v2, v143
	v_cmp_gt_i32_e32 vcc, s28, v2
	s_and_b64 s[16:17], vcc, s[10:11]
	s_and_saveexec_b64 s[12:13], s[16:17]
	s_cbranch_execz .LBB31_328
; %bb.327:                              ;   in Loop: Header=BB31_12 Depth=1
	scratch_load_dword v6, off, off offset:76 ; 4-byte Folded Reload
	s_waitcnt vmcnt(0)
	v_add_u32_e32 v3, v194, v6
	ds_read2st64_b32 v[4:5], v3 offset1:17
	v_add_u32_e32 v3, 0, v6
	ds_read2_b32 v[6:7], v3 offset0:64 offset1:65
	ds_read_b32 v8, v3 offset:4608
	v_mad_u64_u32 v[2:3], s[16:17], v2, s29, v[140:141]
	s_waitcnt lgkmcnt(2)
	v_cvt_f32_f16_e32 v10, v4
	v_cvt_f32_f16_sdwa v11, v4 dst_sel:DWORD dst_unused:UNUSED_PAD src0_sel:WORD_1
	v_cvt_f32_f16_e32 v4, v5
	v_cvt_f32_f16_sdwa v5, v5 dst_sel:DWORD dst_unused:UNUSED_PAD src0_sel:WORD_1
	v_lshl_add_u32 v2, v2, 7, v94
	s_waitcnt lgkmcnt(1)
	v_pk_fma_f32 v[10:11], v[6:7], v[10:11], 0 op_sel_hi:[0,1,0]
	v_ashrrev_i32_e32 v3, 31, v2
	s_waitcnt lgkmcnt(0)
	v_pk_fma_f32 v[4:5], v[8:9], v[4:5], v[10:11] op_sel_hi:[0,1,1]
	v_div_scale_f32 v6, s[16:17], v7, v7, v5
	v_rcp_f32_e32 v8, v6
	v_lshl_add_u64 v[2:3], v[2:3], 3, v[162:163]
	v_fma_f32 v9, -v6, v8, 1.0
	v_fmac_f32_e32 v8, v9, v8
	v_div_scale_f32 v9, vcc, v5, v7, v5
	v_mul_f32_e32 v10, v9, v8
	v_fma_f32 v11, -v6, v10, v9
	v_fmac_f32_e32 v10, v11, v8
	v_fma_f32 v6, -v6, v10, v9
	v_div_scale_f32 v9, s[16:17], v7, v7, v4
	v_rcp_f32_e32 v11, v9
	v_div_fmas_f32 v6, v6, v8, v10
	v_div_fixup_f32 v5, v6, v7, v5
	v_fma_f32 v6, -v9, v11, 1.0
	v_fmac_f32_e32 v11, v6, v11
	v_div_scale_f32 v6, vcc, v4, v7, v4
	v_mul_f32_e32 v8, v6, v11
	v_fma_f32 v10, -v9, v8, v6
	v_fmac_f32_e32 v8, v10, v11
	v_fma_f32 v6, -v9, v8, v6
	v_div_fmas_f32 v6, v6, v11, v8
	v_div_fixup_f32 v4, v6, v7, v4
	global_store_dwordx2 v[2:3], v[4:5], off
	v_mov_b32_e32 v3, 0
.LBB31_328:                             ;   in Loop: Header=BB31_12 Depth=1
	s_or_b64 exec, exec, s[12:13]
	v_cmp_gt_i32_e32 vcc, s80, v3
	s_mov_b64 s[12:13], -1
	s_and_saveexec_b64 s[16:17], vcc
; %bb.329:                              ;   in Loop: Header=BB31_12 Depth=1
	v_cmp_eq_u32_e32 vcc, 0, v3
	s_orn2_b64 s[12:13], vcc, exec
; %bb.330:                              ;   in Loop: Header=BB31_12 Depth=1
	s_or_b64 exec, exec, s[16:17]
	s_and_b64 exec, exec, s[12:13]
	s_cbranch_execz .LBB31_353
; %bb.331:                              ;   in Loop: Header=BB31_12 Depth=1
	scratch_load_dword v2, off, off offset:80 ; 4-byte Folded Reload
	scratch_load_dwordx2 v[4:5], off, off offset:68 ; 8-byte Folded Reload
	s_waitcnt vmcnt(1)
	v_add_u32_e32 v2, v2, v143
	s_waitcnt vmcnt(0)
	v_or_b32_e32 v3, v4, v97
	v_cmp_gt_i32_e32 vcc, s28, v2
	v_cmp_gt_i32_e64 s[12:13], s3, v3
	s_and_b64 s[16:17], vcc, s[12:13]
	v_mov_b32_e32 v3, 0x47
	s_and_saveexec_b64 s[12:13], s[16:17]
	s_cbranch_execz .LBB31_333
; %bb.332:                              ;   in Loop: Header=BB31_12 Depth=1
	scratch_load_dword v6, off, off offset:84 ; 4-byte Folded Reload
	s_waitcnt vmcnt(0)
	v_add_u32_e32 v3, v194, v6
	ds_read2st64_b32 v[4:5], v3 offset1:17
	v_add_u32_e32 v3, 0, v6
	ds_read2_b32 v[6:7], v3 offset0:64 offset1:65
	ds_read_b32 v8, v3 offset:4608
	scratch_load_dwordx2 v[12:13], off, off offset:68 ; 8-byte Folded Reload
	s_waitcnt lgkmcnt(2)
	v_cvt_f32_f16_e32 v10, v4
	v_cvt_f32_f16_sdwa v11, v4 dst_sel:DWORD dst_unused:UNUSED_PAD src0_sel:WORD_1
	v_cvt_f32_f16_e32 v4, v5
	v_cvt_f32_f16_sdwa v5, v5 dst_sel:DWORD dst_unused:UNUSED_PAD src0_sel:WORD_1
	s_waitcnt lgkmcnt(1)
	v_pk_fma_f32 v[10:11], v[6:7], v[10:11], 0 op_sel_hi:[0,1,0]
	s_waitcnt lgkmcnt(0)
	v_pk_fma_f32 v[4:5], v[8:9], v[4:5], v[10:11] op_sel_hi:[0,1,1]
	v_div_scale_f32 v6, s[16:17], v7, v7, v5
	v_rcp_f32_e32 v8, v6
	s_waitcnt vmcnt(0)
	v_mad_u64_u32 v[2:3], s[16:17], v2, s29, v[12:13]
	v_fma_f32 v9, -v6, v8, 1.0
	v_fmac_f32_e32 v8, v9, v8
	v_div_scale_f32 v9, vcc, v5, v7, v5
	v_mul_f32_e32 v10, v9, v8
	v_fma_f32 v11, -v6, v10, v9
	v_fmac_f32_e32 v10, v11, v8
	v_fma_f32 v6, -v6, v10, v9
	v_div_scale_f32 v9, s[16:17], v7, v7, v4
	v_rcp_f32_e32 v11, v9
	v_div_fmas_f32 v6, v6, v8, v10
	v_div_fixup_f32 v5, v6, v7, v5
	v_lshl_add_u32 v2, v2, 7, v94
	v_fma_f32 v6, -v9, v11, 1.0
	v_fmac_f32_e32 v11, v6, v11
	v_div_scale_f32 v6, vcc, v4, v7, v4
	v_mul_f32_e32 v8, v6, v11
	v_fma_f32 v10, -v9, v8, v6
	v_fmac_f32_e32 v8, v10, v11
	v_fma_f32 v6, -v9, v8, v6
	v_ashrrev_i32_e32 v3, 31, v2
	v_div_fmas_f32 v6, v6, v11, v8
	v_lshl_add_u64 v[2:3], v[2:3], 3, v[162:163]
	v_div_fixup_f32 v4, v6, v7, v4
	global_store_dwordx2 v[2:3], v[4:5], off
	v_mov_b32_e32 v3, 0
.LBB31_333:                             ;   in Loop: Header=BB31_12 Depth=1
	s_or_b64 exec, exec, s[12:13]
	v_cmp_gt_i32_e32 vcc, s80, v3
	s_mov_b64 s[12:13], -1
	s_and_saveexec_b64 s[16:17], vcc
; %bb.334:                              ;   in Loop: Header=BB31_12 Depth=1
	v_cmp_eq_u32_e32 vcc, 0, v3
	s_orn2_b64 s[12:13], vcc, exec
; %bb.335:                              ;   in Loop: Header=BB31_12 Depth=1
	s_or_b64 exec, exec, s[16:17]
	s_and_b64 exec, exec, s[12:13]
	s_cbranch_execz .LBB31_353
; %bb.336:                              ;   in Loop: Header=BB31_12 Depth=1
	scratch_load_dword v2, off, off offset:88 ; 4-byte Folded Reload
	v_mov_b32_e32 v3, 0x47
	s_waitcnt vmcnt(0)
	v_add_u32_e32 v2, v2, v143
	v_cmp_gt_i32_e32 vcc, s28, v2
	s_and_b64 s[16:17], vcc, s[10:11]
	s_and_saveexec_b64 s[12:13], s[16:17]
	s_cbranch_execz .LBB31_338
; %bb.337:                              ;   in Loop: Header=BB31_12 Depth=1
	scratch_load_dword v6, off, off offset:100 ; 4-byte Folded Reload
	s_waitcnt vmcnt(0)
	v_add_u32_e32 v3, v194, v6
	ds_read2st64_b32 v[4:5], v3 offset1:17
	v_add_u32_e32 v3, 0, v6
	ds_read2_b32 v[6:7], v3 offset0:64 offset1:65
	ds_read_b32 v8, v3 offset:4608
	v_mad_u64_u32 v[2:3], s[16:17], v2, s29, v[140:141]
	s_waitcnt lgkmcnt(2)
	v_cvt_f32_f16_e32 v10, v4
	v_cvt_f32_f16_sdwa v11, v4 dst_sel:DWORD dst_unused:UNUSED_PAD src0_sel:WORD_1
	v_cvt_f32_f16_e32 v4, v5
	v_cvt_f32_f16_sdwa v5, v5 dst_sel:DWORD dst_unused:UNUSED_PAD src0_sel:WORD_1
	v_lshl_add_u32 v2, v2, 7, v94
	s_waitcnt lgkmcnt(1)
	v_pk_fma_f32 v[10:11], v[6:7], v[10:11], 0 op_sel_hi:[0,1,0]
	v_ashrrev_i32_e32 v3, 31, v2
	s_waitcnt lgkmcnt(0)
	v_pk_fma_f32 v[4:5], v[8:9], v[4:5], v[10:11] op_sel_hi:[0,1,1]
	v_div_scale_f32 v6, s[16:17], v7, v7, v5
	v_rcp_f32_e32 v8, v6
	v_lshl_add_u64 v[2:3], v[2:3], 3, v[162:163]
	v_fma_f32 v9, -v6, v8, 1.0
	v_fmac_f32_e32 v8, v9, v8
	v_div_scale_f32 v9, vcc, v5, v7, v5
	v_mul_f32_e32 v10, v9, v8
	v_fma_f32 v11, -v6, v10, v9
	v_fmac_f32_e32 v10, v11, v8
	v_fma_f32 v6, -v6, v10, v9
	v_div_scale_f32 v9, s[16:17], v7, v7, v4
	v_rcp_f32_e32 v11, v9
	v_div_fmas_f32 v6, v6, v8, v10
	v_div_fixup_f32 v5, v6, v7, v5
	v_fma_f32 v6, -v9, v11, 1.0
	v_fmac_f32_e32 v11, v6, v11
	v_div_scale_f32 v6, vcc, v4, v7, v4
	v_mul_f32_e32 v8, v6, v11
	v_fma_f32 v10, -v9, v8, v6
	v_fmac_f32_e32 v8, v10, v11
	v_fma_f32 v6, -v9, v8, v6
	v_div_fmas_f32 v6, v6, v11, v8
	v_div_fixup_f32 v4, v6, v7, v4
	global_store_dwordx2 v[2:3], v[4:5], off
	v_mov_b32_e32 v3, 0
.LBB31_338:                             ;   in Loop: Header=BB31_12 Depth=1
	s_or_b64 exec, exec, s[12:13]
	v_cmp_gt_i32_e32 vcc, s80, v3
	s_mov_b64 s[12:13], -1
	s_and_saveexec_b64 s[16:17], vcc
; %bb.339:                              ;   in Loop: Header=BB31_12 Depth=1
	v_cmp_eq_u32_e32 vcc, 0, v3
	s_orn2_b64 s[12:13], vcc, exec
; %bb.340:                              ;   in Loop: Header=BB31_12 Depth=1
	s_or_b64 exec, exec, s[16:17]
	s_and_b64 exec, exec, s[12:13]
	s_cbranch_execz .LBB31_353
; %bb.341:                              ;   in Loop: Header=BB31_12 Depth=1
	scratch_load_dword v2, off, off offset:104 ; 4-byte Folded Reload
	scratch_load_dwordx2 v[4:5], off, off offset:92 ; 8-byte Folded Reload
	s_waitcnt vmcnt(1)
	v_add_u32_e32 v2, v2, v143
	s_waitcnt vmcnt(0)
	v_or_b32_e32 v3, v4, v97
	v_cmp_gt_i32_e32 vcc, s28, v2
	v_cmp_gt_i32_e64 s[12:13], s3, v3
	s_and_b64 s[16:17], vcc, s[12:13]
	v_mov_b32_e32 v3, 0x47
	s_and_saveexec_b64 s[12:13], s[16:17]
	s_cbranch_execz .LBB31_343
; %bb.342:                              ;   in Loop: Header=BB31_12 Depth=1
	scratch_load_dword v6, off, off offset:108 ; 4-byte Folded Reload
	s_waitcnt vmcnt(0)
	v_add_u32_e32 v3, v194, v6
	ds_read2st64_b32 v[4:5], v3 offset1:17
	v_add_u32_e32 v3, 0, v6
	ds_read2_b32 v[6:7], v3 offset0:64 offset1:65
	ds_read_b32 v8, v3 offset:4608
	scratch_load_dwordx2 v[12:13], off, off offset:92 ; 8-byte Folded Reload
	s_waitcnt lgkmcnt(2)
	v_cvt_f32_f16_e32 v10, v4
	v_cvt_f32_f16_sdwa v11, v4 dst_sel:DWORD dst_unused:UNUSED_PAD src0_sel:WORD_1
	v_cvt_f32_f16_e32 v4, v5
	v_cvt_f32_f16_sdwa v5, v5 dst_sel:DWORD dst_unused:UNUSED_PAD src0_sel:WORD_1
	s_waitcnt lgkmcnt(1)
	v_pk_fma_f32 v[10:11], v[6:7], v[10:11], 0 op_sel_hi:[0,1,0]
	s_waitcnt lgkmcnt(0)
	v_pk_fma_f32 v[4:5], v[8:9], v[4:5], v[10:11] op_sel_hi:[0,1,1]
	v_div_scale_f32 v6, s[16:17], v7, v7, v5
	v_rcp_f32_e32 v8, v6
	s_waitcnt vmcnt(0)
	v_mad_u64_u32 v[2:3], s[16:17], v2, s29, v[12:13]
	v_fma_f32 v9, -v6, v8, 1.0
	v_fmac_f32_e32 v8, v9, v8
	v_div_scale_f32 v9, vcc, v5, v7, v5
	v_mul_f32_e32 v10, v9, v8
	v_fma_f32 v11, -v6, v10, v9
	v_fmac_f32_e32 v10, v11, v8
	v_fma_f32 v6, -v6, v10, v9
	v_div_scale_f32 v9, s[16:17], v7, v7, v4
	v_rcp_f32_e32 v11, v9
	v_div_fmas_f32 v6, v6, v8, v10
	v_div_fixup_f32 v5, v6, v7, v5
	v_lshl_add_u32 v2, v2, 7, v94
	v_fma_f32 v6, -v9, v11, 1.0
	v_fmac_f32_e32 v11, v6, v11
	v_div_scale_f32 v6, vcc, v4, v7, v4
	v_mul_f32_e32 v8, v6, v11
	v_fma_f32 v10, -v9, v8, v6
	v_fmac_f32_e32 v8, v10, v11
	v_fma_f32 v6, -v9, v8, v6
	v_ashrrev_i32_e32 v3, 31, v2
	v_div_fmas_f32 v6, v6, v11, v8
	v_lshl_add_u64 v[2:3], v[2:3], 3, v[162:163]
	v_div_fixup_f32 v4, v6, v7, v4
	global_store_dwordx2 v[2:3], v[4:5], off
	v_mov_b32_e32 v3, 0
.LBB31_343:                             ;   in Loop: Header=BB31_12 Depth=1
	s_or_b64 exec, exec, s[12:13]
	v_cmp_gt_i32_e32 vcc, s80, v3
	s_mov_b64 s[12:13], -1
	s_and_saveexec_b64 s[16:17], vcc
; %bb.344:                              ;   in Loop: Header=BB31_12 Depth=1
	v_cmp_eq_u32_e32 vcc, 0, v3
	s_orn2_b64 s[12:13], vcc, exec
; %bb.345:                              ;   in Loop: Header=BB31_12 Depth=1
	s_or_b64 exec, exec, s[16:17]
	s_and_b64 exec, exec, s[12:13]
	s_cbranch_execz .LBB31_353
; %bb.346:                              ;   in Loop: Header=BB31_12 Depth=1
	scratch_load_dword v2, off, off offset:112 ; 4-byte Folded Reload
	v_mov_b32_e32 v3, 0x47
	s_waitcnt vmcnt(0)
	v_add_u32_e32 v2, v2, v143
	v_cmp_gt_i32_e32 vcc, s28, v2
	s_and_b64 s[12:13], vcc, s[10:11]
	s_and_saveexec_b64 s[10:11], s[12:13]
	s_cbranch_execz .LBB31_348
; %bb.347:                              ;   in Loop: Header=BB31_12 Depth=1
	scratch_load_dword v6, off, off offset:124 ; 4-byte Folded Reload
	s_waitcnt vmcnt(0)
	v_add_u32_e32 v3, v194, v6
	ds_read2st64_b32 v[4:5], v3 offset1:17
	v_add_u32_e32 v3, 0, v6
	ds_read2_b32 v[6:7], v3 offset0:64 offset1:65
	ds_read_b32 v8, v3 offset:4608
	v_mad_u64_u32 v[2:3], s[12:13], v2, s29, v[140:141]
	s_waitcnt lgkmcnt(2)
	v_cvt_f32_f16_e32 v10, v4
	v_cvt_f32_f16_sdwa v11, v4 dst_sel:DWORD dst_unused:UNUSED_PAD src0_sel:WORD_1
	v_cvt_f32_f16_e32 v4, v5
	v_cvt_f32_f16_sdwa v5, v5 dst_sel:DWORD dst_unused:UNUSED_PAD src0_sel:WORD_1
	v_lshl_add_u32 v2, v2, 7, v94
	s_waitcnt lgkmcnt(1)
	v_pk_fma_f32 v[10:11], v[6:7], v[10:11], 0 op_sel_hi:[0,1,0]
	v_ashrrev_i32_e32 v3, 31, v2
	s_waitcnt lgkmcnt(0)
	v_pk_fma_f32 v[4:5], v[8:9], v[4:5], v[10:11] op_sel_hi:[0,1,1]
	v_div_scale_f32 v6, s[12:13], v7, v7, v5
	v_rcp_f32_e32 v8, v6
	v_lshl_add_u64 v[2:3], v[2:3], 3, v[162:163]
	v_fma_f32 v9, -v6, v8, 1.0
	v_fmac_f32_e32 v8, v9, v8
	v_div_scale_f32 v9, vcc, v5, v7, v5
	v_mul_f32_e32 v10, v9, v8
	v_fma_f32 v11, -v6, v10, v9
	v_fmac_f32_e32 v10, v11, v8
	v_fma_f32 v6, -v6, v10, v9
	v_div_scale_f32 v9, s[12:13], v7, v7, v4
	v_rcp_f32_e32 v11, v9
	v_div_fmas_f32 v6, v6, v8, v10
	v_div_fixup_f32 v5, v6, v7, v5
	v_fma_f32 v6, -v9, v11, 1.0
	v_fmac_f32_e32 v11, v6, v11
	v_div_scale_f32 v6, vcc, v4, v7, v4
	v_mul_f32_e32 v8, v6, v11
	v_fma_f32 v10, -v9, v8, v6
	v_fmac_f32_e32 v8, v10, v11
	v_fma_f32 v6, -v9, v8, v6
	v_div_fmas_f32 v6, v6, v11, v8
	v_div_fixup_f32 v4, v6, v7, v4
	global_store_dwordx2 v[2:3], v[4:5], off
	v_mov_b32_e32 v3, 0
.LBB31_348:                             ;   in Loop: Header=BB31_12 Depth=1
	s_or_b64 exec, exec, s[10:11]
	v_cmp_gt_i32_e32 vcc, s80, v3
	s_mov_b64 s[10:11], -1
	s_and_saveexec_b64 s[12:13], vcc
; %bb.349:                              ;   in Loop: Header=BB31_12 Depth=1
	v_cmp_eq_u32_e32 vcc, 0, v3
	s_orn2_b64 s[10:11], vcc, exec
; %bb.350:                              ;   in Loop: Header=BB31_12 Depth=1
	s_or_b64 exec, exec, s[12:13]
	s_and_b64 exec, exec, s[10:11]
	s_cbranch_execz .LBB31_353
; %bb.351:                              ;   in Loop: Header=BB31_12 Depth=1
	scratch_load_dword v2, off, off offset:128 ; 4-byte Folded Reload
	scratch_load_dwordx2 v[4:5], off, off offset:116 ; 8-byte Folded Reload
	s_waitcnt vmcnt(1)
	v_add_u32_e32 v2, v2, v143
	s_waitcnt vmcnt(0)
	v_or_b32_e32 v3, v4, v97
	v_cmp_gt_i32_e32 vcc, s28, v2
	v_cmp_gt_i32_e64 s[10:11], s3, v3
	s_and_b64 s[10:11], vcc, s[10:11]
	s_and_b64 exec, exec, s[10:11]
	s_cbranch_execz .LBB31_353
; %bb.352:                              ;   in Loop: Header=BB31_12 Depth=1
	scratch_load_dword v6, off, off offset:132 ; 4-byte Folded Reload
	s_waitcnt vmcnt(0)
	v_add_u32_e32 v3, v194, v6
	ds_read2st64_b32 v[4:5], v3 offset1:17
	v_add_u32_e32 v3, 0, v6
	ds_read2_b32 v[6:7], v3 offset0:64 offset1:65
	ds_read_b32 v8, v3 offset:4608
	scratch_load_dwordx2 v[12:13], off, off offset:116 ; 8-byte Folded Reload
	s_waitcnt lgkmcnt(2)
	v_cvt_f32_f16_e32 v10, v4
	v_cvt_f32_f16_sdwa v11, v4 dst_sel:DWORD dst_unused:UNUSED_PAD src0_sel:WORD_1
	v_cvt_f32_f16_e32 v4, v5
	v_cvt_f32_f16_sdwa v5, v5 dst_sel:DWORD dst_unused:UNUSED_PAD src0_sel:WORD_1
	s_waitcnt lgkmcnt(1)
	v_pk_fma_f32 v[10:11], v[6:7], v[10:11], 0 op_sel_hi:[0,1,0]
	s_waitcnt lgkmcnt(0)
	v_pk_fma_f32 v[4:5], v[8:9], v[4:5], v[10:11] op_sel_hi:[0,1,1]
	v_div_scale_f32 v6, s[10:11], v7, v7, v5
	v_rcp_f32_e32 v8, v6
	s_waitcnt vmcnt(0)
	v_mad_u64_u32 v[2:3], s[10:11], v2, s29, v[12:13]
	v_fma_f32 v9, -v6, v8, 1.0
	v_fmac_f32_e32 v8, v9, v8
	v_div_scale_f32 v9, vcc, v5, v7, v5
	v_mul_f32_e32 v10, v9, v8
	v_fma_f32 v11, -v6, v10, v9
	v_fmac_f32_e32 v10, v11, v8
	v_fma_f32 v6, -v6, v10, v9
	v_div_scale_f32 v9, s[10:11], v7, v7, v4
	v_rcp_f32_e32 v11, v9
	v_div_fmas_f32 v6, v6, v8, v10
	v_div_fixup_f32 v5, v6, v7, v5
	v_lshl_add_u32 v2, v2, 7, v94
	v_fma_f32 v6, -v9, v11, 1.0
	v_fmac_f32_e32 v11, v6, v11
	v_div_scale_f32 v6, vcc, v4, v7, v4
	v_mul_f32_e32 v8, v6, v11
	v_fma_f32 v10, -v9, v8, v6
	v_fmac_f32_e32 v8, v10, v11
	v_fma_f32 v6, -v9, v8, v6
	v_ashrrev_i32_e32 v3, 31, v2
	v_div_fmas_f32 v6, v6, v11, v8
	v_lshl_add_u64 v[2:3], v[2:3], 3, v[162:163]
	v_div_fixup_f32 v4, v6, v7, v4
	global_store_dwordx2 v[2:3], v[4:5], off
.LBB31_353:                             ;   in Loop: Header=BB31_12 Depth=1
	s_or_b64 exec, exec, s[14:15]
	s_barrier
	ds_write2_b32 v202, v75, v44 offset1:1
	ds_write2_b32 v202, v77, v48 offset0:8 offset1:9
	ds_write2_b32 v202, v50, v53 offset0:16 offset1:17
	;; [unrolled: 1-line block ×7, first 2 shown]
	s_waitcnt lgkmcnt(0)
	s_barrier
	s_and_saveexec_b64 s[14:15], s[24:25]
	s_cbranch_execz .LBB31_10
; %bb.354:                              ;   in Loop: Header=BB31_12 Depth=1
	v_add_u32_e32 v2, v231, v143
	v_or_b32_e32 v3, v140, v97
	v_cmp_gt_i32_e32 vcc, s28, v2
	v_cmp_gt_i32_e64 s[10:11], s3, v3
	s_and_b64 s[16:17], vcc, s[10:11]
	v_mov_b32_e32 v3, 0x47
	s_and_saveexec_b64 s[12:13], s[16:17]
	s_cbranch_execz .LBB31_356
; %bb.355:                              ;   in Loop: Header=BB31_12 Depth=1
	v_add_u32_e32 v3, v194, v211
	ds_read2st64_b32 v[4:5], v3 offset1:17
	v_add_u32_e32 v3, 0, v211
	ds_read2_b32 v[6:7], v3 offset0:64 offset1:65
	ds_read_b32 v8, v3 offset:4608
	v_mad_u64_u32 v[2:3], s[16:17], v2, s29, v[140:141]
	s_waitcnt lgkmcnt(2)
	v_cvt_f32_f16_e32 v10, v4
	v_cvt_f32_f16_sdwa v11, v4 dst_sel:DWORD dst_unused:UNUSED_PAD src0_sel:WORD_1
	v_cvt_f32_f16_e32 v4, v5
	v_cvt_f32_f16_sdwa v5, v5 dst_sel:DWORD dst_unused:UNUSED_PAD src0_sel:WORD_1
	v_lshl_add_u32 v2, v2, 7, v239
	s_waitcnt lgkmcnt(1)
	v_pk_fma_f32 v[10:11], v[6:7], v[10:11], 0 op_sel_hi:[0,1,0]
	v_ashrrev_i32_e32 v3, 31, v2
	s_waitcnt lgkmcnt(0)
	v_pk_fma_f32 v[4:5], v[8:9], v[4:5], v[10:11] op_sel_hi:[0,1,1]
	v_div_scale_f32 v6, s[16:17], v7, v7, v5
	v_rcp_f32_e32 v8, v6
	v_lshl_add_u64 v[2:3], v[2:3], 3, v[162:163]
	v_fma_f32 v9, -v6, v8, 1.0
	v_fmac_f32_e32 v8, v9, v8
	v_div_scale_f32 v9, vcc, v5, v7, v5
	v_mul_f32_e32 v10, v9, v8
	v_fma_f32 v11, -v6, v10, v9
	v_fmac_f32_e32 v10, v11, v8
	v_fma_f32 v6, -v6, v10, v9
	v_div_scale_f32 v9, s[16:17], v7, v7, v4
	v_rcp_f32_e32 v11, v9
	v_div_fmas_f32 v6, v6, v8, v10
	v_div_fixup_f32 v5, v6, v7, v5
	v_fma_f32 v6, -v9, v11, 1.0
	v_fmac_f32_e32 v11, v6, v11
	v_div_scale_f32 v6, vcc, v4, v7, v4
	v_mul_f32_e32 v8, v6, v11
	v_fma_f32 v10, -v9, v8, v6
	v_fmac_f32_e32 v8, v10, v11
	v_fma_f32 v6, -v9, v8, v6
	v_div_fmas_f32 v6, v6, v11, v8
	v_div_fixup_f32 v4, v6, v7, v4
	global_store_dwordx2 v[2:3], v[4:5], off
	v_mov_b32_e32 v3, 0
.LBB31_356:                             ;   in Loop: Header=BB31_12 Depth=1
	s_or_b64 exec, exec, s[12:13]
	v_cmp_gt_i32_e32 vcc, s80, v3
	s_mov_b64 s[12:13], -1
	s_and_saveexec_b64 s[16:17], vcc
; %bb.357:                              ;   in Loop: Header=BB31_12 Depth=1
	v_cmp_eq_u32_e32 vcc, 0, v3
	s_orn2_b64 s[12:13], vcc, exec
; %bb.358:                              ;   in Loop: Header=BB31_12 Depth=1
	s_or_b64 exec, exec, s[16:17]
	s_and_b64 exec, exec, s[12:13]
	s_cbranch_execz .LBB31_10
; %bb.359:                              ;   in Loop: Header=BB31_12 Depth=1
	v_add_u32_e32 v2, v232, v143
	v_or_b32_e32 v3, v120, v97
	v_cmp_gt_i32_e32 vcc, s28, v2
	v_cmp_gt_i32_e64 s[12:13], s3, v3
	s_and_b64 s[16:17], vcc, s[12:13]
	v_mov_b32_e32 v3, 0x47
	s_and_saveexec_b64 s[12:13], s[16:17]
	s_cbranch_execz .LBB31_361
; %bb.360:                              ;   in Loop: Header=BB31_12 Depth=1
	v_add_u32_e32 v3, v194, v212
	ds_read2st64_b32 v[4:5], v3 offset1:17
	v_add_u32_e32 v3, 0, v212
	ds_read2_b32 v[6:7], v3 offset0:64 offset1:65
	ds_read_b32 v8, v3 offset:4608
	v_mad_u64_u32 v[2:3], s[16:17], v2, s29, v[120:121]
	s_waitcnt lgkmcnt(2)
	v_cvt_f32_f16_e32 v10, v4
	v_cvt_f32_f16_sdwa v11, v4 dst_sel:DWORD dst_unused:UNUSED_PAD src0_sel:WORD_1
	v_cvt_f32_f16_e32 v4, v5
	v_cvt_f32_f16_sdwa v5, v5 dst_sel:DWORD dst_unused:UNUSED_PAD src0_sel:WORD_1
	v_lshl_add_u32 v2, v2, 7, v239
	s_waitcnt lgkmcnt(1)
	v_pk_fma_f32 v[10:11], v[6:7], v[10:11], 0 op_sel_hi:[0,1,0]
	v_ashrrev_i32_e32 v3, 31, v2
	s_waitcnt lgkmcnt(0)
	v_pk_fma_f32 v[4:5], v[8:9], v[4:5], v[10:11] op_sel_hi:[0,1,1]
	v_div_scale_f32 v6, s[16:17], v7, v7, v5
	v_rcp_f32_e32 v8, v6
	v_lshl_add_u64 v[2:3], v[2:3], 3, v[162:163]
	v_fma_f32 v9, -v6, v8, 1.0
	v_fmac_f32_e32 v8, v9, v8
	v_div_scale_f32 v9, vcc, v5, v7, v5
	v_mul_f32_e32 v10, v9, v8
	v_fma_f32 v11, -v6, v10, v9
	v_fmac_f32_e32 v10, v11, v8
	v_fma_f32 v6, -v6, v10, v9
	v_div_scale_f32 v9, s[16:17], v7, v7, v4
	v_rcp_f32_e32 v11, v9
	v_div_fmas_f32 v6, v6, v8, v10
	v_div_fixup_f32 v5, v6, v7, v5
	v_fma_f32 v6, -v9, v11, 1.0
	v_fmac_f32_e32 v11, v6, v11
	v_div_scale_f32 v6, vcc, v4, v7, v4
	v_mul_f32_e32 v8, v6, v11
	v_fma_f32 v10, -v9, v8, v6
	v_fmac_f32_e32 v8, v10, v11
	v_fma_f32 v6, -v9, v8, v6
	v_div_fmas_f32 v6, v6, v11, v8
	v_div_fixup_f32 v4, v6, v7, v4
	global_store_dwordx2 v[2:3], v[4:5], off
	v_mov_b32_e32 v3, 0
.LBB31_361:                             ;   in Loop: Header=BB31_12 Depth=1
	s_or_b64 exec, exec, s[12:13]
	v_cmp_gt_i32_e32 vcc, s80, v3
	s_mov_b64 s[12:13], -1
	s_and_saveexec_b64 s[16:17], vcc
; %bb.362:                              ;   in Loop: Header=BB31_12 Depth=1
	v_cmp_eq_u32_e32 vcc, 0, v3
	s_orn2_b64 s[12:13], vcc, exec
; %bb.363:                              ;   in Loop: Header=BB31_12 Depth=1
	s_or_b64 exec, exec, s[16:17]
	s_and_b64 exec, exec, s[12:13]
	s_cbranch_execz .LBB31_10
; %bb.364:                              ;   in Loop: Header=BB31_12 Depth=1
	v_add_u32_e32 v2, v213, v143
	v_cmp_gt_i32_e32 vcc, s28, v2
	s_and_b64 s[16:17], vcc, s[10:11]
	v_mov_b32_e32 v3, 0x47
	s_and_saveexec_b64 s[12:13], s[16:17]
	s_cbranch_execz .LBB31_366
; %bb.365:                              ;   in Loop: Header=BB31_12 Depth=1
	v_add_u32_e32 v3, v194, v214
	ds_read2st64_b32 v[4:5], v3 offset1:17
	v_add_u32_e32 v3, 0, v214
	ds_read2_b32 v[6:7], v3 offset0:64 offset1:65
	ds_read_b32 v8, v3 offset:4608
	v_mad_u64_u32 v[2:3], s[16:17], v2, s29, v[140:141]
	s_waitcnt lgkmcnt(2)
	v_cvt_f32_f16_e32 v10, v4
	v_cvt_f32_f16_sdwa v11, v4 dst_sel:DWORD dst_unused:UNUSED_PAD src0_sel:WORD_1
	v_cvt_f32_f16_e32 v4, v5
	v_cvt_f32_f16_sdwa v5, v5 dst_sel:DWORD dst_unused:UNUSED_PAD src0_sel:WORD_1
	v_lshl_add_u32 v2, v2, 7, v239
	s_waitcnt lgkmcnt(1)
	v_pk_fma_f32 v[10:11], v[6:7], v[10:11], 0 op_sel_hi:[0,1,0]
	v_ashrrev_i32_e32 v3, 31, v2
	s_waitcnt lgkmcnt(0)
	v_pk_fma_f32 v[4:5], v[8:9], v[4:5], v[10:11] op_sel_hi:[0,1,1]
	v_div_scale_f32 v6, s[16:17], v7, v7, v5
	v_rcp_f32_e32 v8, v6
	v_lshl_add_u64 v[2:3], v[2:3], 3, v[162:163]
	v_fma_f32 v9, -v6, v8, 1.0
	v_fmac_f32_e32 v8, v9, v8
	v_div_scale_f32 v9, vcc, v5, v7, v5
	v_mul_f32_e32 v10, v9, v8
	v_fma_f32 v11, -v6, v10, v9
	v_fmac_f32_e32 v10, v11, v8
	v_fma_f32 v6, -v6, v10, v9
	v_div_scale_f32 v9, s[16:17], v7, v7, v4
	v_rcp_f32_e32 v11, v9
	v_div_fmas_f32 v6, v6, v8, v10
	v_div_fixup_f32 v5, v6, v7, v5
	v_fma_f32 v6, -v9, v11, 1.0
	v_fmac_f32_e32 v11, v6, v11
	v_div_scale_f32 v6, vcc, v4, v7, v4
	v_mul_f32_e32 v8, v6, v11
	v_fma_f32 v10, -v9, v8, v6
	v_fmac_f32_e32 v8, v10, v11
	v_fma_f32 v6, -v9, v8, v6
	v_div_fmas_f32 v6, v6, v11, v8
	v_div_fixup_f32 v4, v6, v7, v4
	global_store_dwordx2 v[2:3], v[4:5], off
	v_mov_b32_e32 v3, 0
.LBB31_366:                             ;   in Loop: Header=BB31_12 Depth=1
	s_or_b64 exec, exec, s[12:13]
	v_cmp_gt_i32_e32 vcc, s80, v3
	s_mov_b64 s[12:13], -1
	s_and_saveexec_b64 s[16:17], vcc
; %bb.367:                              ;   in Loop: Header=BB31_12 Depth=1
	v_cmp_eq_u32_e32 vcc, 0, v3
	s_orn2_b64 s[12:13], vcc, exec
; %bb.368:                              ;   in Loop: Header=BB31_12 Depth=1
	s_or_b64 exec, exec, s[16:17]
	s_and_b64 exec, exec, s[12:13]
	s_cbranch_execz .LBB31_10
; %bb.369:                              ;   in Loop: Header=BB31_12 Depth=1
	v_add_u32_e32 v2, v134, v143
	v_or_b32_e32 v3, v122, v97
	v_cmp_gt_i32_e32 vcc, s28, v2
	v_cmp_gt_i32_e64 s[12:13], s3, v3
	s_and_b64 s[16:17], vcc, s[12:13]
	v_mov_b32_e32 v3, 0x47
	s_and_saveexec_b64 s[12:13], s[16:17]
	s_cbranch_execz .LBB31_371
; %bb.370:                              ;   in Loop: Header=BB31_12 Depth=1
	v_add_u32_e32 v3, v194, v215
	ds_read2st64_b32 v[4:5], v3 offset1:17
	v_add_u32_e32 v3, 0, v215
	ds_read2_b32 v[6:7], v3 offset0:64 offset1:65
	ds_read_b32 v8, v3 offset:4608
	v_mad_u64_u32 v[2:3], s[16:17], v2, s29, v[122:123]
	s_waitcnt lgkmcnt(2)
	v_cvt_f32_f16_e32 v10, v4
	v_cvt_f32_f16_sdwa v11, v4 dst_sel:DWORD dst_unused:UNUSED_PAD src0_sel:WORD_1
	v_cvt_f32_f16_e32 v4, v5
	v_cvt_f32_f16_sdwa v5, v5 dst_sel:DWORD dst_unused:UNUSED_PAD src0_sel:WORD_1
	v_lshl_add_u32 v2, v2, 7, v239
	s_waitcnt lgkmcnt(1)
	v_pk_fma_f32 v[10:11], v[6:7], v[10:11], 0 op_sel_hi:[0,1,0]
	v_ashrrev_i32_e32 v3, 31, v2
	s_waitcnt lgkmcnt(0)
	v_pk_fma_f32 v[4:5], v[8:9], v[4:5], v[10:11] op_sel_hi:[0,1,1]
	v_div_scale_f32 v6, s[16:17], v7, v7, v5
	v_rcp_f32_e32 v8, v6
	v_lshl_add_u64 v[2:3], v[2:3], 3, v[162:163]
	v_fma_f32 v9, -v6, v8, 1.0
	v_fmac_f32_e32 v8, v9, v8
	v_div_scale_f32 v9, vcc, v5, v7, v5
	v_mul_f32_e32 v10, v9, v8
	v_fma_f32 v11, -v6, v10, v9
	v_fmac_f32_e32 v10, v11, v8
	v_fma_f32 v6, -v6, v10, v9
	v_div_scale_f32 v9, s[16:17], v7, v7, v4
	v_rcp_f32_e32 v11, v9
	v_div_fmas_f32 v6, v6, v8, v10
	v_div_fixup_f32 v5, v6, v7, v5
	v_fma_f32 v6, -v9, v11, 1.0
	v_fmac_f32_e32 v11, v6, v11
	v_div_scale_f32 v6, vcc, v4, v7, v4
	v_mul_f32_e32 v8, v6, v11
	v_fma_f32 v10, -v9, v8, v6
	v_fmac_f32_e32 v8, v10, v11
	v_fma_f32 v6, -v9, v8, v6
	v_div_fmas_f32 v6, v6, v11, v8
	v_div_fixup_f32 v4, v6, v7, v4
	global_store_dwordx2 v[2:3], v[4:5], off
	v_mov_b32_e32 v3, 0
.LBB31_371:                             ;   in Loop: Header=BB31_12 Depth=1
	s_or_b64 exec, exec, s[12:13]
	v_cmp_gt_i32_e32 vcc, s80, v3
	s_mov_b64 s[12:13], -1
	s_and_saveexec_b64 s[16:17], vcc
; %bb.372:                              ;   in Loop: Header=BB31_12 Depth=1
	v_cmp_eq_u32_e32 vcc, 0, v3
	s_orn2_b64 s[12:13], vcc, exec
; %bb.373:                              ;   in Loop: Header=BB31_12 Depth=1
	s_or_b64 exec, exec, s[16:17]
	s_and_b64 exec, exec, s[12:13]
	s_cbranch_execz .LBB31_10
; %bb.374:                              ;   in Loop: Header=BB31_12 Depth=1
	v_add_u32_e32 v2, v216, v143
	v_cmp_gt_i32_e32 vcc, s28, v2
	s_and_b64 s[16:17], vcc, s[10:11]
	v_mov_b32_e32 v3, 0x47
	s_and_saveexec_b64 s[12:13], s[16:17]
	s_cbranch_execz .LBB31_376
; %bb.375:                              ;   in Loop: Header=BB31_12 Depth=1
	v_add_u32_e32 v3, v194, v217
	ds_read2st64_b32 v[4:5], v3 offset1:17
	v_add_u32_e32 v3, 0, v217
	ds_read2_b32 v[6:7], v3 offset0:64 offset1:65
	ds_read_b32 v8, v3 offset:4608
	v_mad_u64_u32 v[2:3], s[16:17], v2, s29, v[140:141]
	s_waitcnt lgkmcnt(2)
	v_cvt_f32_f16_e32 v10, v4
	v_cvt_f32_f16_sdwa v11, v4 dst_sel:DWORD dst_unused:UNUSED_PAD src0_sel:WORD_1
	v_cvt_f32_f16_e32 v4, v5
	v_cvt_f32_f16_sdwa v5, v5 dst_sel:DWORD dst_unused:UNUSED_PAD src0_sel:WORD_1
	v_lshl_add_u32 v2, v2, 7, v239
	s_waitcnt lgkmcnt(1)
	v_pk_fma_f32 v[10:11], v[6:7], v[10:11], 0 op_sel_hi:[0,1,0]
	v_ashrrev_i32_e32 v3, 31, v2
	s_waitcnt lgkmcnt(0)
	v_pk_fma_f32 v[4:5], v[8:9], v[4:5], v[10:11] op_sel_hi:[0,1,1]
	v_div_scale_f32 v6, s[16:17], v7, v7, v5
	v_rcp_f32_e32 v8, v6
	v_lshl_add_u64 v[2:3], v[2:3], 3, v[162:163]
	v_fma_f32 v9, -v6, v8, 1.0
	v_fmac_f32_e32 v8, v9, v8
	v_div_scale_f32 v9, vcc, v5, v7, v5
	v_mul_f32_e32 v10, v9, v8
	v_fma_f32 v11, -v6, v10, v9
	v_fmac_f32_e32 v10, v11, v8
	v_fma_f32 v6, -v6, v10, v9
	v_div_scale_f32 v9, s[16:17], v7, v7, v4
	v_rcp_f32_e32 v11, v9
	v_div_fmas_f32 v6, v6, v8, v10
	v_div_fixup_f32 v5, v6, v7, v5
	v_fma_f32 v6, -v9, v11, 1.0
	v_fmac_f32_e32 v11, v6, v11
	v_div_scale_f32 v6, vcc, v4, v7, v4
	v_mul_f32_e32 v8, v6, v11
	v_fma_f32 v10, -v9, v8, v6
	v_fmac_f32_e32 v8, v10, v11
	v_fma_f32 v6, -v9, v8, v6
	v_div_fmas_f32 v6, v6, v11, v8
	v_div_fixup_f32 v4, v6, v7, v4
	global_store_dwordx2 v[2:3], v[4:5], off
	v_mov_b32_e32 v3, 0
.LBB31_376:                             ;   in Loop: Header=BB31_12 Depth=1
	s_or_b64 exec, exec, s[12:13]
	v_cmp_gt_i32_e32 vcc, s80, v3
	s_mov_b64 s[12:13], -1
	s_and_saveexec_b64 s[16:17], vcc
; %bb.377:                              ;   in Loop: Header=BB31_12 Depth=1
	v_cmp_eq_u32_e32 vcc, 0, v3
	s_orn2_b64 s[12:13], vcc, exec
; %bb.378:                              ;   in Loop: Header=BB31_12 Depth=1
	s_or_b64 exec, exec, s[16:17]
	s_and_b64 exec, exec, s[12:13]
	s_cbranch_execz .LBB31_10
; %bb.379:                              ;   in Loop: Header=BB31_12 Depth=1
	scratch_load_dword v2, off, off offset:8 ; 4-byte Folded Reload
	scratch_load_dwordx2 v[4:5], off, off   ; 8-byte Folded Reload
	s_waitcnt vmcnt(1)
	v_add_u32_e32 v2, v2, v143
	s_waitcnt vmcnt(0)
	v_or_b32_e32 v3, v4, v97
	v_cmp_gt_i32_e32 vcc, s28, v2
	v_cmp_gt_i32_e64 s[12:13], s3, v3
	s_and_b64 s[16:17], vcc, s[12:13]
	v_mov_b32_e32 v3, 0x47
	s_and_saveexec_b64 s[12:13], s[16:17]
	s_cbranch_execz .LBB31_381
; %bb.380:                              ;   in Loop: Header=BB31_12 Depth=1
	scratch_load_dword v6, off, off offset:12 ; 4-byte Folded Reload
	s_waitcnt vmcnt(0)
	v_add_u32_e32 v3, v194, v6
	ds_read2st64_b32 v[4:5], v3 offset1:17
	v_add_u32_e32 v3, 0, v6
	ds_read2_b32 v[6:7], v3 offset0:64 offset1:65
	ds_read_b32 v8, v3 offset:4608
	scratch_load_dwordx2 v[12:13], off, off ; 8-byte Folded Reload
	s_waitcnt lgkmcnt(2)
	v_cvt_f32_f16_e32 v10, v4
	v_cvt_f32_f16_sdwa v11, v4 dst_sel:DWORD dst_unused:UNUSED_PAD src0_sel:WORD_1
	v_cvt_f32_f16_e32 v4, v5
	v_cvt_f32_f16_sdwa v5, v5 dst_sel:DWORD dst_unused:UNUSED_PAD src0_sel:WORD_1
	s_waitcnt lgkmcnt(1)
	v_pk_fma_f32 v[10:11], v[6:7], v[10:11], 0 op_sel_hi:[0,1,0]
	s_waitcnt lgkmcnt(0)
	v_pk_fma_f32 v[4:5], v[8:9], v[4:5], v[10:11] op_sel_hi:[0,1,1]
	v_div_scale_f32 v6, s[16:17], v7, v7, v5
	v_rcp_f32_e32 v8, v6
	s_waitcnt vmcnt(0)
	v_mad_u64_u32 v[2:3], s[16:17], v2, s29, v[12:13]
	v_fma_f32 v9, -v6, v8, 1.0
	v_fmac_f32_e32 v8, v9, v8
	v_div_scale_f32 v9, vcc, v5, v7, v5
	v_mul_f32_e32 v10, v9, v8
	v_fma_f32 v11, -v6, v10, v9
	v_fmac_f32_e32 v10, v11, v8
	v_fma_f32 v6, -v6, v10, v9
	v_div_scale_f32 v9, s[16:17], v7, v7, v4
	v_rcp_f32_e32 v11, v9
	v_div_fmas_f32 v6, v6, v8, v10
	v_div_fixup_f32 v5, v6, v7, v5
	v_lshl_add_u32 v2, v2, 7, v239
	v_fma_f32 v6, -v9, v11, 1.0
	v_fmac_f32_e32 v11, v6, v11
	v_div_scale_f32 v6, vcc, v4, v7, v4
	v_mul_f32_e32 v8, v6, v11
	v_fma_f32 v10, -v9, v8, v6
	v_fmac_f32_e32 v8, v10, v11
	v_fma_f32 v6, -v9, v8, v6
	v_ashrrev_i32_e32 v3, 31, v2
	v_div_fmas_f32 v6, v6, v11, v8
	v_lshl_add_u64 v[2:3], v[2:3], 3, v[162:163]
	v_div_fixup_f32 v4, v6, v7, v4
	global_store_dwordx2 v[2:3], v[4:5], off
	v_mov_b32_e32 v3, 0
.LBB31_381:                             ;   in Loop: Header=BB31_12 Depth=1
	s_or_b64 exec, exec, s[12:13]
	v_cmp_gt_i32_e32 vcc, s80, v3
	s_mov_b64 s[12:13], -1
	s_and_saveexec_b64 s[16:17], vcc
; %bb.382:                              ;   in Loop: Header=BB31_12 Depth=1
	v_cmp_eq_u32_e32 vcc, 0, v3
	s_orn2_b64 s[12:13], vcc, exec
; %bb.383:                              ;   in Loop: Header=BB31_12 Depth=1
	s_or_b64 exec, exec, s[16:17]
	s_and_b64 exec, exec, s[12:13]
	s_cbranch_execz .LBB31_10
; %bb.384:                              ;   in Loop: Header=BB31_12 Depth=1
	scratch_load_dword v2, off, off offset:16 ; 4-byte Folded Reload
	v_mov_b32_e32 v3, 0x47
	s_waitcnt vmcnt(0)
	v_add_u32_e32 v2, v2, v143
	v_cmp_gt_i32_e32 vcc, s28, v2
	s_and_b64 s[16:17], vcc, s[10:11]
	s_and_saveexec_b64 s[12:13], s[16:17]
	s_cbranch_execz .LBB31_386
; %bb.385:                              ;   in Loop: Header=BB31_12 Depth=1
	scratch_load_dword v6, off, off offset:28 ; 4-byte Folded Reload
	s_waitcnt vmcnt(0)
	v_add_u32_e32 v3, v194, v6
	ds_read2st64_b32 v[4:5], v3 offset1:17
	v_add_u32_e32 v3, 0, v6
	ds_read2_b32 v[6:7], v3 offset0:64 offset1:65
	ds_read_b32 v8, v3 offset:4608
	v_mad_u64_u32 v[2:3], s[16:17], v2, s29, v[140:141]
	s_waitcnt lgkmcnt(2)
	v_cvt_f32_f16_e32 v10, v4
	v_cvt_f32_f16_sdwa v11, v4 dst_sel:DWORD dst_unused:UNUSED_PAD src0_sel:WORD_1
	v_cvt_f32_f16_e32 v4, v5
	v_cvt_f32_f16_sdwa v5, v5 dst_sel:DWORD dst_unused:UNUSED_PAD src0_sel:WORD_1
	v_lshl_add_u32 v2, v2, 7, v239
	s_waitcnt lgkmcnt(1)
	v_pk_fma_f32 v[10:11], v[6:7], v[10:11], 0 op_sel_hi:[0,1,0]
	v_ashrrev_i32_e32 v3, 31, v2
	s_waitcnt lgkmcnt(0)
	v_pk_fma_f32 v[4:5], v[8:9], v[4:5], v[10:11] op_sel_hi:[0,1,1]
	v_div_scale_f32 v6, s[16:17], v7, v7, v5
	v_rcp_f32_e32 v8, v6
	v_lshl_add_u64 v[2:3], v[2:3], 3, v[162:163]
	v_fma_f32 v9, -v6, v8, 1.0
	v_fmac_f32_e32 v8, v9, v8
	v_div_scale_f32 v9, vcc, v5, v7, v5
	v_mul_f32_e32 v10, v9, v8
	v_fma_f32 v11, -v6, v10, v9
	v_fmac_f32_e32 v10, v11, v8
	v_fma_f32 v6, -v6, v10, v9
	v_div_scale_f32 v9, s[16:17], v7, v7, v4
	v_rcp_f32_e32 v11, v9
	v_div_fmas_f32 v6, v6, v8, v10
	v_div_fixup_f32 v5, v6, v7, v5
	v_fma_f32 v6, -v9, v11, 1.0
	v_fmac_f32_e32 v11, v6, v11
	v_div_scale_f32 v6, vcc, v4, v7, v4
	v_mul_f32_e32 v8, v6, v11
	v_fma_f32 v10, -v9, v8, v6
	v_fmac_f32_e32 v8, v10, v11
	v_fma_f32 v6, -v9, v8, v6
	v_div_fmas_f32 v6, v6, v11, v8
	v_div_fixup_f32 v4, v6, v7, v4
	global_store_dwordx2 v[2:3], v[4:5], off
	v_mov_b32_e32 v3, 0
.LBB31_386:                             ;   in Loop: Header=BB31_12 Depth=1
	s_or_b64 exec, exec, s[12:13]
	v_cmp_gt_i32_e32 vcc, s80, v3
	s_mov_b64 s[12:13], -1
	s_and_saveexec_b64 s[16:17], vcc
; %bb.387:                              ;   in Loop: Header=BB31_12 Depth=1
	v_cmp_eq_u32_e32 vcc, 0, v3
	s_orn2_b64 s[12:13], vcc, exec
; %bb.388:                              ;   in Loop: Header=BB31_12 Depth=1
	s_or_b64 exec, exec, s[16:17]
	s_and_b64 exec, exec, s[12:13]
	s_cbranch_execz .LBB31_10
; %bb.389:                              ;   in Loop: Header=BB31_12 Depth=1
	scratch_load_dword v2, off, off offset:32 ; 4-byte Folded Reload
	scratch_load_dwordx2 v[4:5], off, off offset:20 ; 8-byte Folded Reload
	s_waitcnt vmcnt(1)
	v_add_u32_e32 v2, v2, v143
	s_waitcnt vmcnt(0)
	v_or_b32_e32 v3, v4, v97
	v_cmp_gt_i32_e32 vcc, s28, v2
	v_cmp_gt_i32_e64 s[12:13], s3, v3
	s_and_b64 s[16:17], vcc, s[12:13]
	v_mov_b32_e32 v3, 0x47
	s_and_saveexec_b64 s[12:13], s[16:17]
	s_cbranch_execz .LBB31_391
; %bb.390:                              ;   in Loop: Header=BB31_12 Depth=1
	scratch_load_dword v6, off, off offset:36 ; 4-byte Folded Reload
	s_waitcnt vmcnt(0)
	v_add_u32_e32 v3, v194, v6
	ds_read2st64_b32 v[4:5], v3 offset1:17
	v_add_u32_e32 v3, 0, v6
	ds_read2_b32 v[6:7], v3 offset0:64 offset1:65
	ds_read_b32 v8, v3 offset:4608
	scratch_load_dwordx2 v[12:13], off, off offset:20 ; 8-byte Folded Reload
	s_waitcnt lgkmcnt(2)
	v_cvt_f32_f16_e32 v10, v4
	v_cvt_f32_f16_sdwa v11, v4 dst_sel:DWORD dst_unused:UNUSED_PAD src0_sel:WORD_1
	v_cvt_f32_f16_e32 v4, v5
	v_cvt_f32_f16_sdwa v5, v5 dst_sel:DWORD dst_unused:UNUSED_PAD src0_sel:WORD_1
	s_waitcnt lgkmcnt(1)
	v_pk_fma_f32 v[10:11], v[6:7], v[10:11], 0 op_sel_hi:[0,1,0]
	s_waitcnt lgkmcnt(0)
	v_pk_fma_f32 v[4:5], v[8:9], v[4:5], v[10:11] op_sel_hi:[0,1,1]
	v_div_scale_f32 v6, s[16:17], v7, v7, v5
	v_rcp_f32_e32 v8, v6
	s_waitcnt vmcnt(0)
	v_mad_u64_u32 v[2:3], s[16:17], v2, s29, v[12:13]
	v_fma_f32 v9, -v6, v8, 1.0
	v_fmac_f32_e32 v8, v9, v8
	v_div_scale_f32 v9, vcc, v5, v7, v5
	v_mul_f32_e32 v10, v9, v8
	v_fma_f32 v11, -v6, v10, v9
	v_fmac_f32_e32 v10, v11, v8
	v_fma_f32 v6, -v6, v10, v9
	v_div_scale_f32 v9, s[16:17], v7, v7, v4
	v_rcp_f32_e32 v11, v9
	v_div_fmas_f32 v6, v6, v8, v10
	v_div_fixup_f32 v5, v6, v7, v5
	v_lshl_add_u32 v2, v2, 7, v239
	v_fma_f32 v6, -v9, v11, 1.0
	v_fmac_f32_e32 v11, v6, v11
	v_div_scale_f32 v6, vcc, v4, v7, v4
	v_mul_f32_e32 v8, v6, v11
	v_fma_f32 v10, -v9, v8, v6
	v_fmac_f32_e32 v8, v10, v11
	v_fma_f32 v6, -v9, v8, v6
	v_ashrrev_i32_e32 v3, 31, v2
	v_div_fmas_f32 v6, v6, v11, v8
	v_lshl_add_u64 v[2:3], v[2:3], 3, v[162:163]
	v_div_fixup_f32 v4, v6, v7, v4
	global_store_dwordx2 v[2:3], v[4:5], off
	v_mov_b32_e32 v3, 0
.LBB31_391:                             ;   in Loop: Header=BB31_12 Depth=1
	s_or_b64 exec, exec, s[12:13]
	v_cmp_gt_i32_e32 vcc, s80, v3
	s_mov_b64 s[12:13], -1
	s_and_saveexec_b64 s[16:17], vcc
; %bb.392:                              ;   in Loop: Header=BB31_12 Depth=1
	v_cmp_eq_u32_e32 vcc, 0, v3
	s_orn2_b64 s[12:13], vcc, exec
; %bb.393:                              ;   in Loop: Header=BB31_12 Depth=1
	s_or_b64 exec, exec, s[16:17]
	s_and_b64 exec, exec, s[12:13]
	s_cbranch_execz .LBB31_10
; %bb.394:                              ;   in Loop: Header=BB31_12 Depth=1
	scratch_load_dword v2, off, off offset:40 ; 4-byte Folded Reload
	v_mov_b32_e32 v3, 0x47
	s_waitcnt vmcnt(0)
	v_add_u32_e32 v2, v2, v143
	v_cmp_gt_i32_e32 vcc, s28, v2
	s_and_b64 s[16:17], vcc, s[10:11]
	s_and_saveexec_b64 s[12:13], s[16:17]
	s_cbranch_execz .LBB31_396
; %bb.395:                              ;   in Loop: Header=BB31_12 Depth=1
	scratch_load_dword v6, off, off offset:52 ; 4-byte Folded Reload
	s_waitcnt vmcnt(0)
	v_add_u32_e32 v3, v194, v6
	ds_read2st64_b32 v[4:5], v3 offset1:17
	v_add_u32_e32 v3, 0, v6
	ds_read2_b32 v[6:7], v3 offset0:64 offset1:65
	ds_read_b32 v8, v3 offset:4608
	v_mad_u64_u32 v[2:3], s[16:17], v2, s29, v[140:141]
	s_waitcnt lgkmcnt(2)
	v_cvt_f32_f16_e32 v10, v4
	v_cvt_f32_f16_sdwa v11, v4 dst_sel:DWORD dst_unused:UNUSED_PAD src0_sel:WORD_1
	v_cvt_f32_f16_e32 v4, v5
	v_cvt_f32_f16_sdwa v5, v5 dst_sel:DWORD dst_unused:UNUSED_PAD src0_sel:WORD_1
	v_lshl_add_u32 v2, v2, 7, v239
	s_waitcnt lgkmcnt(1)
	v_pk_fma_f32 v[10:11], v[6:7], v[10:11], 0 op_sel_hi:[0,1,0]
	v_ashrrev_i32_e32 v3, 31, v2
	s_waitcnt lgkmcnt(0)
	v_pk_fma_f32 v[4:5], v[8:9], v[4:5], v[10:11] op_sel_hi:[0,1,1]
	v_div_scale_f32 v6, s[16:17], v7, v7, v5
	v_rcp_f32_e32 v8, v6
	v_lshl_add_u64 v[2:3], v[2:3], 3, v[162:163]
	v_fma_f32 v9, -v6, v8, 1.0
	v_fmac_f32_e32 v8, v9, v8
	v_div_scale_f32 v9, vcc, v5, v7, v5
	v_mul_f32_e32 v10, v9, v8
	v_fma_f32 v11, -v6, v10, v9
	v_fmac_f32_e32 v10, v11, v8
	v_fma_f32 v6, -v6, v10, v9
	v_div_scale_f32 v9, s[16:17], v7, v7, v4
	v_rcp_f32_e32 v11, v9
	v_div_fmas_f32 v6, v6, v8, v10
	v_div_fixup_f32 v5, v6, v7, v5
	v_fma_f32 v6, -v9, v11, 1.0
	v_fmac_f32_e32 v11, v6, v11
	v_div_scale_f32 v6, vcc, v4, v7, v4
	v_mul_f32_e32 v8, v6, v11
	v_fma_f32 v10, -v9, v8, v6
	v_fmac_f32_e32 v8, v10, v11
	v_fma_f32 v6, -v9, v8, v6
	v_div_fmas_f32 v6, v6, v11, v8
	v_div_fixup_f32 v4, v6, v7, v4
	global_store_dwordx2 v[2:3], v[4:5], off
	v_mov_b32_e32 v3, 0
.LBB31_396:                             ;   in Loop: Header=BB31_12 Depth=1
	s_or_b64 exec, exec, s[12:13]
	v_cmp_gt_i32_e32 vcc, s80, v3
	s_mov_b64 s[12:13], -1
	s_and_saveexec_b64 s[16:17], vcc
; %bb.397:                              ;   in Loop: Header=BB31_12 Depth=1
	v_cmp_eq_u32_e32 vcc, 0, v3
	s_orn2_b64 s[12:13], vcc, exec
; %bb.398:                              ;   in Loop: Header=BB31_12 Depth=1
	s_or_b64 exec, exec, s[16:17]
	s_and_b64 exec, exec, s[12:13]
	s_cbranch_execz .LBB31_10
; %bb.399:                              ;   in Loop: Header=BB31_12 Depth=1
	scratch_load_dword v2, off, off offset:56 ; 4-byte Folded Reload
	scratch_load_dwordx2 v[4:5], off, off offset:44 ; 8-byte Folded Reload
	s_waitcnt vmcnt(1)
	v_add_u32_e32 v2, v2, v143
	s_waitcnt vmcnt(0)
	v_or_b32_e32 v3, v4, v97
	v_cmp_gt_i32_e32 vcc, s28, v2
	v_cmp_gt_i32_e64 s[12:13], s3, v3
	s_and_b64 s[16:17], vcc, s[12:13]
	v_mov_b32_e32 v3, 0x47
	s_and_saveexec_b64 s[12:13], s[16:17]
	s_cbranch_execz .LBB31_401
; %bb.400:                              ;   in Loop: Header=BB31_12 Depth=1
	scratch_load_dword v6, off, off offset:60 ; 4-byte Folded Reload
	s_waitcnt vmcnt(0)
	v_add_u32_e32 v3, v194, v6
	ds_read2st64_b32 v[4:5], v3 offset1:17
	v_add_u32_e32 v3, 0, v6
	ds_read2_b32 v[6:7], v3 offset0:64 offset1:65
	ds_read_b32 v8, v3 offset:4608
	scratch_load_dwordx2 v[12:13], off, off offset:44 ; 8-byte Folded Reload
	s_waitcnt lgkmcnt(2)
	v_cvt_f32_f16_e32 v10, v4
	v_cvt_f32_f16_sdwa v11, v4 dst_sel:DWORD dst_unused:UNUSED_PAD src0_sel:WORD_1
	v_cvt_f32_f16_e32 v4, v5
	v_cvt_f32_f16_sdwa v5, v5 dst_sel:DWORD dst_unused:UNUSED_PAD src0_sel:WORD_1
	s_waitcnt lgkmcnt(1)
	v_pk_fma_f32 v[10:11], v[6:7], v[10:11], 0 op_sel_hi:[0,1,0]
	s_waitcnt lgkmcnt(0)
	v_pk_fma_f32 v[4:5], v[8:9], v[4:5], v[10:11] op_sel_hi:[0,1,1]
	v_div_scale_f32 v6, s[16:17], v7, v7, v5
	v_rcp_f32_e32 v8, v6
	s_waitcnt vmcnt(0)
	v_mad_u64_u32 v[2:3], s[16:17], v2, s29, v[12:13]
	v_fma_f32 v9, -v6, v8, 1.0
	v_fmac_f32_e32 v8, v9, v8
	v_div_scale_f32 v9, vcc, v5, v7, v5
	v_mul_f32_e32 v10, v9, v8
	v_fma_f32 v11, -v6, v10, v9
	v_fmac_f32_e32 v10, v11, v8
	v_fma_f32 v6, -v6, v10, v9
	v_div_scale_f32 v9, s[16:17], v7, v7, v4
	v_rcp_f32_e32 v11, v9
	v_div_fmas_f32 v6, v6, v8, v10
	v_div_fixup_f32 v5, v6, v7, v5
	v_lshl_add_u32 v2, v2, 7, v239
	v_fma_f32 v6, -v9, v11, 1.0
	v_fmac_f32_e32 v11, v6, v11
	v_div_scale_f32 v6, vcc, v4, v7, v4
	v_mul_f32_e32 v8, v6, v11
	v_fma_f32 v10, -v9, v8, v6
	v_fmac_f32_e32 v8, v10, v11
	v_fma_f32 v6, -v9, v8, v6
	v_ashrrev_i32_e32 v3, 31, v2
	v_div_fmas_f32 v6, v6, v11, v8
	v_lshl_add_u64 v[2:3], v[2:3], 3, v[162:163]
	v_div_fixup_f32 v4, v6, v7, v4
	global_store_dwordx2 v[2:3], v[4:5], off
	v_mov_b32_e32 v3, 0
.LBB31_401:                             ;   in Loop: Header=BB31_12 Depth=1
	s_or_b64 exec, exec, s[12:13]
	v_cmp_gt_i32_e32 vcc, s80, v3
	s_mov_b64 s[12:13], -1
	s_and_saveexec_b64 s[16:17], vcc
; %bb.402:                              ;   in Loop: Header=BB31_12 Depth=1
	v_cmp_eq_u32_e32 vcc, 0, v3
	s_orn2_b64 s[12:13], vcc, exec
; %bb.403:                              ;   in Loop: Header=BB31_12 Depth=1
	s_or_b64 exec, exec, s[16:17]
	s_and_b64 exec, exec, s[12:13]
	s_cbranch_execz .LBB31_10
; %bb.404:                              ;   in Loop: Header=BB31_12 Depth=1
	scratch_load_dword v2, off, off offset:64 ; 4-byte Folded Reload
	v_mov_b32_e32 v3, 0x47
	s_waitcnt vmcnt(0)
	v_add_u32_e32 v2, v2, v143
	v_cmp_gt_i32_e32 vcc, s28, v2
	s_and_b64 s[16:17], vcc, s[10:11]
	s_and_saveexec_b64 s[12:13], s[16:17]
	s_cbranch_execz .LBB31_406
; %bb.405:                              ;   in Loop: Header=BB31_12 Depth=1
	scratch_load_dword v6, off, off offset:76 ; 4-byte Folded Reload
	s_waitcnt vmcnt(0)
	v_add_u32_e32 v3, v194, v6
	ds_read2st64_b32 v[4:5], v3 offset1:17
	v_add_u32_e32 v3, 0, v6
	ds_read2_b32 v[6:7], v3 offset0:64 offset1:65
	ds_read_b32 v8, v3 offset:4608
	v_mad_u64_u32 v[2:3], s[16:17], v2, s29, v[140:141]
	s_waitcnt lgkmcnt(2)
	v_cvt_f32_f16_e32 v10, v4
	v_cvt_f32_f16_sdwa v11, v4 dst_sel:DWORD dst_unused:UNUSED_PAD src0_sel:WORD_1
	v_cvt_f32_f16_e32 v4, v5
	v_cvt_f32_f16_sdwa v5, v5 dst_sel:DWORD dst_unused:UNUSED_PAD src0_sel:WORD_1
	v_lshl_add_u32 v2, v2, 7, v239
	s_waitcnt lgkmcnt(1)
	v_pk_fma_f32 v[10:11], v[6:7], v[10:11], 0 op_sel_hi:[0,1,0]
	v_ashrrev_i32_e32 v3, 31, v2
	s_waitcnt lgkmcnt(0)
	v_pk_fma_f32 v[4:5], v[8:9], v[4:5], v[10:11] op_sel_hi:[0,1,1]
	v_div_scale_f32 v6, s[16:17], v7, v7, v5
	v_rcp_f32_e32 v8, v6
	v_lshl_add_u64 v[2:3], v[2:3], 3, v[162:163]
	v_fma_f32 v9, -v6, v8, 1.0
	v_fmac_f32_e32 v8, v9, v8
	v_div_scale_f32 v9, vcc, v5, v7, v5
	v_mul_f32_e32 v10, v9, v8
	v_fma_f32 v11, -v6, v10, v9
	v_fmac_f32_e32 v10, v11, v8
	v_fma_f32 v6, -v6, v10, v9
	v_div_scale_f32 v9, s[16:17], v7, v7, v4
	v_rcp_f32_e32 v11, v9
	v_div_fmas_f32 v6, v6, v8, v10
	v_div_fixup_f32 v5, v6, v7, v5
	v_fma_f32 v6, -v9, v11, 1.0
	v_fmac_f32_e32 v11, v6, v11
	v_div_scale_f32 v6, vcc, v4, v7, v4
	v_mul_f32_e32 v8, v6, v11
	v_fma_f32 v10, -v9, v8, v6
	v_fmac_f32_e32 v8, v10, v11
	v_fma_f32 v6, -v9, v8, v6
	v_div_fmas_f32 v6, v6, v11, v8
	v_div_fixup_f32 v4, v6, v7, v4
	global_store_dwordx2 v[2:3], v[4:5], off
	v_mov_b32_e32 v3, 0
.LBB31_406:                             ;   in Loop: Header=BB31_12 Depth=1
	s_or_b64 exec, exec, s[12:13]
	v_cmp_gt_i32_e32 vcc, s80, v3
	s_mov_b64 s[12:13], -1
	s_and_saveexec_b64 s[16:17], vcc
; %bb.407:                              ;   in Loop: Header=BB31_12 Depth=1
	v_cmp_eq_u32_e32 vcc, 0, v3
	s_orn2_b64 s[12:13], vcc, exec
; %bb.408:                              ;   in Loop: Header=BB31_12 Depth=1
	s_or_b64 exec, exec, s[16:17]
	s_and_b64 exec, exec, s[12:13]
	s_cbranch_execz .LBB31_10
; %bb.409:                              ;   in Loop: Header=BB31_12 Depth=1
	scratch_load_dword v2, off, off offset:80 ; 4-byte Folded Reload
	scratch_load_dwordx2 v[4:5], off, off offset:68 ; 8-byte Folded Reload
	s_waitcnt vmcnt(1)
	v_add_u32_e32 v2, v2, v143
	s_waitcnt vmcnt(0)
	v_or_b32_e32 v3, v4, v97
	v_cmp_gt_i32_e32 vcc, s28, v2
	v_cmp_gt_i32_e64 s[12:13], s3, v3
	s_and_b64 s[16:17], vcc, s[12:13]
	v_mov_b32_e32 v3, 0x47
	s_and_saveexec_b64 s[12:13], s[16:17]
	s_cbranch_execz .LBB31_411
; %bb.410:                              ;   in Loop: Header=BB31_12 Depth=1
	scratch_load_dword v6, off, off offset:84 ; 4-byte Folded Reload
	s_waitcnt vmcnt(0)
	v_add_u32_e32 v3, v194, v6
	ds_read2st64_b32 v[4:5], v3 offset1:17
	v_add_u32_e32 v3, 0, v6
	ds_read2_b32 v[6:7], v3 offset0:64 offset1:65
	ds_read_b32 v8, v3 offset:4608
	scratch_load_dwordx2 v[12:13], off, off offset:68 ; 8-byte Folded Reload
	s_waitcnt lgkmcnt(2)
	v_cvt_f32_f16_e32 v10, v4
	v_cvt_f32_f16_sdwa v11, v4 dst_sel:DWORD dst_unused:UNUSED_PAD src0_sel:WORD_1
	v_cvt_f32_f16_e32 v4, v5
	v_cvt_f32_f16_sdwa v5, v5 dst_sel:DWORD dst_unused:UNUSED_PAD src0_sel:WORD_1
	s_waitcnt lgkmcnt(1)
	v_pk_fma_f32 v[10:11], v[6:7], v[10:11], 0 op_sel_hi:[0,1,0]
	s_waitcnt lgkmcnt(0)
	v_pk_fma_f32 v[4:5], v[8:9], v[4:5], v[10:11] op_sel_hi:[0,1,1]
	v_div_scale_f32 v6, s[16:17], v7, v7, v5
	v_rcp_f32_e32 v8, v6
	s_waitcnt vmcnt(0)
	v_mad_u64_u32 v[2:3], s[16:17], v2, s29, v[12:13]
	v_fma_f32 v9, -v6, v8, 1.0
	v_fmac_f32_e32 v8, v9, v8
	v_div_scale_f32 v9, vcc, v5, v7, v5
	v_mul_f32_e32 v10, v9, v8
	v_fma_f32 v11, -v6, v10, v9
	v_fmac_f32_e32 v10, v11, v8
	v_fma_f32 v6, -v6, v10, v9
	v_div_scale_f32 v9, s[16:17], v7, v7, v4
	v_rcp_f32_e32 v11, v9
	v_div_fmas_f32 v6, v6, v8, v10
	v_div_fixup_f32 v5, v6, v7, v5
	v_lshl_add_u32 v2, v2, 7, v239
	v_fma_f32 v6, -v9, v11, 1.0
	v_fmac_f32_e32 v11, v6, v11
	v_div_scale_f32 v6, vcc, v4, v7, v4
	v_mul_f32_e32 v8, v6, v11
	v_fma_f32 v10, -v9, v8, v6
	v_fmac_f32_e32 v8, v10, v11
	v_fma_f32 v6, -v9, v8, v6
	v_ashrrev_i32_e32 v3, 31, v2
	v_div_fmas_f32 v6, v6, v11, v8
	v_lshl_add_u64 v[2:3], v[2:3], 3, v[162:163]
	v_div_fixup_f32 v4, v6, v7, v4
	global_store_dwordx2 v[2:3], v[4:5], off
	v_mov_b32_e32 v3, 0
.LBB31_411:                             ;   in Loop: Header=BB31_12 Depth=1
	s_or_b64 exec, exec, s[12:13]
	v_cmp_gt_i32_e32 vcc, s80, v3
	s_mov_b64 s[12:13], -1
	s_and_saveexec_b64 s[16:17], vcc
; %bb.412:                              ;   in Loop: Header=BB31_12 Depth=1
	v_cmp_eq_u32_e32 vcc, 0, v3
	s_orn2_b64 s[12:13], vcc, exec
; %bb.413:                              ;   in Loop: Header=BB31_12 Depth=1
	s_or_b64 exec, exec, s[16:17]
	s_and_b64 exec, exec, s[12:13]
	s_cbranch_execz .LBB31_10
; %bb.414:                              ;   in Loop: Header=BB31_12 Depth=1
	scratch_load_dword v2, off, off offset:88 ; 4-byte Folded Reload
	v_mov_b32_e32 v3, 0x47
	s_waitcnt vmcnt(0)
	v_add_u32_e32 v2, v2, v143
	v_cmp_gt_i32_e32 vcc, s28, v2
	s_and_b64 s[16:17], vcc, s[10:11]
	s_and_saveexec_b64 s[12:13], s[16:17]
	s_cbranch_execz .LBB31_416
; %bb.415:                              ;   in Loop: Header=BB31_12 Depth=1
	scratch_load_dword v6, off, off offset:100 ; 4-byte Folded Reload
	s_waitcnt vmcnt(0)
	v_add_u32_e32 v3, v194, v6
	ds_read2st64_b32 v[4:5], v3 offset1:17
	v_add_u32_e32 v3, 0, v6
	ds_read2_b32 v[6:7], v3 offset0:64 offset1:65
	ds_read_b32 v8, v3 offset:4608
	v_mad_u64_u32 v[2:3], s[16:17], v2, s29, v[140:141]
	s_waitcnt lgkmcnt(2)
	v_cvt_f32_f16_e32 v10, v4
	v_cvt_f32_f16_sdwa v11, v4 dst_sel:DWORD dst_unused:UNUSED_PAD src0_sel:WORD_1
	v_cvt_f32_f16_e32 v4, v5
	v_cvt_f32_f16_sdwa v5, v5 dst_sel:DWORD dst_unused:UNUSED_PAD src0_sel:WORD_1
	v_lshl_add_u32 v2, v2, 7, v239
	s_waitcnt lgkmcnt(1)
	v_pk_fma_f32 v[10:11], v[6:7], v[10:11], 0 op_sel_hi:[0,1,0]
	v_ashrrev_i32_e32 v3, 31, v2
	s_waitcnt lgkmcnt(0)
	v_pk_fma_f32 v[4:5], v[8:9], v[4:5], v[10:11] op_sel_hi:[0,1,1]
	v_div_scale_f32 v6, s[16:17], v7, v7, v5
	v_rcp_f32_e32 v8, v6
	v_lshl_add_u64 v[2:3], v[2:3], 3, v[162:163]
	v_fma_f32 v9, -v6, v8, 1.0
	v_fmac_f32_e32 v8, v9, v8
	v_div_scale_f32 v9, vcc, v5, v7, v5
	v_mul_f32_e32 v10, v9, v8
	v_fma_f32 v11, -v6, v10, v9
	v_fmac_f32_e32 v10, v11, v8
	v_fma_f32 v6, -v6, v10, v9
	v_div_scale_f32 v9, s[16:17], v7, v7, v4
	v_rcp_f32_e32 v11, v9
	v_div_fmas_f32 v6, v6, v8, v10
	v_div_fixup_f32 v5, v6, v7, v5
	v_fma_f32 v6, -v9, v11, 1.0
	v_fmac_f32_e32 v11, v6, v11
	v_div_scale_f32 v6, vcc, v4, v7, v4
	v_mul_f32_e32 v8, v6, v11
	v_fma_f32 v10, -v9, v8, v6
	v_fmac_f32_e32 v8, v10, v11
	v_fma_f32 v6, -v9, v8, v6
	v_div_fmas_f32 v6, v6, v11, v8
	v_div_fixup_f32 v4, v6, v7, v4
	global_store_dwordx2 v[2:3], v[4:5], off
	v_mov_b32_e32 v3, 0
.LBB31_416:                             ;   in Loop: Header=BB31_12 Depth=1
	s_or_b64 exec, exec, s[12:13]
	v_cmp_gt_i32_e32 vcc, s80, v3
	s_mov_b64 s[12:13], -1
	s_and_saveexec_b64 s[16:17], vcc
; %bb.417:                              ;   in Loop: Header=BB31_12 Depth=1
	v_cmp_eq_u32_e32 vcc, 0, v3
	s_orn2_b64 s[12:13], vcc, exec
; %bb.418:                              ;   in Loop: Header=BB31_12 Depth=1
	s_or_b64 exec, exec, s[16:17]
	s_and_b64 exec, exec, s[12:13]
	s_cbranch_execz .LBB31_10
; %bb.419:                              ;   in Loop: Header=BB31_12 Depth=1
	scratch_load_dword v2, off, off offset:104 ; 4-byte Folded Reload
	scratch_load_dwordx2 v[4:5], off, off offset:92 ; 8-byte Folded Reload
	s_waitcnt vmcnt(1)
	v_add_u32_e32 v2, v2, v143
	s_waitcnt vmcnt(0)
	v_or_b32_e32 v3, v4, v97
	v_cmp_gt_i32_e32 vcc, s28, v2
	v_cmp_gt_i32_e64 s[12:13], s3, v3
	s_and_b64 s[16:17], vcc, s[12:13]
	v_mov_b32_e32 v3, 0x47
	s_and_saveexec_b64 s[12:13], s[16:17]
	s_cbranch_execz .LBB31_421
; %bb.420:                              ;   in Loop: Header=BB31_12 Depth=1
	scratch_load_dword v6, off, off offset:108 ; 4-byte Folded Reload
	s_waitcnt vmcnt(0)
	v_add_u32_e32 v3, v194, v6
	ds_read2st64_b32 v[4:5], v3 offset1:17
	v_add_u32_e32 v3, 0, v6
	ds_read2_b32 v[6:7], v3 offset0:64 offset1:65
	ds_read_b32 v8, v3 offset:4608
	scratch_load_dwordx2 v[12:13], off, off offset:92 ; 8-byte Folded Reload
	s_waitcnt lgkmcnt(2)
	v_cvt_f32_f16_e32 v10, v4
	v_cvt_f32_f16_sdwa v11, v4 dst_sel:DWORD dst_unused:UNUSED_PAD src0_sel:WORD_1
	v_cvt_f32_f16_e32 v4, v5
	v_cvt_f32_f16_sdwa v5, v5 dst_sel:DWORD dst_unused:UNUSED_PAD src0_sel:WORD_1
	s_waitcnt lgkmcnt(1)
	v_pk_fma_f32 v[10:11], v[6:7], v[10:11], 0 op_sel_hi:[0,1,0]
	s_waitcnt lgkmcnt(0)
	v_pk_fma_f32 v[4:5], v[8:9], v[4:5], v[10:11] op_sel_hi:[0,1,1]
	v_div_scale_f32 v6, s[16:17], v7, v7, v5
	v_rcp_f32_e32 v8, v6
	s_waitcnt vmcnt(0)
	v_mad_u64_u32 v[2:3], s[16:17], v2, s29, v[12:13]
	v_fma_f32 v9, -v6, v8, 1.0
	v_fmac_f32_e32 v8, v9, v8
	v_div_scale_f32 v9, vcc, v5, v7, v5
	v_mul_f32_e32 v10, v9, v8
	v_fma_f32 v11, -v6, v10, v9
	v_fmac_f32_e32 v10, v11, v8
	v_fma_f32 v6, -v6, v10, v9
	v_div_scale_f32 v9, s[16:17], v7, v7, v4
	v_rcp_f32_e32 v11, v9
	v_div_fmas_f32 v6, v6, v8, v10
	v_div_fixup_f32 v5, v6, v7, v5
	v_lshl_add_u32 v2, v2, 7, v239
	v_fma_f32 v6, -v9, v11, 1.0
	v_fmac_f32_e32 v11, v6, v11
	v_div_scale_f32 v6, vcc, v4, v7, v4
	v_mul_f32_e32 v8, v6, v11
	v_fma_f32 v10, -v9, v8, v6
	v_fmac_f32_e32 v8, v10, v11
	v_fma_f32 v6, -v9, v8, v6
	v_ashrrev_i32_e32 v3, 31, v2
	v_div_fmas_f32 v6, v6, v11, v8
	v_lshl_add_u64 v[2:3], v[2:3], 3, v[162:163]
	v_div_fixup_f32 v4, v6, v7, v4
	global_store_dwordx2 v[2:3], v[4:5], off
	v_mov_b32_e32 v3, 0
.LBB31_421:                             ;   in Loop: Header=BB31_12 Depth=1
	s_or_b64 exec, exec, s[12:13]
	v_cmp_gt_i32_e32 vcc, s80, v3
	s_mov_b64 s[12:13], -1
	s_and_saveexec_b64 s[16:17], vcc
; %bb.422:                              ;   in Loop: Header=BB31_12 Depth=1
	v_cmp_eq_u32_e32 vcc, 0, v3
	s_orn2_b64 s[12:13], vcc, exec
; %bb.423:                              ;   in Loop: Header=BB31_12 Depth=1
	s_or_b64 exec, exec, s[16:17]
	s_and_b64 exec, exec, s[12:13]
	s_cbranch_execz .LBB31_10
; %bb.424:                              ;   in Loop: Header=BB31_12 Depth=1
	scratch_load_dword v2, off, off offset:112 ; 4-byte Folded Reload
	v_mov_b32_e32 v3, 0x47
	s_waitcnt vmcnt(0)
	v_add_u32_e32 v2, v2, v143
	v_cmp_gt_i32_e32 vcc, s28, v2
	s_and_b64 s[12:13], vcc, s[10:11]
	s_and_saveexec_b64 s[10:11], s[12:13]
	s_cbranch_execz .LBB31_426
; %bb.425:                              ;   in Loop: Header=BB31_12 Depth=1
	scratch_load_dword v6, off, off offset:124 ; 4-byte Folded Reload
	s_waitcnt vmcnt(0)
	v_add_u32_e32 v3, v194, v6
	ds_read2st64_b32 v[4:5], v3 offset1:17
	v_add_u32_e32 v3, 0, v6
	ds_read2_b32 v[6:7], v3 offset0:64 offset1:65
	ds_read_b32 v8, v3 offset:4608
	v_mad_u64_u32 v[2:3], s[12:13], v2, s29, v[140:141]
	s_waitcnt lgkmcnt(2)
	v_cvt_f32_f16_e32 v10, v4
	v_cvt_f32_f16_sdwa v11, v4 dst_sel:DWORD dst_unused:UNUSED_PAD src0_sel:WORD_1
	v_cvt_f32_f16_e32 v4, v5
	v_cvt_f32_f16_sdwa v5, v5 dst_sel:DWORD dst_unused:UNUSED_PAD src0_sel:WORD_1
	v_lshl_add_u32 v2, v2, 7, v239
	s_waitcnt lgkmcnt(1)
	v_pk_fma_f32 v[10:11], v[6:7], v[10:11], 0 op_sel_hi:[0,1,0]
	v_ashrrev_i32_e32 v3, 31, v2
	s_waitcnt lgkmcnt(0)
	v_pk_fma_f32 v[4:5], v[8:9], v[4:5], v[10:11] op_sel_hi:[0,1,1]
	v_div_scale_f32 v6, s[12:13], v7, v7, v5
	v_rcp_f32_e32 v8, v6
	v_lshl_add_u64 v[2:3], v[2:3], 3, v[162:163]
	v_fma_f32 v9, -v6, v8, 1.0
	v_fmac_f32_e32 v8, v9, v8
	v_div_scale_f32 v9, vcc, v5, v7, v5
	v_mul_f32_e32 v10, v9, v8
	v_fma_f32 v11, -v6, v10, v9
	v_fmac_f32_e32 v10, v11, v8
	v_fma_f32 v6, -v6, v10, v9
	v_div_scale_f32 v9, s[12:13], v7, v7, v4
	v_rcp_f32_e32 v11, v9
	v_div_fmas_f32 v6, v6, v8, v10
	v_div_fixup_f32 v5, v6, v7, v5
	v_fma_f32 v6, -v9, v11, 1.0
	v_fmac_f32_e32 v11, v6, v11
	v_div_scale_f32 v6, vcc, v4, v7, v4
	v_mul_f32_e32 v8, v6, v11
	v_fma_f32 v10, -v9, v8, v6
	v_fmac_f32_e32 v8, v10, v11
	v_fma_f32 v6, -v9, v8, v6
	v_div_fmas_f32 v6, v6, v11, v8
	v_div_fixup_f32 v4, v6, v7, v4
	global_store_dwordx2 v[2:3], v[4:5], off
	v_mov_b32_e32 v3, 0
.LBB31_426:                             ;   in Loop: Header=BB31_12 Depth=1
	s_or_b64 exec, exec, s[10:11]
	v_cmp_gt_i32_e32 vcc, s80, v3
	s_mov_b64 s[10:11], -1
	s_and_saveexec_b64 s[12:13], vcc
; %bb.427:                              ;   in Loop: Header=BB31_12 Depth=1
	v_cmp_eq_u32_e32 vcc, 0, v3
	s_orn2_b64 s[10:11], vcc, exec
; %bb.428:                              ;   in Loop: Header=BB31_12 Depth=1
	s_or_b64 exec, exec, s[12:13]
	s_and_b64 exec, exec, s[10:11]
	s_cbranch_execz .LBB31_10
; %bb.429:                              ;   in Loop: Header=BB31_12 Depth=1
	scratch_load_dword v2, off, off offset:128 ; 4-byte Folded Reload
	scratch_load_dwordx2 v[4:5], off, off offset:116 ; 8-byte Folded Reload
	s_waitcnt vmcnt(1)
	v_add_u32_e32 v2, v2, v143
	s_waitcnt vmcnt(0)
	v_or_b32_e32 v3, v4, v97
	v_cmp_gt_i32_e32 vcc, s28, v2
	v_cmp_gt_i32_e64 s[10:11], s3, v3
	s_and_b64 s[10:11], vcc, s[10:11]
	s_and_b64 exec, exec, s[10:11]
	s_cbranch_execz .LBB31_10
; %bb.430:                              ;   in Loop: Header=BB31_12 Depth=1
	scratch_load_dword v6, off, off offset:132 ; 4-byte Folded Reload
	s_waitcnt vmcnt(0)
	v_add_u32_e32 v3, v194, v6
	ds_read2st64_b32 v[4:5], v3 offset1:17
	v_add_u32_e32 v3, 0, v6
	ds_read2_b32 v[6:7], v3 offset0:64 offset1:65
	ds_read_b32 v8, v3 offset:4608
	scratch_load_dwordx2 v[12:13], off, off offset:116 ; 8-byte Folded Reload
	s_waitcnt lgkmcnt(2)
	v_cvt_f32_f16_e32 v10, v4
	v_cvt_f32_f16_sdwa v11, v4 dst_sel:DWORD dst_unused:UNUSED_PAD src0_sel:WORD_1
	v_cvt_f32_f16_e32 v4, v5
	v_cvt_f32_f16_sdwa v5, v5 dst_sel:DWORD dst_unused:UNUSED_PAD src0_sel:WORD_1
	s_waitcnt lgkmcnt(1)
	v_pk_fma_f32 v[10:11], v[6:7], v[10:11], 0 op_sel_hi:[0,1,0]
	s_waitcnt lgkmcnt(0)
	v_pk_fma_f32 v[4:5], v[8:9], v[4:5], v[10:11] op_sel_hi:[0,1,1]
	v_div_scale_f32 v6, s[10:11], v7, v7, v5
	v_rcp_f32_e32 v8, v6
	s_waitcnt vmcnt(0)
	v_mad_u64_u32 v[2:3], s[10:11], v2, s29, v[12:13]
	v_fma_f32 v9, -v6, v8, 1.0
	v_fmac_f32_e32 v8, v9, v8
	v_div_scale_f32 v9, vcc, v5, v7, v5
	v_mul_f32_e32 v10, v9, v8
	v_fma_f32 v11, -v6, v10, v9
	v_fmac_f32_e32 v10, v11, v8
	v_fma_f32 v6, -v6, v10, v9
	v_div_scale_f32 v9, s[10:11], v7, v7, v4
	v_rcp_f32_e32 v11, v9
	v_div_fmas_f32 v6, v6, v8, v10
	v_div_fixup_f32 v5, v6, v7, v5
	v_lshl_add_u32 v2, v2, 7, v239
	v_fma_f32 v6, -v9, v11, 1.0
	v_fmac_f32_e32 v11, v6, v11
	v_div_scale_f32 v6, vcc, v4, v7, v4
	v_mul_f32_e32 v8, v6, v11
	v_fma_f32 v10, -v9, v8, v6
	v_fmac_f32_e32 v8, v10, v11
	v_fma_f32 v6, -v9, v8, v6
	v_ashrrev_i32_e32 v3, 31, v2
	v_div_fmas_f32 v6, v6, v11, v8
	v_lshl_add_u64 v[2:3], v[2:3], 3, v[162:163]
	v_div_fixup_f32 v4, v6, v7, v4
	global_store_dwordx2 v[2:3], v[4:5], off
	s_branch .LBB31_10
.LBB31_431:
	v_readlane_b32 s25, v255, 2
	v_readlane_b32 s20, v255, 7
	;; [unrolled: 1-line block ×4, first 2 shown]
	s_andn2_b64 vcc, exec, s[10:11]
	s_cbranch_vccnz .LBB31_8
.LBB31_432:
	s_abs_i32 s0, s91
	v_cvt_f32_u32_e32 v2, s0
	s_sub_i32 s5, 0, s0
	s_abs_i32 s4, s68
	s_xor_b32 s1, s68, s91
	v_rcp_iflag_f32_e32 v2, v2
	s_ashr_i32 s1, s1, 31
	v_mov_b32_e32 v32, s33
	v_mul_f32_e32 v2, 0x4f7ffffe, v2
	v_cvt_u32_f32_e32 v2, v2
	s_nop 0
	v_readfirstlane_b32 s6, v2
	s_mul_i32 s5, s5, s6
	s_mul_hi_u32 s5, s6, s5
	s_add_i32 s6, s6, s5
	s_mul_hi_u32 s5, s4, s6
	s_mul_i32 s6, s5, s0
	s_sub_i32 s4, s4, s6
	s_add_i32 s7, s5, 1
	s_sub_i32 s6, s4, s0
	s_cmp_ge_u32 s4, s0
	s_cselect_b32 s5, s7, s5
	s_cselect_b32 s4, s6, s4
	s_add_i32 s6, s5, 1
	s_cmp_ge_u32 s4, s0
	s_cselect_b32 s0, s6, s5
	s_abs_i32 s4, s90
	v_cvt_f32_u32_e32 v2, s4
	s_xor_b32 s0, s0, s1
	s_sub_i32 s5, 0, s4
	s_sub_i32 s8, s0, s1
	v_rcp_iflag_f32_e32 v2, v2
	s_mul_i32 s0, s8, s91
	s_sub_i32 s0, s68, s0
	s_abs_i32 s6, s0
	v_mul_f32_e32 v2, 0x4f7ffffe, v2
	v_cvt_u32_f32_e32 v2, v2
	s_xor_b32 s1, s0, s90
	s_ashr_i32 s1, s1, 31
	v_readfirstlane_b32 s7, v2
	s_mul_i32 s5, s5, s7
	s_mul_hi_u32 s5, s7, s5
	s_add_i32 s7, s7, s5
	s_mul_hi_u32 s5, s6, s7
	s_mul_i32 s7, s5, s4
	s_sub_i32 s6, s6, s7
	s_add_i32 s9, s5, 1
	s_sub_i32 s7, s6, s4
	s_cmp_ge_u32 s6, s4
	s_cselect_b32 s5, s9, s5
	s_cselect_b32 s6, s7, s6
	s_add_i32 s7, s5, 1
	s_cmp_ge_u32 s6, s4
	s_cselect_b32 s4, s7, s5
	s_abs_i32 s5, s89
	v_cvt_f32_u32_e32 v2, s5
	s_xor_b32 s4, s4, s1
	s_sub_i32 s6, 0, s5
	s_sub_i32 s9, s4, s1
	v_rcp_iflag_f32_e32 v2, v2
	s_mul_i32 s1, s9, s90
	s_sub_i32 s1, s0, s1
	s_abs_i32 s4, s1
	v_mul_f32_e32 v2, 0x4f7ffffe, v2
	v_cvt_u32_f32_e32 v2, v2
	s_xor_b32 s0, s1, s89
	s_ashr_i32 s0, s0, 31
	v_readfirstlane_b32 s7, v2
	s_mul_i32 s6, s6, s7
	s_mul_hi_u32 s6, s7, s6
	s_add_i32 s7, s7, s6
	s_mul_hi_u32 s6, s4, s7
	s_mul_i32 s7, s6, s5
	s_sub_i32 s4, s4, s7
	s_add_i32 s10, s6, 1
	s_sub_i32 s7, s4, s5
	s_cmp_ge_u32 s4, s5
	s_cselect_b32 s6, s10, s6
	s_cselect_b32 s4, s7, s4
	s_add_i32 s7, s6, 1
	s_cmp_ge_u32 s4, s5
	s_cselect_b32 s4, s7, s6
	s_xor_b32 s4, s4, s0
	s_sub_i32 s0, s4, s0
	s_mul_i32 s4, s0, s89
	s_sub_i32 s1, s1, s4
	s_ashr_i32 s4, s1, 31
	s_abs_i32 s1, s1
	s_mul_hi_u32 s5, s1, s64
	s_mul_i32 s6, s5, s93
	s_sub_i32 s1, s1, s6
	s_xor_b32 s4, s4, s54
	s_add_i32 s6, s5, 1
	s_sub_i32 s7, s1, s93
	s_cmp_ge_u32 s1, s93
	s_cselect_b32 s5, s6, s5
	s_cselect_b32 s1, s7, s1
	s_add_i32 s6, s5, 1
	s_cmp_ge_u32 s1, s93
	s_cselect_b32 s1, s6, s5
	s_abs_i32 s10, s16
	v_cvt_f32_u32_e32 v2, s10
	s_xor_b32 s1, s1, s4
	s_sub_i32 s1, s1, s4
	s_cmp_eq_u64 s[46:47], 0
	v_rcp_iflag_f32_e32 v2, v2
	s_nop 0
	v_mul_f32_e32 v2, 0x4f7ffffe, v2
	v_cvt_u32_f32_e32 v2, v2
	s_nop 0
	v_readfirstlane_b32 s12, v2
	s_cbranch_scc1 .LBB31_434
; %bb.433:
	s_mul_i32 s4, s8, s88
	s_add_i32 s4, s1, s4
	s_ashr_i32 s5, s4, 31
	s_lshl_b64 s[4:5], s[4:5], 2
	s_add_u32 s4, s46, s4
	s_addc_u32 s5, s47, s5
	v_mov_b32_e32 v2, 0
	global_load_dword v2, v2, s[4:5]
	s_waitcnt vmcnt(0)
	v_ashrrev_i32_e32 v3, 31, v2
	v_lshrrev_b32_e32 v3, 26, v3
	v_add_u32_e32 v2, v2, v3
	v_ashrrev_i32_e32 v2, 6, v2
	v_min_i32_e32 v32, s33, v2
.LBB31_434:
	s_mul_i32 s4, s9, s3
	s_lshl_b32 s5, s0, 3
	s_add_i32 s0, s5, s4
	s_mul_i32 s4, s8, s67
	s_ashr_i32 s6, s4, 31
	s_add_u32 s4, s36, s4
	s_mul_i32 s0, s0, s66
	s_addc_u32 s7, s37, s6
	s_ashr_i32 s11, s0, 31
	s_add_u32 s6, s4, s0
	s_addc_u32 s7, s7, s11
	v_and_b32_e32 v92, 0x3ff, v0
	s_lshl_b32 s11, s1, 3
	v_bfe_u32 v0, v141, 3, 7
	v_add_u32_e32 v2, s11, v0
	v_or_b32_e32 v0, s5, v123
	v_cmp_le_i32_e64 s[0:1], s28, v2
	v_cmp_le_i32_e64 s[4:5], s3, v0
	s_mov_b32 s13, 0x10001
	v_lshl_add_u32 v93, v92, 2, 0
	v_cmp_gt_i32_e32 vcc, s3, v0
	s_or_b64 s[0:1], s[0:1], s[4:5]
	s_and_saveexec_b64 s[4:5], s[0:1]
	s_xor_b64 s[0:1], exec, s[4:5]
; %bb.435:
	s_movk_i32 s3, 0x210
	v_mad_u32_u24 v0, v95, s3, v93
	v_mov_b32_e32 v2, 0
	ds_write2st64_b32 v0, v2, v2 offset1:1
                                        ; implicit-def: $vgpr2
; %bb.436:
	s_or_saveexec_b64 s[0:1], s[0:1]
	v_mul_lo_u32 v0, v137, s13
	s_xor_b64 exec, exec, s[0:1]
	s_cbranch_execz .LBB31_438
; %bb.437:
	v_mul_lo_u32 v2, v2, s69
	v_mul_lo_u32 v3, v123, s20
	v_add3_u32 v2, v2, v3, v92
	v_ashrrev_i32_e32 v3, 31, v2
	v_lshl_add_u64 v[2:3], v[2:3], 3, s[6:7]
	global_load_dwordx2 v[4:5], v[2:3], off
	global_load_dwordx2 v[6:7], v[2:3], off offset:512
	v_mul_u32_u24_e32 v2, 0x210, v95
	v_lshlrev_b32_e32 v3, 2, v92
	v_add3_u32 v2, 0, v2, v3
	s_waitcnt vmcnt(1)
	v_cvt_pk_f16_f32 v3, v4, v5
	s_waitcnt vmcnt(0)
	v_cvt_pk_f16_f32 v4, v6, v7
	v_pk_mul_f16 v3, v3, v0
	v_pk_mul_f16 v4, v4, v0
	ds_write2st64_b32 v2, v3, v4 offset1:1
.LBB31_438:
	s_or_b64 exec, exec, s[0:1]
	v_lshrrev_b32_e32 v2, 3, v135
	v_add_u32_e32 v2, s11, v2
	v_cmp_le_i32_e64 s[0:1], s28, v2
	s_xor_b64 s[4:5], vcc, -1
	s_or_b64 s[0:1], s[0:1], s[4:5]
	s_and_saveexec_b64 s[16:17], s[0:1]
	s_xor_b64 s[0:1], exec, s[16:17]
; %bb.439:
	s_movk_i32 s3, 0x210
	v_mad_u32_u24 v2, v135, s3, v93
	v_mov_b32_e32 v3, 0
	ds_write2st64_b32 v2, v3, v3 offset1:1
                                        ; implicit-def: $vgpr2
                                        ; implicit-def: $vgpr135
; %bb.440:
	s_andn2_saveexec_b64 s[0:1], s[0:1]
	s_cbranch_execz .LBB31_442
; %bb.441:
	v_mul_lo_u32 v2, v2, s69
	v_mul_lo_u32 v3, v123, s20
	v_add3_u32 v2, v2, v3, v92
	v_ashrrev_i32_e32 v3, 31, v2
	v_lshl_add_u64 v[2:3], v[2:3], 3, s[6:7]
	global_load_dwordx2 v[4:5], v[2:3], off
	global_load_dwordx2 v[6:7], v[2:3], off offset:512
	v_mul_u32_u24_e32 v2, 0x210, v135
	v_lshlrev_b32_e32 v3, 2, v92
	v_add3_u32 v2, 0, v2, v3
	s_waitcnt vmcnt(1)
	v_cvt_pk_f16_f32 v3, v4, v5
	s_waitcnt vmcnt(0)
	v_cvt_pk_f16_f32 v4, v6, v7
	v_pk_mul_f16 v3, v3, v0
	v_pk_mul_f16 v4, v4, v0
	ds_write2st64_b32 v2, v3, v4 offset1:1
.LBB31_442:
	s_or_b64 exec, exec, s[0:1]
	v_lshrrev_b32_e32 v2, 3, v133
	v_add_u32_e32 v2, s11, v2
	v_cmp_le_i32_e32 vcc, s28, v2
	s_or_b64 s[0:1], vcc, s[4:5]
	s_and_saveexec_b64 s[16:17], s[0:1]
	s_xor_b64 s[0:1], exec, s[16:17]
; %bb.443:
	s_movk_i32 s3, 0x210
	v_mad_u32_u24 v2, v133, s3, v93
	v_mov_b32_e32 v3, 0
	ds_write2st64_b32 v2, v3, v3 offset1:1
                                        ; implicit-def: $vgpr2
                                        ; implicit-def: $vgpr133
; %bb.444:
	s_andn2_saveexec_b64 s[0:1], s[0:1]
	s_cbranch_execz .LBB31_446
; %bb.445:
	v_mul_lo_u32 v2, v2, s69
	v_mul_lo_u32 v3, v123, s20
	v_add3_u32 v2, v2, v3, v92
	v_ashrrev_i32_e32 v3, 31, v2
	v_lshl_add_u64 v[2:3], v[2:3], 3, s[6:7]
	global_load_dwordx2 v[4:5], v[2:3], off
	global_load_dwordx2 v[6:7], v[2:3], off offset:512
	v_mul_u32_u24_e32 v2, 0x210, v133
	v_lshlrev_b32_e32 v3, 2, v92
	v_add3_u32 v2, 0, v2, v3
	s_waitcnt vmcnt(1)
	v_cvt_pk_f16_f32 v3, v4, v5
	s_waitcnt vmcnt(0)
	v_cvt_pk_f16_f32 v4, v6, v7
	v_pk_mul_f16 v3, v3, v0
	v_pk_mul_f16 v4, v4, v0
	ds_write2st64_b32 v2, v3, v4 offset1:1
.LBB31_446:
	s_or_b64 exec, exec, s[0:1]
	v_lshrrev_b32_e32 v2, 3, v131
	v_add_u32_e32 v2, s11, v2
	v_cmp_le_i32_e32 vcc, s28, v2
	s_or_b64 s[0:1], vcc, s[4:5]
	s_and_saveexec_b64 s[16:17], s[0:1]
	s_xor_b64 s[0:1], exec, s[16:17]
; %bb.447:
	s_movk_i32 s3, 0x210
	v_mad_u32_u24 v2, v131, s3, v93
	v_mov_b32_e32 v3, 0
	ds_write2st64_b32 v2, v3, v3 offset1:1
                                        ; implicit-def: $vgpr2
                                        ; implicit-def: $vgpr131
; %bb.448:
	s_andn2_saveexec_b64 s[0:1], s[0:1]
	s_cbranch_execz .LBB31_450
; %bb.449:
	v_mul_lo_u32 v2, v2, s69
	v_mul_lo_u32 v3, v123, s20
	v_add3_u32 v2, v2, v3, v92
	v_ashrrev_i32_e32 v3, 31, v2
	v_lshl_add_u64 v[2:3], v[2:3], 3, s[6:7]
	global_load_dwordx2 v[4:5], v[2:3], off
	global_load_dwordx2 v[6:7], v[2:3], off offset:512
	v_mul_u32_u24_e32 v2, 0x210, v131
	v_lshlrev_b32_e32 v3, 2, v92
	v_add3_u32 v2, 0, v2, v3
	s_waitcnt vmcnt(1)
	v_cvt_pk_f16_f32 v3, v4, v5
	s_waitcnt vmcnt(0)
	v_cvt_pk_f16_f32 v4, v6, v7
	v_pk_mul_f16 v3, v3, v0
	v_pk_mul_f16 v4, v4, v0
	ds_write2st64_b32 v2, v3, v4 offset1:1
.LBB31_450:
	s_or_b64 exec, exec, s[0:1]
	v_lshrrev_b32_e32 v2, 3, v129
	v_add_u32_e32 v2, s11, v2
	v_cmp_le_i32_e32 vcc, s28, v2
	s_or_b64 s[0:1], vcc, s[4:5]
	s_and_saveexec_b64 s[16:17], s[0:1]
	s_xor_b64 s[0:1], exec, s[16:17]
; %bb.451:
	s_movk_i32 s3, 0x210
	v_mad_u32_u24 v2, v129, s3, v93
	v_mov_b32_e32 v3, 0
	ds_write2st64_b32 v2, v3, v3 offset1:1
                                        ; implicit-def: $vgpr2
                                        ; implicit-def: $vgpr129
; %bb.452:
	s_andn2_saveexec_b64 s[0:1], s[0:1]
	s_cbranch_execz .LBB31_454
; %bb.453:
	v_mul_lo_u32 v2, v2, s69
	v_mul_lo_u32 v3, v123, s20
	v_add3_u32 v2, v2, v3, v92
	v_ashrrev_i32_e32 v3, 31, v2
	v_lshl_add_u64 v[2:3], v[2:3], 3, s[6:7]
	global_load_dwordx2 v[4:5], v[2:3], off
	global_load_dwordx2 v[6:7], v[2:3], off offset:512
	v_mul_u32_u24_e32 v2, 0x210, v129
	v_lshlrev_b32_e32 v3, 2, v92
	v_add3_u32 v2, 0, v2, v3
	s_waitcnt vmcnt(1)
	v_cvt_pk_f16_f32 v3, v4, v5
	s_waitcnt vmcnt(0)
	v_cvt_pk_f16_f32 v4, v6, v7
	v_pk_mul_f16 v3, v3, v0
	v_pk_mul_f16 v4, v4, v0
	ds_write2st64_b32 v2, v3, v4 offset1:1
.LBB31_454:
	s_or_b64 exec, exec, s[0:1]
	v_lshrrev_b32_e32 v2, 3, v230
	v_add_u32_e32 v2, s11, v2
	v_cmp_le_i32_e32 vcc, s28, v2
	s_sub_i32 s3, 0, s10
	s_or_b64 s[0:1], vcc, s[4:5]
	s_and_saveexec_b64 s[16:17], s[0:1]
	s_xor_b64 s[0:1], exec, s[16:17]
; %bb.455:
	s_movk_i32 s13, 0x210
	v_mad_u32_u24 v2, v230, s13, v93
	v_mov_b32_e32 v3, 0
	ds_write2st64_b32 v2, v3, v3 offset1:1
                                        ; implicit-def: $vgpr2
                                        ; implicit-def: $vgpr230
; %bb.456:
	s_or_saveexec_b64 s[0:1], s[0:1]
	s_mul_i32 s3, s3, s12
	s_xor_b64 exec, exec, s[0:1]
	s_cbranch_execz .LBB31_458
; %bb.457:
	v_mul_lo_u32 v2, v2, s69
	v_mul_lo_u32 v3, v123, s20
	v_add3_u32 v2, v2, v3, v92
	v_ashrrev_i32_e32 v3, 31, v2
	v_lshl_add_u64 v[2:3], v[2:3], 3, s[6:7]
	global_load_dwordx2 v[4:5], v[2:3], off
	global_load_dwordx2 v[6:7], v[2:3], off offset:512
	v_mul_u32_u24_e32 v2, 0x210, v230
	v_lshlrev_b32_e32 v3, 2, v92
	v_add3_u32 v2, 0, v2, v3
	s_waitcnt vmcnt(1)
	v_cvt_pk_f16_f32 v3, v4, v5
	s_waitcnt vmcnt(0)
	v_cvt_pk_f16_f32 v4, v6, v7
	v_pk_mul_f16 v3, v3, v0
	v_pk_mul_f16 v4, v4, v0
	ds_write2st64_b32 v2, v3, v4 offset1:1
.LBB31_458:
	s_or_b64 exec, exec, s[0:1]
	v_lshrrev_b32_e32 v2, 3, v228
	v_add_u32_e32 v2, s11, v2
	v_cmp_le_i32_e32 vcc, s28, v2
	s_mul_hi_u32 s13, s12, s3
	s_or_b64 s[0:1], vcc, s[4:5]
	s_and_saveexec_b64 s[16:17], s[0:1]
	s_xor_b64 s[0:1], exec, s[16:17]
; %bb.459:
	s_movk_i32 s3, 0x210
	v_mad_u32_u24 v2, v228, s3, v93
	v_mov_b32_e32 v3, 0
	ds_write2st64_b32 v2, v3, v3 offset1:1
                                        ; implicit-def: $vgpr2
                                        ; implicit-def: $vgpr228
; %bb.460:
	s_or_saveexec_b64 s[0:1], s[0:1]
	s_abs_i32 s3, s8
	s_add_i32 s12, s12, s13
	s_xor_b64 exec, exec, s[0:1]
	s_cbranch_execz .LBB31_462
; %bb.461:
	v_mul_lo_u32 v2, v2, s69
	v_mul_lo_u32 v3, v123, s20
	v_add3_u32 v2, v2, v3, v92
	v_ashrrev_i32_e32 v3, 31, v2
	v_lshl_add_u64 v[2:3], v[2:3], 3, s[6:7]
	global_load_dwordx2 v[4:5], v[2:3], off
	global_load_dwordx2 v[6:7], v[2:3], off offset:512
	v_mul_u32_u24_e32 v2, 0x210, v228
	v_lshlrev_b32_e32 v3, 2, v92
	v_add3_u32 v2, 0, v2, v3
	s_waitcnt vmcnt(1)
	v_cvt_pk_f16_f32 v3, v4, v5
	s_waitcnt vmcnt(0)
	v_cvt_pk_f16_f32 v4, v6, v7
	v_pk_mul_f16 v3, v3, v0
	v_pk_mul_f16 v4, v4, v0
	ds_write2st64_b32 v2, v3, v4 offset1:1
.LBB31_462:
	s_or_b64 exec, exec, s[0:1]
	v_lshrrev_b32_e32 v2, 3, v1
	v_add_u32_e32 v2, s11, v2
	v_cmp_le_i32_e32 vcc, s28, v2
	s_mul_hi_u32 s15, s3, s12
	s_or_b64 s[0:1], vcc, s[4:5]
	s_and_saveexec_b64 s[4:5], s[0:1]
	s_xor_b64 s[0:1], exec, s[4:5]
; %bb.463:
	s_movk_i32 s4, 0x210
	v_mad_u32_u24 v0, v1, s4, v93
	v_mov_b32_e32 v1, 0
	ds_write2st64_b32 v0, v1, v1 offset1:1
                                        ; implicit-def: $vgpr2
                                        ; implicit-def: $vgpr123
                                        ; implicit-def: $vgpr1
                                        ; implicit-def: $vgpr0
; %bb.464:
	s_or_saveexec_b64 s[0:1], s[0:1]
	s_ashr_i32 s16, s8, 31
	s_xor_b64 exec, exec, s[0:1]
	s_cbranch_execz .LBB31_466
; %bb.465:
	v_mul_lo_u32 v2, v2, s69
	v_mul_lo_u32 v3, v123, s20
	v_add3_u32 v2, v2, v3, v92
	v_ashrrev_i32_e32 v3, 31, v2
	v_lshl_add_u64 v[2:3], v[2:3], 3, s[6:7]
	global_load_dwordx2 v[4:5], v[2:3], off
	global_load_dwordx2 v[6:7], v[2:3], off offset:512
	v_mul_u32_u24_e32 v1, 0x210, v1
	v_lshlrev_b32_e32 v2, 2, v92
	v_add3_u32 v1, 0, v1, v2
	s_waitcnt vmcnt(1)
	v_cvt_pk_f16_f32 v2, v4, v5
	s_waitcnt vmcnt(0)
	v_cvt_pk_f16_f32 v3, v6, v7
	v_pk_mul_f16 v2, v2, v0
	v_pk_mul_f16 v0, v3, v0
	ds_write2st64_b32 v1, v2, v0 offset1:1
.LBB31_466:
	s_or_b64 exec, exec, s[0:1]
	s_mul_hi_u32 s0, s52, s8
	s_mul_i32 s1, s52, s16
	s_add_i32 s0, s0, s1
	s_mul_i32 s1, s53, s8
	s_add_i32 s0, s0, s1
	s_mul_i32 s1, s52, s8
	s_add_u32 s1, s38, s1
	s_mul_i32 s4, s9, s65
	s_addc_u32 s0, s39, s0
	s_ashr_i32 s5, s4, 31
	s_add_u32 s12, s1, s4
	s_mul_i32 s15, s15, s10
	s_addc_u32 s13, s0, s5
	s_sub_i32 s0, s3, s15
	s_sub_i32 s1, s0, s10
	s_cmp_ge_u32 s0, s10
	s_cselect_b32 s0, s1, s0
	s_sub_i32 s1, s0, s10
	s_cmp_ge_u32 s0, s10
	s_cselect_b32 s0, s1, s0
	s_xor_b32 s0, s0, s16
	s_sub_i32 s0, s0, s16
	s_ashr_i32 s1, s0, 31
	s_mul_i32 s1, s62, s1
	s_mul_hi_u32 s3, s62, s0
	s_add_i32 s1, s3, s1
	s_mul_i32 s3, s63, s0
	s_add_i32 s1, s1, s3
	s_mul_i32 s0, s62, s0
	s_add_u32 s4, s42, s0
	s_addc_u32 s5, s43, s1
	s_mul_hi_u32 s0, s60, s8
	s_mul_i32 s1, s60, s16
	s_add_i32 s0, s0, s1
	s_mul_i32 s1, s61, s8
	s_add_i32 s0, s0, s1
	s_mul_i32 s1, s60, s8
	s_add_u32 s1, s40, s1
	s_mul_i32 s9, s9, s55
	s_addc_u32 s0, s41, s0
	s_ashr_i32 s6, s9, 31
	s_add_u32 s3, s1, s9
	v_lshrrev_b32_e32 v1, 3, v92
	s_addc_u32 s10, s0, s6
	v_and_b32_e32 v33, 0x1ff0, v121
	s_movk_i32 s0, 0x210
	v_and_b32_e32 v94, 15, v92
	v_and_b32_e32 v1, 0x7e, v1
	v_mad_u32_u24 v0, v33, s0, 0
	v_mul_u32_u24_e32 v117, 0x210, v94
	v_lshlrev_b32_e32 v96, 2, v1
	v_add3_u32 v0, v0, v117, v96
	s_waitcnt lgkmcnt(0)
	s_barrier
	ds_read2_b64 v[28:31], v0 offset1:4
	ds_read2_b64 v[24:27], v0 offset0:8 offset1:12
	ds_read2_b64 v[20:23], v0 offset0:16 offset1:20
	;; [unrolled: 1-line block ×7, first 2 shown]
	v_add_u32_e32 v120, -1, v32
	v_lshrrev_b32_e32 v32, 5, v92
	v_lshl_add_u32 v118, v95, 1, v32
	v_cmp_ge_i32_e32 vcc, s14, v120
	v_mul_lo_u32 v70, s56, v118
	v_mul_lo_u32 v68, s30, v118
	s_and_b64 vcc, exec, vcc
	v_cmp_gt_u32_e64 s[0:1], 8, v118
	v_ashrrev_i32_e32 v71, 31, v70
	v_lshrrev_b32_e32 v114, 2, v92
	v_and_or_b32 v116, v92, 8, v33
	v_mbcnt_lo_u32_b32 v115, -1, 0
	v_ashrrev_i32_e32 v69, 31, v68
	v_and_b32_e32 v113, 8, v121
	v_lshlrev_b32_e32 v112, 1, v94
	s_waitcnt lgkmcnt(0)
	s_barrier
	s_cbranch_vccnz .LBB31_473
; %bb.467:
	v_add_u32_e32 v32, s11, v118
	v_mul_hi_u32 v33, s34, v32
	v_add_u32_e32 v33, v32, v33
	v_lshrrev_b32_e32 v33, s35, v33
	v_mul_lo_u32 v33, v33, s28
	v_sub_u32_e32 v32, v32, v33
	v_lshlrev_b32_e32 v33, 2, v92
	v_and_b32_e32 v72, 0x7c, v33
	v_mad_i64_i32 v[32:33], s[6:7], v32, s58, 0
	s_movk_i32 s8, 0x90
	v_lshl_add_u64 v[32:33], v[32:33], 1, s[4:5]
	v_mov_b32_e32 v73, 0
	v_mad_u32_u24 v34, v118, s8, 0
	v_lshl_add_u64 v[74:75], v[32:33], 0, v[72:73]
	v_mul_u32_u24_e32 v32, 0x180, v118
	v_lshlrev_b32_e32 v33, 2, v72
	v_add3_u32 v123, v34, v32, v33
	v_and_b32_e32 v32, 16, v101
	v_and_b32_e32 v35, 0xfc, v114
	v_add_u32_e32 v122, v34, v72
	v_mul_u32_u24_e32 v34, 0x210, v32
	v_add_u32_e32 v36, v35, v32
	v_lshrrev_b32_e32 v37, 3, v116
	v_add_u16_e32 v32, v35, v32
	v_mad_u32_u24 v37, v37, s8, 0
	v_lshrrev_b16_e32 v32, 1, v32
	v_lshl_add_u32 v38, v32, 2, v37
	v_lshl_add_u32 v32, v36, 1, v37
	v_add_u32_e32 v127, 64, v32
	v_add_u32_e32 v128, 0x44, v32
	v_mbcnt_hi_u32_b32 v32, -1, v115
	v_and_b32_e32 v36, 64, v32
	s_lshl_b32 s6, s56, 4
	v_add_u32_e32 v36, 64, v36
	v_xor_b32_e32 v37, 32, v32
	v_add_u32_e32 v76, s6, v70
	v_cmp_lt_i32_e32 vcc, v37, v36
	v_add_u32_e32 v78, s6, v76
	v_add_u32_e32 v80, s6, v78
	v_cndmask_b32_e32 v37, v32, v37, vcc
	v_lshlrev_b32_e32 v129, 2, v37
	v_xor_b32_e32 v37, 16, v32
	s_lshl_b32 s6, s30, 4
	v_cmp_lt_i32_e32 vcc, v37, v36
	v_add_u32_e32 v82, s6, v68
	v_add_u32_e32 v84, s6, v82
	v_cndmask_b32_e32 v32, v32, v37, vcc
	v_lshlrev_b32_e32 v130, 2, v32
	v_add_u32_e32 v86, s6, v84
	v_mul_u32_u24_e32 v32, 0x210, v35
	v_or_b32_e32 v35, 3, v114
	s_movk_i32 s6, 0x420
	v_add3_u32 v33, 0, v117, v96
	v_mul_u32_u24_e32 v35, 0x210, v35
	v_mad_u32_u24 v36, v113, s6, 0
	v_add_u32_e32 v124, 0x2100, v123
	v_ashrrev_i32_e32 v77, 31, v76
	v_add_u32_e32 v125, 0x4200, v123
	v_ashrrev_i32_e32 v79, 31, v78
	;; [unrolled: 2-line block ×3, first 2 shown]
	v_ashrrev_i32_e32 v83, 31, v82
	v_ashrrev_i32_e32 v85, 31, v84
	;; [unrolled: 1-line block ×3, first 2 shown]
	v_add3_u32 v131, v36, v32, v112
	v_add3_u32 v132, v36, v35, v112
	s_lshl_b32 s6, s14, 6
	v_mov_b32_e32 v32, 0xfeffffff
	v_lshlrev_b32_e32 v72, 2, v72
	v_add_u32_e32 v133, v33, v34
	v_add_u32_e32 v134, 0x8400, v38
	s_mov_b32 s15, 0x3fb8aa3b
	s_mov_b32 s16, 0xc2ce8ed0
	;; [unrolled: 1-line block ×5, first 2 shown]
	v_mov_b32_e32 v135, 0x7f800000
	v_mov_b32_e32 v136, v73
	;; [unrolled: 1-line block ×34, first 2 shown]
	s_ashr_i32 s7, s6, 31
	s_and_saveexec_b64 s[8:9], s[0:1]
	s_cbranch_execz .LBB31_469
.LBB31_468:
	v_lshl_add_u64 v[42:43], s[6:7], 1, v[74:75]
	global_load_dword v33, v[42:43], off
	s_waitcnt vmcnt(0)
	ds_write_b32 v122, v33 offset:33792
.LBB31_469:                             ; =>This Inner Loop Header: Depth=1
	s_or_b64 exec, exec, s[8:9]
	s_mul_hi_i32 s9, s6, s56
	s_mul_i32 s8, s6, s56
	s_lshl_b64 s[8:9], s[8:9], 2
	s_add_u32 s8, s12, s8
	s_addc_u32 s9, s13, s9
	v_lshl_add_u64 v[44:45], v[76:77], 2, s[8:9]
	v_lshl_add_u64 v[42:43], v[70:71], 2, s[8:9]
	;; [unrolled: 1-line block ×8, first 2 shown]
	global_load_dwordx4 v[42:45], v[42:43], off
	s_nop 0
	global_load_dwordx4 v[88:91], v[46:47], off
	global_load_dwordx4 v[138:141], v[54:55], off
	;; [unrolled: 1-line block ×3, first 2 shown]
	v_add_u32_e32 v33, 0x4000, v133
	s_mul_hi_i32 s9, s6, s30
	s_mul_i32 s8, s6, s30
	s_lshl_b64 s[8:9], s[8:9], 2
	s_add_u32 s8, s3, s8
	s_addc_u32 s9, s10, s9
	v_lshl_add_u64 v[46:47], v[68:69], 2, s[8:9]
	v_lshl_add_u64 v[54:55], v[82:83], 2, s[8:9]
	;; [unrolled: 1-line block ×4, first 2 shown]
	s_add_i32 s14, s14, 1
	s_add_i32 s6, s6, 64
	s_waitcnt vmcnt(3)
	ds_write_b128 v123, v[42:45]
	s_waitcnt vmcnt(2)
	ds_write_b128 v124, v[88:91]
	;; [unrolled: 2-line block ×4, first 2 shown]
	s_waitcnt lgkmcnt(0)
	s_barrier
	ds_read2_b64 v[42:45], v133 offset1:4
	ds_read2_b64 v[138:141], v33 offset0:64 offset1:68
	s_waitcnt lgkmcnt(1)
	v_mfma_f32_16x16x16_f16 v[88:91], v[42:43], v[28:29], 0
	s_waitcnt lgkmcnt(0)
	v_mfma_f32_16x16x16_f16 v[142:145], v[138:139], v[28:29], 0
	v_mfma_f32_16x16x16_f16 v[42:45], v[44:45], v[30:31], v[88:91]
	;; [unrolled: 1-line block ×3, first 2 shown]
	ds_read2_b64 v[138:141], v133 offset0:8 offset1:12
	s_nop 4
	ds_read2_b64 v[142:145], v33 offset0:72 offset1:76
	s_waitcnt lgkmcnt(1)
	v_mfma_f32_16x16x16_f16 v[42:45], v[138:139], v[24:25], v[42:45]
	v_mfma_f32_16x16x16_f16 v[42:45], v[140:141], v[26:27], v[42:45]
	ds_read2_b64 v[138:141], v133 offset0:16 offset1:20
	s_waitcnt lgkmcnt(1)
	v_mfma_f32_16x16x16_f16 v[88:91], v[142:143], v[24:25], v[88:91]
	v_mfma_f32_16x16x16_f16 v[88:91], v[144:145], v[26:27], v[88:91]
	;; [unrolled: 4-line block ×9, first 2 shown]
	ds_read2_b64 v[138:141], v133 offset0:48 offset1:52
	ds_read2_b64 v[146:149], v33 offset0:112 offset1:116
	s_waitcnt lgkmcnt(2)
	v_mfma_f32_16x16x16_f16 v[88:91], v[142:143], v[8:9], v[88:91]
	s_waitcnt lgkmcnt(1)
	v_mfma_f32_16x16x16_f16 v[42:45], v[138:139], v[4:5], v[42:45]
	v_mfma_f32_16x16x16_f16 v[88:91], v[144:145], v[10:11], v[88:91]
	ds_read2_b64 v[142:145], v133 offset0:56 offset1:60
	v_mfma_f32_16x16x16_f16 v[42:45], v[140:141], v[6:7], v[42:45]
	ds_read2_b64 v[138:141], v33 offset0:120 offset1:124
	s_waitcnt lgkmcnt(0)
	s_barrier
	v_mfma_f32_16x16x16_f16 v[88:91], v[146:147], v[4:5], v[88:91]
	ds_read2_b32 v[62:63], v134 offset1:1
	ds_read_b32 v33, v127 offset:33792
	ds_read_b32 v35, v128 offset:33792
	v_mfma_f32_16x16x16_f16 v[88:91], v[148:149], v[6:7], v[88:91]
	s_waitcnt lgkmcnt(2)
	v_cvt_f32_f16_e32 v39, v62
	v_mfma_f32_16x16x16_f16 v[42:45], v[142:143], v[0:1], v[42:45]
	v_cvt_f32_f16_sdwa v62, v62 dst_sel:DWORD dst_unused:UNUSED_PAD src0_sel:WORD_1
	v_cvt_f32_f16_e32 v119, v63
	v_cvt_f32_f16_sdwa v63, v63 dst_sel:DWORD dst_unused:UNUSED_PAD src0_sel:WORD_1
	v_mfma_f32_16x16x16_f16 v[88:91], v[138:139], v[0:1], v[88:91]
	s_waitcnt lgkmcnt(1)
	v_cvt_f32_f16_e32 v137, v33
	v_cvt_f32_f16_sdwa v33, v33 dst_sel:DWORD dst_unused:UNUSED_PAD src0_sel:WORD_1
	s_waitcnt lgkmcnt(0)
	v_cvt_f32_f16_e32 v138, v35
	v_mfma_f32_16x16x16_f16 v[42:45], v[144:145], v[2:3], v[42:45]
	v_cvt_f32_f16_sdwa v35, v35 dst_sel:DWORD dst_unused:UNUSED_PAD src0_sel:WORD_1
	v_mfma_f32_16x16x16_f16 v[88:91], v[140:141], v[2:3], v[88:91]
	s_nop 5
	v_add_f32_e32 v39, v42, v39
	v_add_f32_e32 v62, v43, v62
	;; [unrolled: 1-line block ×10, first 2 shown]
	v_max3_f32 v42, v32, v42, v43
	v_add_f32_e32 v142, v90, v138
	v_add_f32_e32 v35, v91, v35
	;; [unrolled: 1-line block ×4, first 2 shown]
	v_max3_f32 v42, v42, v44, v45
	v_add_f32_e32 v90, 0x40051340, v142
	v_add_f32_e32 v91, 0x40051340, v35
	v_max3_f32 v42, v42, v88, v89
	v_max3_f32 v44, v42, v90, v91
	ds_bpermute_b32 v45, v129, v44
	v_lshl_add_u64 v[42:43], v[46:47], 0, v[72:73]
	v_lshl_add_u64 v[46:47], v[54:55], 0, v[72:73]
	;; [unrolled: 1-line block ×4, first 2 shown]
	s_waitcnt lgkmcnt(0)
	v_max_f32_e32 v45, v45, v45
	v_max_f32_e32 v66, v44, v45
	global_load_dwordx4 v[42:45], v[42:43], off
	s_nop 0
	global_load_dwordx4 v[88:91], v[46:47], off
	global_load_dwordx4 v[148:151], v[54:55], off
	;; [unrolled: 1-line block ×3, first 2 shown]
	ds_bpermute_b32 v67, v130, v66
	s_waitcnt vmcnt(3)
	ds_write_b128 v123, v[42:45]
	s_waitcnt vmcnt(2)
	ds_write_b128 v124, v[88:91]
	;; [unrolled: 2-line block ×4, first 2 shown]
	s_waitcnt lgkmcnt(4)
	v_max_f32_e32 v46, v67, v67
	v_max_f32_e32 v119, v66, v46
	v_sub_f32_e32 v39, v39, v119
	v_sub_f32_e32 v46, v62, v119
	v_mul_f32_e32 v58, 0x3fb8aa3b, v39
	v_sub_f32_e32 v47, v139, v119
	v_sub_f32_e32 v55, v137, v119
	v_mul_f32_e32 v59, 0x3fb8aa3b, v46
	v_fma_f32 v67, v39, s15, -v58
	v_rndne_f32_e32 v137, v58
	v_mul_f32_e32 v62, 0x3fb8aa3b, v47
	v_fma_f32 v138, v46, s15, -v59
	v_rndne_f32_e32 v139, v59
	v_fmac_f32_e32 v67, 0x32a5705f, v39
	v_sub_f32_e32 v58, v58, v137
	v_fma_f32 v140, v47, s15, -v62
	v_rndne_f32_e32 v141, v62
	v_fmac_f32_e32 v138, 0x32a5705f, v46
	v_sub_f32_e32 v59, v59, v139
	v_add_f32_e32 v58, v58, v67
	v_cvt_i32_f32_e32 v137, v137
	v_fmac_f32_e32 v140, 0x32a5705f, v47
	v_sub_f32_e32 v62, v62, v141
	v_add_f32_e32 v59, v59, v138
	v_exp_f32_e32 v58, v58
	v_sub_f32_e32 v54, v63, v119
	v_cvt_i32_f32_e32 v139, v139
	v_add_f32_e32 v62, v62, v140
	v_exp_f32_e32 v59, v59
	v_mul_f32_e32 v63, 0x3fb8aa3b, v54
	v_cvt_i32_f32_e32 v141, v141
	v_exp_f32_e32 v62, v62
	v_fma_f32 v143, v54, s15, -v63
	v_rndne_f32_e32 v144, v63
	v_fmac_f32_e32 v143, 0x32a5705f, v54
	v_sub_f32_e32 v63, v63, v144
	v_ldexp_f32 v58, v58, v137
	v_cmp_ngt_f32_e32 vcc, s16, v39
	v_add_f32_e32 v63, v63, v143
	v_ldexp_f32 v59, v59, v139
	v_cndmask_b32_e32 v58, 0, v58, vcc
	v_cmp_ngt_f32_e32 vcc, s16, v46
	v_cvt_i32_f32_e32 v144, v144
	v_exp_f32_e32 v63, v63
	v_ldexp_f32 v62, v62, v141
	v_cndmask_b32_e32 v59, 0, v59, vcc
	v_cmp_ngt_f32_e32 vcc, s16, v47
	v_mul_f32_e32 v66, 0x3fb8aa3b, v55
	v_fma_f32 v145, v55, s15, -v66
	v_cndmask_b32_e32 v62, 0, v62, vcc
	v_cmp_nlt_f32_e32 vcc, s17, v39
	v_rndne_f32_e32 v146, v66
	v_sub_f32_e32 v33, v33, v119
	v_cndmask_b32_e32 v140, v135, v58, vcc
	v_cmp_nlt_f32_e32 vcc, s17, v46
	v_fmac_f32_e32 v145, 0x32a5705f, v55
	v_sub_f32_e32 v66, v66, v146
	v_cndmask_b32_e32 v141, v135, v59, vcc
	v_cmp_nlt_f32_e32 vcc, s17, v47
	v_ldexp_f32 v63, v63, v144
	v_mul_f32_e32 v46, 0x3fb8aa3b, v33
	v_cndmask_b32_e32 v138, v135, v62, vcc
	v_cmp_ngt_f32_e32 vcc, s16, v54
	v_add_f32_e32 v66, v66, v145
	v_fma_f32 v47, v33, s15, -v46
	v_cndmask_b32_e32 v39, 0, v63, vcc
	v_cmp_nlt_f32_e32 vcc, s17, v54
	v_rndne_f32_e32 v54, v46
	v_cvt_i32_f32_e32 v146, v146
	v_exp_f32_e32 v66, v66
	v_fmac_f32_e32 v47, 0x32a5705f, v33
	v_sub_f32_e32 v46, v46, v54
	v_add_f32_e32 v46, v46, v47
	v_exp_f32_e32 v46, v46
	v_cvt_i32_f32_e32 v47, v54
	v_cndmask_b32_e32 v137, v135, v39, vcc
	v_ldexp_f32 v39, v66, v146
	v_cmp_ngt_f32_e32 vcc, s16, v55
	v_sub_f32_e32 v35, v35, v119
	v_sub_f32_e32 v32, v32, v119
	v_cndmask_b32_e32 v39, 0, v39, vcc
	v_cmp_nlt_f32_e32 vcc, s17, v55
	s_waitcnt lgkmcnt(0)
	s_barrier
	v_cndmask_b32_e32 v139, v135, v39, vcc
	v_ldexp_f32 v39, v46, v47
	v_sub_f32_e32 v46, v142, v119
	v_mul_f32_e32 v47, 0x3fb8aa3b, v46
	v_fma_f32 v54, v46, s15, -v47
	v_rndne_f32_e32 v55, v47
	v_fmac_f32_e32 v54, 0x32a5705f, v46
	v_sub_f32_e32 v47, v47, v55
	v_add_f32_e32 v47, v47, v54
	v_exp_f32_e32 v47, v47
	v_cvt_i32_f32_e32 v54, v55
	v_cmp_ngt_f32_e32 vcc, s16, v33
	v_cvt_pk_f16_f32 v89, v138, v137
	s_nop 0
	v_cndmask_b32_e32 v39, 0, v39, vcc
	v_cmp_nlt_f32_e32 vcc, s17, v33
	v_ldexp_f32 v33, v47, v54
	s_nop 0
	v_cndmask_b32_e32 v142, v135, v39, vcc
	v_mul_f32_e32 v39, 0x3fb8aa3b, v35
	v_fma_f32 v47, v35, s15, -v39
	v_rndne_f32_e32 v54, v39
	v_fmac_f32_e32 v47, 0x32a5705f, v35
	v_sub_f32_e32 v39, v39, v54
	v_add_f32_e32 v39, v39, v47
	v_cvt_i32_f32_e32 v47, v54
	v_mul_f32_e32 v54, 0x3fb8aa3b, v32
	v_fma_f32 v55, v32, s15, -v54
	v_rndne_f32_e32 v58, v54
	v_fmac_f32_e32 v55, 0x32a5705f, v32
	v_sub_f32_e32 v54, v54, v58
	v_add_f32_e32 v54, v54, v55
	v_exp_f32_e32 v39, v39
	v_exp_f32_e32 v54, v54
	v_cvt_i32_f32_e32 v55, v58
	v_cmp_ngt_f32_e32 vcc, s16, v46
	s_nop 1
	v_cndmask_b32_e32 v33, 0, v33, vcc
	v_cmp_nlt_f32_e32 vcc, s17, v46
	s_nop 1
	v_cndmask_b32_e32 v143, v135, v33, vcc
	v_ldexp_f32 v33, v39, v47
	v_ldexp_f32 v39, v54, v55
	v_cmp_ngt_f32_e32 vcc, s16, v32
	s_nop 1
	v_cndmask_b32_e32 v39, 0, v39, vcc
	v_cmp_nlt_f32_e32 vcc, s17, v32
	s_nop 1
	v_cndmask_b32_e32 v39, v135, v39, vcc
	v_cmp_le_f32_e32 vcc, s18, v32
	s_nop 1
	v_cndmask_b32_e32 v144, 0, v39, vcc
	v_cvt_f16_f32_e32 v32, v144
	v_cmp_ngt_f32_e32 vcc, s16, v35
	v_mul_u32_u24_e32 v146, 0x10001, v32
	s_nop 0
	v_cndmask_b32_e32 v33, 0, v33, vcc
	v_cmp_nlt_f32_e32 vcc, s17, v35
	v_pk_mul_f16 v35, v34, v146
	v_pk_mul_f16 v37, v37, v146
	v_cndmask_b32_e32 v145, v135, v33, vcc
	v_pk_mul_f16 v33, v38, v146
	ds_read_u16 v38, v131 offset:1056
	ds_read_u16 v42, v131 offset:1088
	ds_read_u16 v44, v131 offset:1120
	ds_read_u16 v47, v131 offset:1152
	ds_read_u16 v54, v131 offset:1184
	ds_read_u16 v58, v131 offset:1216
	ds_read_u16 v62, v131 offset:1248
	ds_read_u16 v66, v131 offset:1280
	ds_read_u16 v39, v132
	ds_read_u16 v43, v132 offset:32
	ds_read_u16 v45, v132 offset:64
	;; [unrolled: 1-line block ×7, first 2 shown]
	s_waitcnt lgkmcnt(7)
	v_perm_b32 v39, v39, v38, s19
	ds_read_u16 v38, v131
	ds_read_u16 v46, v131 offset:32
	ds_read_u16 v148, v131 offset:64
	;; [unrolled: 1-line block ×15, first 2 shown]
	s_waitcnt lgkmcnt(7)
	v_perm_b32 v38, v88, v38, s19
	v_cvt_f32_f16_e32 v32, v33
	v_cvt_f32_f16_sdwa v33, v33 dst_sel:DWORD dst_unused:UNUSED_PAD src0_sel:WORD_1
	v_cvt_f32_f16_e32 v34, v35
	v_cvt_f32_f16_sdwa v35, v35 dst_sel:DWORD dst_unused:UNUSED_PAD src0_sel:WORD_1
	v_cvt_pk_f16_f32 v88, v140, v141
	v_pk_mul_f16 v189, v36, v146
	v_cvt_pk_f16_f32 v91, v143, v145
	v_mfma_f32_16x16x16_f16 v[32:35], v[38:39], v[88:89], v[32:35]
	ds_read_u16 v38, v131 offset:17952
	ds_read_u16 v161, v131 offset:17984
	;; [unrolled: 1-line block ×16, first 2 shown]
	s_waitcnt lgkmcnt(7)
	v_perm_b32 v39, v39, v38, s19
	ds_read_u16 v38, v131 offset:16896
	ds_read_u16 v175, v131 offset:16928
	;; [unrolled: 1-line block ×16, first 2 shown]
	v_cvt_f16_f32_e32 v32, v32
	v_cvt_f16_f32_e32 v33, v33
	;; [unrolled: 1-line block ×4, first 2 shown]
	s_waitcnt lgkmcnt(7)
	v_perm_b32 v38, v90, v38, s19
	v_cvt_f32_f16_e32 v32, v32
	v_cvt_f32_f16_e32 v33, v33
	;; [unrolled: 1-line block ×4, first 2 shown]
	v_cvt_pk_f16_f32 v90, v139, v142
	v_perm_b32 v43, v43, v42, s19
	v_perm_b32 v42, v154, v46, s19
	v_mfma_f32_16x16x16_f16 v[32:35], v[38:39], v[90:91], v[32:35]
	v_cvt_f32_f16_e32 v36, v37
	v_cvt_f32_f16_sdwa v37, v37 dst_sel:DWORD dst_unused:UNUSED_PAD src0_sel:WORD_1
	v_cvt_f32_f16_e32 v38, v189
	v_cvt_f32_f16_sdwa v39, v189 dst_sel:DWORD dst_unused:UNUSED_PAD src0_sel:WORD_1
	v_pk_mul_f16 v41, v41, v146
	v_pk_mul_f16 v46, v40, v146
	v_mfma_f32_16x16x16_f16 v[36:39], v[42:43], v[88:89], v[36:39]
	v_perm_b32 v43, v168, v161, s19
	s_waitcnt lgkmcnt(6)
	v_perm_b32 v42, v182, v175, s19
	v_perm_b32 v45, v45, v44, s19
	;; [unrolled: 1-line block ×3, first 2 shown]
	s_nop 2
	v_cvt_f16_f32_e32 v36, v36
	v_cvt_f16_f32_e32 v37, v37
	;; [unrolled: 1-line block ×4, first 2 shown]
	v_cvt_f32_f16_e32 v36, v36
	v_cvt_f32_f16_e32 v37, v37
	;; [unrolled: 1-line block ×5, first 2 shown]
	v_cvt_f32_f16_sdwa v41, v41 dst_sel:DWORD dst_unused:UNUSED_PAD src0_sel:WORD_1
	v_mfma_f32_16x16x16_f16 v[36:39], v[42:43], v[90:91], v[36:39]
	v_cvt_f32_f16_e32 v42, v46
	v_cvt_f32_f16_sdwa v43, v46 dst_sel:DWORD dst_unused:UNUSED_PAD src0_sel:WORD_1
	v_pk_mul_f16 v46, v51, v146
	v_pk_mul_f16 v148, v50, v146
	v_mfma_f32_16x16x16_f16 v[40:43], v[44:45], v[88:89], v[40:43]
	v_perm_b32 v45, v169, v162, s19
	s_waitcnt lgkmcnt(5)
	v_perm_b32 v44, v183, v176, s19
	v_perm_b32 v51, v55, v47, s19
	;; [unrolled: 1-line block ×3, first 2 shown]
	s_nop 2
	v_cvt_f16_f32_e32 v40, v40
	v_cvt_f16_f32_e32 v41, v41
	v_cvt_f16_f32_e32 v42, v42
	v_cvt_f16_f32_e32 v43, v43
	v_cvt_f32_f16_e32 v40, v40
	v_cvt_f32_f16_e32 v41, v41
	;; [unrolled: 1-line block ×4, first 2 shown]
	v_cvt_f32_f16_sdwa v47, v148 dst_sel:DWORD dst_unused:UNUSED_PAD src0_sel:WORD_1
	v_pk_mul_f16 v49, v49, v146
	v_mfma_f32_16x16x16_f16 v[40:43], v[44:45], v[90:91], v[40:43]
	v_cvt_f32_f16_e32 v44, v46
	v_cvt_f32_f16_sdwa v45, v46 dst_sel:DWORD dst_unused:UNUSED_PAD src0_sel:WORD_1
	v_cvt_f32_f16_e32 v46, v148
	v_pk_mul_f16 v148, v48, v146
	v_perm_b32 v55, v59, v54, s19
	v_mfma_f32_16x16x16_f16 v[44:47], v[50:51], v[88:89], v[44:47]
	v_perm_b32 v51, v170, v163, s19
	s_waitcnt lgkmcnt(4)
	v_perm_b32 v50, v184, v177, s19
	v_perm_b32 v54, v157, v150, s19
	v_cvt_f32_f16_e32 v48, v49
	s_nop 2
	v_cvt_f16_f32_e32 v44, v44
	v_cvt_f16_f32_e32 v45, v45
	v_cvt_f16_f32_e32 v46, v46
	v_cvt_f16_f32_e32 v47, v47
	v_cvt_f32_f16_e32 v44, v44
	v_cvt_f32_f16_e32 v45, v45
	v_cvt_f32_f16_e32 v46, v46
	v_cvt_f32_f16_e32 v47, v47
	v_cvt_f32_f16_sdwa v49, v49 dst_sel:DWORD dst_unused:UNUSED_PAD src0_sel:WORD_1
	v_pk_mul_f16 v53, v53, v146
	v_mfma_f32_16x16x16_f16 v[44:47], v[50:51], v[90:91], v[44:47]
	v_cvt_f32_f16_e32 v50, v148
	v_cvt_f32_f16_sdwa v51, v148 dst_sel:DWORD dst_unused:UNUSED_PAD src0_sel:WORD_1
	v_pk_mul_f16 v148, v52, v146
	v_perm_b32 v59, v63, v58, s19
	v_mfma_f32_16x16x16_f16 v[48:51], v[54:55], v[88:89], v[48:51]
	v_perm_b32 v55, v171, v164, s19
	s_waitcnt lgkmcnt(3)
	v_perm_b32 v54, v185, v178, s19
	v_perm_b32 v58, v158, v151, s19
	v_cvt_f32_f16_e32 v52, v53
	s_nop 2
	v_cvt_f16_f32_e32 v48, v48
	v_cvt_f16_f32_e32 v49, v49
	v_cvt_f16_f32_e32 v50, v50
	v_cvt_f16_f32_e32 v51, v51
	v_cvt_f32_f16_e32 v48, v48
	v_cvt_f32_f16_e32 v49, v49
	v_cvt_f32_f16_e32 v50, v50
	v_cvt_f32_f16_e32 v51, v51
	v_cvt_f32_f16_sdwa v53, v53 dst_sel:DWORD dst_unused:UNUSED_PAD src0_sel:WORD_1
	v_pk_mul_f16 v57, v57, v146
	v_mfma_f32_16x16x16_f16 v[48:51], v[54:55], v[90:91], v[48:51]
	v_cvt_f32_f16_e32 v54, v148
	v_cvt_f32_f16_sdwa v55, v148 dst_sel:DWORD dst_unused:UNUSED_PAD src0_sel:WORD_1
	;; [unrolled: 22-line block ×4, first 2 shown]
	v_pk_mul_f16 v147, v64, v146
	v_cvt_f32_f16_e32 v64, v65
	v_mfma_f32_16x16x16_f16 v[60:63], v[66:67], v[88:89], v[60:63]
	v_perm_b32 v67, v174, v167, s19
	s_waitcnt lgkmcnt(0)
	v_perm_b32 v66, v188, v181, s19
	v_cvt_f32_f16_sdwa v65, v65 dst_sel:DWORD dst_unused:UNUSED_PAD src0_sel:WORD_1
	v_pk_mul_f16 v111, v111, v146
	s_nop 2
	v_cvt_f16_f32_e32 v60, v60
	v_cvt_f16_f32_e32 v61, v61
	;; [unrolled: 1-line block ×4, first 2 shown]
	v_cvt_f32_f16_e32 v60, v60
	v_cvt_f32_f16_e32 v61, v61
	;; [unrolled: 1-line block ×4, first 2 shown]
	v_pk_mul_f16 v109, v109, v146
	v_pk_mul_f16 v107, v107, v146
	v_mfma_f32_16x16x16_f16 v[60:63], v[66:67], v[90:91], v[60:63]
	ds_read_u16 v67, v131 offset:1312
	ds_read_u16 v152, v131 offset:1344
	;; [unrolled: 1-line block ×16, first 2 shown]
	s_waitcnt lgkmcnt(7)
	v_perm_b32 v149, v148, v67, s19
	ds_read_u16 v67, v131 offset:256
	ds_read_u16 v154, v131 offset:288
	;; [unrolled: 1-line block ×16, first 2 shown]
	s_waitcnt lgkmcnt(7)
	v_perm_b32 v148, v148, v67, s19
	v_cvt_f32_f16_e32 v66, v147
	v_cvt_f32_f16_sdwa v67, v147 dst_sel:DWORD dst_unused:UNUSED_PAD src0_sel:WORD_1
	v_pk_mul_f16 v105, v105, v146
	v_pk_mul_f16 v103, v103, v146
	v_mfma_f32_16x16x16_f16 v[64:67], v[148:149], v[88:89], v[64:67]
	ds_read_u16 v147, v131 offset:18208
	ds_read_u16 v180, v131 offset:18240
	;; [unrolled: 1-line block ×16, first 2 shown]
	s_waitcnt lgkmcnt(7)
	v_perm_b32 v149, v148, v147, s19
	ds_read_u16 v147, v131 offset:17152
	ds_read_u16 v194, v131 offset:17184
	;; [unrolled: 1-line block ×16, first 2 shown]
	v_cvt_f16_f32_e32 v64, v64
	v_cvt_f16_f32_e32 v65, v65
	;; [unrolled: 1-line block ×4, first 2 shown]
	s_waitcnt lgkmcnt(7)
	v_perm_b32 v148, v148, v147, s19
	v_cvt_f32_f16_e32 v64, v64
	v_cvt_f32_f16_e32 v65, v65
	;; [unrolled: 1-line block ×4, first 2 shown]
	v_pk_mul_f16 v147, v110, v146
	v_perm_b32 v110, v155, v154, s19
	v_mfma_f32_16x16x16_f16 v[148:151], v[148:149], v[90:91], v[64:67]
	v_pk_mul_f16 v100, v100, v146
	v_pk_mul_f16 v99, v99, v146
	s_nop 0
	v_cvt_f32_f16_e32 v64, v111
	v_cvt_f32_f16_sdwa v65, v111 dst_sel:DWORD dst_unused:UNUSED_PAD src0_sel:WORD_1
	v_perm_b32 v111, v153, v152, s19
	v_cvt_f32_f16_e32 v66, v147
	v_cvt_f32_f16_sdwa v67, v147 dst_sel:DWORD dst_unused:UNUSED_PAD src0_sel:WORD_1
	v_pk_mul_f16 v147, v108, v146
	v_perm_b32 v108, v174, v166, s19
	v_mfma_f32_16x16x16_f16 v[64:67], v[110:111], v[88:89], v[64:67]
	v_perm_b32 v111, v187, v180, s19
	s_waitcnt lgkmcnt(6)
	v_perm_b32 v110, v201, v194, s19
	v_pk_mul_f16 v98, v98, v146
	v_pk_mul_f16 v97, v97, v146
	s_nop 2
	v_cvt_f16_f32_e32 v64, v64
	v_cvt_f16_f32_e32 v65, v65
	;; [unrolled: 1-line block ×4, first 2 shown]
	v_cvt_f32_f16_e32 v64, v64
	v_cvt_f32_f16_e32 v65, v65
	;; [unrolled: 1-line block ×4, first 2 shown]
	v_cmp_lt_i32_e32 vcc, s14, v120
	v_cvt_pk_f16_f32 v61, v60, v61
	v_mfma_f32_16x16x16_f16 v[152:155], v[110:111], v[90:91], v[64:67]
	v_cvt_pk_f16_f32 v60, v62, v63
	v_cvt_pk_f16_f32 v57, v56, v57
	s_nop 0
	v_cvt_f32_f16_e32 v64, v109
	v_cvt_f32_f16_sdwa v65, v109 dst_sel:DWORD dst_unused:UNUSED_PAD src0_sel:WORD_1
	v_perm_b32 v109, v158, v156, s19
	v_cvt_f32_f16_e32 v66, v147
	v_cvt_f32_f16_sdwa v67, v147 dst_sel:DWORD dst_unused:UNUSED_PAD src0_sel:WORD_1
	v_pk_mul_f16 v147, v106, v146
	v_perm_b32 v106, v175, v167, s19
	v_mfma_f32_16x16x16_f16 v[64:67], v[108:109], v[88:89], v[64:67]
	v_perm_b32 v109, v188, v181, s19
	s_waitcnt lgkmcnt(5)
	v_perm_b32 v108, v202, v195, s19
	v_cvt_pk_f16_f32 v56, v58, v59
	v_cvt_pk_f16_f32 v53, v52, v53
	s_nop 2
	v_cvt_f16_f32_e32 v64, v64
	v_cvt_f16_f32_e32 v65, v65
	v_cvt_f16_f32_e32 v66, v66
	v_cvt_f16_f32_e32 v67, v67
	v_cvt_f32_f16_e32 v64, v64
	v_cvt_f32_f16_e32 v65, v65
	v_cvt_f32_f16_e32 v66, v66
	v_cvt_f32_f16_e32 v67, v67
	v_cvt_pk_f16_f32 v52, v54, v55
	v_cvt_pk_f16_f32 v49, v48, v49
	v_mfma_f32_16x16x16_f16 v[108:111], v[108:109], v[90:91], v[64:67]
	v_cvt_pk_f16_f32 v48, v50, v51
	v_cvt_pk_f16_f32 v51, v44, v45
	s_nop 0
	v_cvt_f32_f16_e32 v64, v107
	v_cvt_f32_f16_sdwa v65, v107 dst_sel:DWORD dst_unused:UNUSED_PAD src0_sel:WORD_1
	v_perm_b32 v107, v159, v157, s19
	v_cvt_f32_f16_e32 v66, v147
	v_cvt_f32_f16_sdwa v67, v147 dst_sel:DWORD dst_unused:UNUSED_PAD src0_sel:WORD_1
	v_pk_mul_f16 v147, v104, v146
	v_perm_b32 v104, v176, v170, s19
	v_mfma_f32_16x16x16_f16 v[64:67], v[106:107], v[88:89], v[64:67]
	v_perm_b32 v107, v189, v182, s19
	s_waitcnt lgkmcnt(4)
	v_perm_b32 v106, v203, v196, s19
	v_cvt_pk_f16_f32 v109, v108, v109
	v_cvt_pk_f16_f32 v108, v110, v111
	s_nop 2
	v_cvt_f16_f32_e32 v64, v64
	v_cvt_f16_f32_e32 v65, v65
	v_cvt_f16_f32_e32 v66, v66
	v_cvt_f16_f32_e32 v67, v67
	v_cvt_f32_f16_e32 v64, v64
	v_cvt_f32_f16_e32 v65, v65
	v_cvt_f32_f16_e32 v66, v66
	v_cvt_f32_f16_e32 v67, v67
	v_cvt_pk_f16_f32 v111, v152, v153
	;; [unrolled: 28-line block ×3, first 2 shown]
	v_cvt_pk_f16_f32 v38, v32, v33
	v_mfma_f32_16x16x16_f16 v[104:107], v[104:105], v[90:91], v[64:67]
	v_cvt_pk_f16_f32 v34, v34, v35
	s_and_b64 vcc, exec, vcc
	s_nop 0
	v_cvt_f32_f16_e32 v64, v103
	v_cvt_f32_f16_sdwa v65, v103 dst_sel:DWORD dst_unused:UNUSED_PAD src0_sel:WORD_1
	v_perm_b32 v103, v163, v161, s19
	v_cvt_f32_f16_e32 v66, v147
	v_cvt_f32_f16_sdwa v67, v147 dst_sel:DWORD dst_unused:UNUSED_PAD src0_sel:WORD_1
	v_cvt_pk_f16_f32 v105, v104, v105
	v_cvt_pk_f16_f32 v104, v106, v107
	v_mfma_f32_16x16x16_f16 v[64:67], v[102:103], v[88:89], v[64:67]
	v_perm_b32 v103, v191, v184, s19
	s_waitcnt lgkmcnt(2)
	v_perm_b32 v102, v205, v198, s19
	v_cvt_pk_f16_f32 v107, v156, v157
	v_cvt_pk_f16_f32 v106, v158, v159
	s_nop 2
	v_cvt_f16_f32_e32 v64, v64
	v_cvt_f16_f32_e32 v65, v65
	;; [unrolled: 1-line block ×4, first 2 shown]
	v_cvt_f32_f16_e32 v64, v64
	v_cvt_f32_f16_e32 v65, v65
	;; [unrolled: 1-line block ×4, first 2 shown]
	s_waitcnt lgkmcnt(0)
	s_barrier
	v_mfma_f32_16x16x16_f16 v[160:163], v[102:103], v[90:91], v[64:67]
	v_perm_b32 v103, v165, v164, s19
	v_perm_b32 v102, v178, v172, s19
	s_nop 0
	v_cvt_f32_f16_e32 v64, v100
	v_cvt_f32_f16_sdwa v65, v100 dst_sel:DWORD dst_unused:UNUSED_PAD src0_sel:WORD_1
	v_cvt_f32_f16_e32 v66, v99
	v_cvt_f32_f16_sdwa v67, v99 dst_sel:DWORD dst_unused:UNUSED_PAD src0_sel:WORD_1
	v_add_f32_e32 v99, v140, v141
	v_add_f32_e32 v100, v138, v99
	v_mfma_f32_16x16x16_f16 v[64:67], v[102:103], v[88:89], v[64:67]
	v_perm_b32 v103, v192, v185, s19
	v_perm_b32 v102, v206, v199, s19
	;; [unrolled: 1-line block ×3, first 2 shown]
	s_nop 4
	v_cvt_f16_f32_e32 v64, v64
	v_cvt_f16_f32_e32 v65, v65
	;; [unrolled: 1-line block ×4, first 2 shown]
	v_cvt_f32_f16_e32 v64, v64
	v_cvt_f32_f16_e32 v65, v65
	;; [unrolled: 1-line block ×4, first 2 shown]
	s_nop 1
	v_mfma_f32_16x16x16_f16 v[164:167], v[102:103], v[90:91], v[64:67]
	v_cvt_pk_f16_f32 v103, v160, v161
	v_cvt_pk_f16_f32 v102, v162, v163
	s_nop 0
	v_cvt_f32_f16_e32 v64, v98
	v_cvt_f32_f16_sdwa v65, v98 dst_sel:DWORD dst_unused:UNUSED_PAD src0_sel:WORD_1
	v_perm_b32 v98, v179, v173, s19
	v_cvt_f32_f16_e32 v66, v97
	v_cvt_f32_f16_sdwa v67, v97 dst_sel:DWORD dst_unused:UNUSED_PAD src0_sel:WORD_1
	v_add_f32_e32 v97, v137, v100
	v_add_f32_e32 v97, v139, v97
	v_mfma_f32_16x16x16_f16 v[64:67], v[98:99], v[88:89], v[64:67]
	v_add_f32_e32 v97, v142, v97
	v_cvt_pk_f16_f32 v100, v164, v165
	v_cvt_pk_f16_f32 v99, v166, v167
	s_nop 4
	v_cvt_f16_f32_e32 v64, v64
	v_cvt_f16_f32_e32 v65, v65
	;; [unrolled: 1-line block ×4, first 2 shown]
	v_cvt_f32_f16_e32 v138, v64
	v_cvt_f32_f16_e32 v139, v65
	v_perm_b32 v65, v193, v186, s19
	v_perm_b32 v64, v207, v200, s19
	v_cvt_f32_f16_e32 v140, v66
	v_cvt_f32_f16_e32 v141, v67
	v_add_f32_e32 v66, v143, v97
	v_add_f32_e32 v66, v145, v66
	v_mfma_f32_16x16x16_f16 v[88:91], v[64:65], v[90:91], v[138:141]
	v_fmac_f32_e32 v66, v136, v144
	v_cvt_pk_f16_f32 v65, v148, v149
	v_cvt_pk_f16_f32 v64, v150, v151
	s_nop 4
	v_cvt_pk_f16_f32 v98, v88, v89
	v_cvt_pk_f16_f32 v97, v90, v91
	s_cbranch_vccz .LBB31_474
; %bb.470:                              ;   in Loop: Header=BB31_469 Depth=1
	v_mov_b32_e32 v136, v66
	v_mov_b32_e32 v32, v119
	s_ashr_i32 s7, s6, 31
	s_and_saveexec_b64 s[8:9], s[0:1]
	s_cbranch_execnz .LBB31_468
	s_branch .LBB31_469
.LBB31_471:
                                        ; implicit-def: $sgpr68_sgpr69
	s_load_dwordx2 s[66:67], s[0:1], 0x74
	v_cvt_f32_u32_e32 v1, s25
	s_branch .LBB31_2
.LBB31_472:
                                        ; implicit-def: $sgpr72_sgpr73
	s_load_dwordx2 s[34:35], s[0:1], 0x5c
	s_branch .LBB31_5
.LBB31_473:
	v_mov_b32_e32 v119, 0xfeffffff
	v_mov_b32_e32 v66, 0
	;; [unrolled: 1-line block ×34, first 2 shown]
.LBB31_474:
	s_lshl_b32 s0, s14, 6
	s_ashr_i32 s1, s0, 31
	v_cmp_gt_u32_e32 vcc, 8, v118
	s_and_saveexec_b64 s[6:7], vcc
	s_cbranch_execz .LBB31_476
; %bb.475:
	v_or_b32_e32 v32, s11, v118
	v_mul_hi_u32 v33, s34, v32
	v_add_u32_e32 v33, v32, v33
	v_lshrrev_b32_e32 v33, s35, v33
	s_lshl_b64 s[8:9], s[0:1], 1
	v_mul_lo_u32 v33, v33, s28
	s_add_u32 s4, s4, s8
	v_sub_u32_e32 v33, v32, v33
	s_addc_u32 s5, s5, s9
	v_lshlrev_b32_e32 v32, 2, v92
	v_mad_i64_i32 v[42:43], s[8:9], v33, s58, 0
	v_and_b32_e32 v32, 0x7c, v32
	v_lshl_add_u64 v[42:43], v[42:43], 1, s[4:5]
	v_mov_b32_e32 v33, 0
	v_lshl_add_u64 v[42:43], v[42:43], 0, v[32:33]
	global_load_dword v33, v[42:43], off
	v_mul_u32_u24_e32 v35, 0x90, v118
	v_add3_u32 v32, 0, v35, v32
	s_waitcnt vmcnt(0)
	ds_write_b32 v32, v33 offset:33792
.LBB31_476:
	s_or_b64 exec, exec, s[6:7]
	s_mul_hi_i32 s5, s0, s56
	s_mul_i32 s4, s0, s56
	s_lshl_b64 s[4:5], s[4:5], 2
	s_add_u32 s4, s12, s4
	s_addc_u32 s5, s13, s5
	v_lshlrev_b32_e32 v32, 4, v92
	v_and_b32_e32 v32, 0x1f0, v32
	v_lshl_add_u64 v[42:43], v[70:71], 2, s[4:5]
	v_mov_b32_e32 v33, 0
	s_lshl_b32 s1, s56, 4
	v_lshl_add_u64 v[46:47], v[42:43], 0, v[32:33]
	v_add_u32_e32 v42, s1, v70
	v_ashrrev_i32_e32 v43, 31, v42
	v_lshl_add_u64 v[44:45], v[42:43], 2, s[4:5]
	v_add_u32_e32 v42, s1, v42
	v_ashrrev_i32_e32 v43, 31, v42
	v_lshl_add_u64 v[54:55], v[44:45], 0, v[32:33]
	v_lshl_add_u64 v[44:45], v[42:43], 2, s[4:5]
	v_add_u32_e32 v42, s1, v42
	v_ashrrev_i32_e32 v43, 31, v42
	v_lshl_add_u64 v[42:43], v[42:43], 2, s[4:5]
	v_lshl_add_u64 v[58:59], v[44:45], 0, v[32:33]
	;; [unrolled: 1-line block ×3, first 2 shown]
	global_load_dwordx4 v[42:45], v[46:47], off
	global_load_dwordx4 v[70:73], v[54:55], off
	;; [unrolled: 1-line block ×4, first 2 shown]
	v_and_b32_e32 v46, 16, v101
	v_mul_u32_u24_e32 v35, 0x210, v118
	v_add_u32_e32 v47, 0, v117
	v_mul_u32_u24_e32 v54, 0x210, v46
	v_add3_u32 v39, 0, v35, v32
	v_add3_u32 v35, v47, v96, v54
	v_add_u32_e32 v47, 0x4000, v35
	v_and_b32_e32 v54, 0xfc, v114
	s_movk_i32 s1, 0x90
	v_mbcnt_hi_u32_b32 v55, -1, v115
	s_mov_b32 s4, 0x8400
	s_mov_b32 s5, 0x3fb8aa3b
	s_mul_hi_i32 s7, s0, s30
	s_mul_i32 s6, s0, s30
	s_lshl_b64 s[6:7], s[6:7], 2
	s_add_u32 s6, s3, s6
	s_addc_u32 s7, s10, s7
	s_lshl_b32 s0, s30, 4
	s_waitcnt vmcnt(3)
	ds_write_b128 v39, v[42:45]
	s_waitcnt vmcnt(2)
	ds_write_b128 v39, v[70:73] offset:8448
	s_waitcnt vmcnt(1)
	ds_write_b128 v39, v[74:77] offset:16896
	s_waitcnt vmcnt(0)
	ds_write_b128 v39, v[78:81] offset:25344
	s_waitcnt lgkmcnt(0)
	s_barrier
	ds_read2_b64 v[42:45], v35 offset1:4
	ds_read2_b64 v[74:77], v47 offset0:64 offset1:68
	s_waitcnt lgkmcnt(1)
	v_mfma_f32_16x16x16_f16 v[70:73], v[42:43], v[28:29], 0
	s_waitcnt lgkmcnt(0)
	v_mfma_f32_16x16x16_f16 v[78:81], v[74:75], v[28:29], 0
	v_mfma_f32_16x16x16_f16 v[42:45], v[44:45], v[30:31], v[70:73]
	;; [unrolled: 1-line block ×3, first 2 shown]
	s_nop 3
	ds_read2_b64 v[70:73], v35 offset0:8 offset1:12
	ds_read2_b64 v[74:77], v47 offset0:72 offset1:76
	s_waitcnt lgkmcnt(1)
	v_mfma_f32_16x16x16_f16 v[42:45], v[70:71], v[24:25], v[42:45]
	s_waitcnt lgkmcnt(0)
	v_mfma_f32_16x16x16_f16 v[28:31], v[74:75], v[24:25], v[28:31]
	v_mfma_f32_16x16x16_f16 v[42:45], v[72:73], v[26:27], v[42:45]
	ds_read2_b64 v[70:73], v47 offset0:80 offset1:84
	v_mfma_f32_16x16x16_f16 v[24:27], v[76:77], v[26:27], v[28:31]
	s_nop 4
	ds_read2_b64 v[28:31], v35 offset0:16 offset1:20
	s_waitcnt lgkmcnt(0)
	v_mfma_f32_16x16x16_f16 v[42:45], v[28:29], v[20:21], v[42:45]
	v_mfma_f32_16x16x16_f16 v[24:27], v[70:71], v[20:21], v[24:27]
	;; [unrolled: 1-line block ×4, first 2 shown]
	s_nop 4
	ds_read2_b64 v[42:45], v47 offset0:88 offset1:92
	ds_read2_b64 v[24:27], v35 offset0:24 offset1:28
	s_waitcnt lgkmcnt(0)
	v_mfma_f32_16x16x16_f16 v[28:31], v[24:25], v[16:17], v[28:31]
	v_mfma_f32_16x16x16_f16 v[20:23], v[42:43], v[16:17], v[20:23]
	v_mfma_f32_16x16x16_f16 v[24:27], v[26:27], v[18:19], v[28:31]
	v_mfma_f32_16x16x16_f16 v[16:19], v[44:45], v[18:19], v[20:23]
	s_nop 4
	ds_read2_b64 v[28:31], v47 offset0:96 offset1:100
	ds_read2_b64 v[20:23], v35 offset0:32 offset1:36
	s_waitcnt lgkmcnt(0)
	v_mfma_f32_16x16x16_f16 v[24:27], v[20:21], v[12:13], v[24:27]
	v_mfma_f32_16x16x16_f16 v[16:19], v[28:29], v[12:13], v[16:19]
	v_lshrrev_b32_e32 v28, 3, v116
	v_add_u32_e32 v29, v54, v46
	v_mad_u32_u24 v28, v28, s1, 0
	v_mfma_f32_16x16x16_f16 v[20:23], v[22:23], v[14:15], v[24:27]
	s_nop 2
	ds_read2_b64 v[24:27], v35 offset0:40 offset1:44
	ds_read2_b64 v[42:45], v47 offset0:104 offset1:108
	v_lshl_add_u32 v29, v29, 1, v28
	s_mov_b32 s1, 0xc2ce8ed0
	v_mfma_f32_16x16x16_f16 v[12:15], v[30:31], v[14:15], v[16:19]
	v_add_u16_e32 v30, v54, v46
	v_lshrrev_b16_e32 v30, 1, v30
	v_and_b32_e32 v31, 64, v55
	s_waitcnt lgkmcnt(1)
	v_mfma_f32_16x16x16_f16 v[16:19], v[24:25], v[8:9], v[20:23]
	s_nop 2
	ds_read2_b64 v[20:23], v35 offset0:48 offset1:52
	v_mfma_f32_16x16x16_f16 v[16:19], v[26:27], v[10:11], v[16:19]
	ds_read2_b64 v[24:27], v47 offset0:112 offset1:116
	s_waitcnt lgkmcnt(2)
	v_mfma_f32_16x16x16_f16 v[12:15], v[42:43], v[8:9], v[12:15]
	v_add_u32_e32 v43, 64, v31
	v_xor_b32_e32 v42, 32, v55
	v_cmp_lt_i32_e32 vcc, v42, v43
	v_mfma_f32_16x16x16_f16 v[8:11], v[44:45], v[10:11], v[12:15]
	v_add_u32_e32 v44, 0x8400, v29
	s_waitcnt lgkmcnt(1)
	v_mfma_f32_16x16x16_f16 v[12:15], v[20:21], v[4:5], v[16:19]
	s_waitcnt lgkmcnt(0)
	v_mfma_f32_16x16x16_f16 v[8:11], v[24:25], v[4:5], v[8:11]
	s_nop 0
	v_lshlrev_b32_e32 v16, 2, v30
	v_add3_u32 v20, v28, v16, s4
	ds_read2_b64 v[16:19], v35 offset0:56 offset1:60
	ds_read2_b64 v[28:31], v47 offset0:120 offset1:124
	v_mfma_f32_16x16x16_f16 v[12:15], v[22:23], v[6:7], v[12:15]
	s_waitcnt lgkmcnt(0)
	s_barrier
	v_mfma_f32_16x16x16_f16 v[4:7], v[26:27], v[6:7], v[8:11]
	ds_read2_b32 v[20:21], v20 offset1:1
	s_mov_b32 s4, 0x42b17218
	s_nop 0
	v_cndmask_b32_e32 v8, v55, v42, vcc
	v_lshlrev_b32_e32 v70, 2, v8
	v_mfma_f32_16x16x16_f16 v[8:11], v[16:17], v[0:1], v[12:15]
	s_waitcnt lgkmcnt(0)
	v_cvt_f32_f16_e32 v16, v21
	v_cvt_f32_f16_sdwa v17, v21 dst_sel:DWORD dst_unused:UNUSED_PAD src0_sel:WORD_1
	ds_read2_b32 v[12:13], v44 offset0:16 offset1:17
	v_mfma_f32_16x16x16_f16 v[4:7], v[28:29], v[0:1], v[4:7]
	v_cvt_f32_f16_e32 v14, v20
	v_cvt_f32_f16_sdwa v15, v20 dst_sel:DWORD dst_unused:UNUSED_PAD src0_sel:WORD_1
	v_mov_b32_e32 v29, 0x7f800000
	v_mfma_f32_16x16x16_f16 v[8:11], v[18:19], v[2:3], v[8:11]
	s_waitcnt lgkmcnt(0)
	v_cvt_f32_f16_e32 v20, v12
	v_cvt_f32_f16_sdwa v12, v12 dst_sel:DWORD dst_unused:UNUSED_PAD src0_sel:WORD_1
	v_cvt_f32_f16_e32 v18, v13
	v_mfma_f32_16x16x16_f16 v[0:3], v[30:31], v[2:3], v[4:7]
	v_cvt_f32_f16_sdwa v13, v13 dst_sel:DWORD dst_unused:UNUSED_PAD src0_sel:WORD_1
	s_nop 1
	v_add_f32_e32 v4, v8, v14
	v_add_f32_e32 v5, v9, v15
	;; [unrolled: 1-line block ×4, first 2 shown]
	s_nop 0
	v_add_f32_e32 v26, v1, v12
	v_add_f32_e32 v27, v2, v18
	v_add_f32_e32 v1, 0x40051340, v4
	v_add_f32_e32 v2, 0x40051340, v5
	v_add_f32_e32 v0, v0, v20
	v_add_f32_e32 v28, v3, v13
	v_add_f32_e32 v3, 0x40051340, v6
	v_add_f32_e32 v8, 0x40051340, v7
	v_max3_f32 v1, v119, v1, v2
	v_add_f32_e32 v9, 0x40051340, v0
	v_add_f32_e32 v10, 0x40051340, v26
	v_max3_f32 v1, v1, v3, v8
	v_add_f32_e32 v11, 0x40051340, v27
	v_add_f32_e32 v12, 0x40051340, v28
	v_max3_f32 v1, v1, v9, v10
	v_max3_f32 v1, v1, v11, v12
	ds_bpermute_b32 v2, v70, v1
	v_xor_b32_e32 v3, 16, v55
	v_cmp_lt_i32_e32 vcc, v3, v43
	s_waitcnt lgkmcnt(0)
	v_max_f32_e32 v2, v2, v2
	v_cndmask_b32_e32 v3, v55, v3, vcc
	v_lshlrev_b32_e32 v67, 2, v3
	v_max_f32_e32 v1, v1, v2
	ds_bpermute_b32 v2, v67, v1
	s_waitcnt lgkmcnt(0)
	v_max_f32_e32 v2, v2, v2
	v_max_f32_e32 v71, v1, v2
	v_sub_f32_e32 v1, v4, v71
	v_sub_f32_e32 v2, v5, v71
	v_mul_f32_e32 v4, 0x3fb8aa3b, v1
	v_sub_f32_e32 v30, v7, v71
	v_mul_f32_e32 v5, 0x3fb8aa3b, v2
	v_fma_f32 v7, v1, s5, -v4
	v_rndne_f32_e32 v8, v4
	v_fma_f32 v9, v2, s5, -v5
	v_rndne_f32_e32 v10, v5
	v_fmac_f32_e32 v7, 0x32a5705f, v1
	v_sub_f32_e32 v4, v4, v8
	v_fmac_f32_e32 v9, 0x32a5705f, v2
	v_sub_f32_e32 v5, v5, v10
	v_add_f32_e32 v4, v4, v7
	v_cvt_i32_f32_e32 v8, v8
	v_add_f32_e32 v5, v5, v9
	v_exp_f32_e32 v4, v4
	v_cvt_i32_f32_e32 v10, v10
	v_exp_f32_e32 v5, v5
	v_cmp_ngt_f32_e32 vcc, s1, v1
	v_ldexp_f32 v4, v4, v8
	v_mul_f32_e32 v7, 0x3fb8aa3b, v30
	v_ldexp_f32 v5, v5, v10
	v_cndmask_b32_e32 v4, 0, v4, vcc
	v_cmp_ngt_f32_e32 vcc, s1, v2
	v_sub_f32_e32 v3, v6, v71
	v_mul_f32_e32 v6, 0x3fb8aa3b, v3
	v_cndmask_b32_e32 v5, 0, v5, vcc
	v_cmp_nlt_f32_e32 vcc, s4, v1
	v_fma_f32 v1, v30, s5, -v7
	v_fmac_f32_e32 v1, 0x32a5705f, v30
	v_cndmask_b32_e32 v24, v29, v4, vcc
	v_cmp_nlt_f32_e32 vcc, s4, v2
	v_rndne_f32_e32 v2, v7
	v_sub_f32_e32 v4, v7, v2
	v_add_f32_e32 v1, v4, v1
	v_exp_f32_e32 v1, v1
	v_cvt_i32_f32_e32 v2, v2
	v_fma_f32 v11, v3, s5, -v6
	v_rndne_f32_e32 v12, v6
	v_sub_f32_e32 v42, v0, v71
	v_fmac_f32_e32 v11, 0x32a5705f, v3
	v_sub_f32_e32 v6, v6, v12
	v_mul_f32_e32 v0, 0x3fb8aa3b, v42
	v_add_f32_e32 v6, v6, v11
	v_ldexp_f32 v31, v1, v2
	v_fma_f32 v1, v42, s5, -v0
	v_rndne_f32_e32 v43, v0
	v_cvt_i32_f32_e32 v12, v12
	v_exp_f32_e32 v6, v6
	v_fmac_f32_e32 v1, 0x32a5705f, v42
	v_sub_f32_e32 v0, v0, v43
	v_add_f32_e32 v0, v0, v1
	v_exp_f32_e32 v44, v0
	v_lshl_add_u64 v[0:1], v[68:69], 2, s[6:7]
	v_lshl_add_u64 v[16:17], v[0:1], 0, v[32:33]
	v_add_u32_e32 v0, s0, v68
	v_ldexp_f32 v6, v6, v12
	v_cndmask_b32_e32 v25, v29, v5, vcc
	v_cmp_ngt_f32_e32 vcc, s1, v3
	v_ashrrev_i32_e32 v1, 31, v0
	s_nop 0
	v_cndmask_b32_e32 v4, 0, v6, vcc
	v_cmp_nlt_f32_e32 vcc, s4, v3
	v_lshl_add_u64 v[2:3], v[0:1], 2, s[6:7]
	v_add_u32_e32 v0, s0, v0
	v_ashrrev_i32_e32 v1, 31, v0
	v_lshl_add_u64 v[18:19], v[2:3], 0, v[32:33]
	v_lshl_add_u64 v[2:3], v[0:1], 2, s[6:7]
	v_add_u32_e32 v0, s0, v0
	v_ashrrev_i32_e32 v1, 31, v0
	v_lshl_add_u64 v[0:1], v[0:1], 2, s[6:7]
	v_cndmask_b32_e32 v35, v29, v4, vcc
	v_lshl_add_u64 v[20:21], v[2:3], 0, v[32:33]
	v_lshl_add_u64 v[22:23], v[0:1], 0, v[32:33]
	global_load_dwordx4 v[0:3], v[16:17], off
	global_load_dwordx4 v[4:7], v[18:19], off
	;; [unrolled: 1-line block ×4, first 2 shown]
	v_cmp_ngt_f32_e32 vcc, s1, v30
	v_cvt_i32_f32_e32 v16, v43
	s_mov_b32 s0, 0xc1a00000
	v_cndmask_b32_e32 v17, 0, v31, vcc
	v_cmp_nlt_f32_e32 vcc, s4, v30
	v_ldexp_f32 v16, v44, v16
	s_waitcnt vmcnt(3)
	ds_write_b128 v39, v[0:3]
	s_waitcnt vmcnt(2)
	ds_write_b128 v39, v[4:7] offset:8448
	s_waitcnt vmcnt(1)
	ds_write_b128 v39, v[8:11] offset:16896
	;; [unrolled: 2-line block ×3, first 2 shown]
	v_cndmask_b32_e32 v32, v29, v17, vcc
	v_sub_f32_e32 v17, v26, v71
	v_mul_f32_e32 v18, 0x3fb8aa3b, v17
	v_fma_f32 v19, v17, s5, -v18
	v_rndne_f32_e32 v20, v18
	v_fmac_f32_e32 v19, 0x32a5705f, v17
	v_sub_f32_e32 v18, v18, v20
	v_add_f32_e32 v18, v18, v19
	v_exp_f32_e32 v18, v18
	v_cvt_i32_f32_e32 v19, v20
	v_cmp_ngt_f32_e32 vcc, s1, v42
	s_waitcnt lgkmcnt(0)
	s_barrier
	v_cndmask_b32_e32 v16, 0, v16, vcc
	v_cmp_nlt_f32_e32 vcc, s4, v42
	v_cvt_pk_f16_f32 v45, v35, v32
	s_nop 0
	v_cndmask_b32_e32 v33, v29, v16, vcc
	v_ldexp_f32 v16, v18, v19
	v_sub_f32_e32 v18, v27, v71
	v_mul_f32_e32 v19, 0x3fb8aa3b, v18
	v_fma_f32 v20, v18, s5, -v19
	v_rndne_f32_e32 v21, v19
	v_fmac_f32_e32 v20, 0x32a5705f, v18
	v_sub_f32_e32 v19, v19, v21
	v_add_f32_e32 v19, v19, v20
	v_exp_f32_e32 v19, v19
	v_cvt_i32_f32_e32 v20, v21
	v_cmp_ngt_f32_e32 vcc, s1, v17
	v_cvt_pk_f16_f32 v44, v24, v25
	s_nop 0
	v_cndmask_b32_e32 v16, 0, v16, vcc
	v_cmp_nlt_f32_e32 vcc, s4, v17
	v_sub_f32_e32 v17, v28, v71
	s_nop 0
	v_cndmask_b32_e32 v68, v29, v16, vcc
	v_ldexp_f32 v16, v19, v20
	v_mul_f32_e32 v19, 0x3fb8aa3b, v17
	v_fma_f32 v20, v17, s5, -v19
	v_rndne_f32_e32 v21, v19
	v_fmac_f32_e32 v20, 0x32a5705f, v17
	v_sub_f32_e32 v19, v19, v21
	v_add_f32_e32 v19, v19, v20
	v_cvt_i32_f32_e32 v20, v21
	v_sub_f32_e32 v21, v119, v71
	v_mul_f32_e32 v22, 0x3fb8aa3b, v21
	v_fma_f32 v23, v21, s5, -v22
	v_rndne_f32_e32 v26, v22
	v_fmac_f32_e32 v23, 0x32a5705f, v21
	v_sub_f32_e32 v22, v22, v26
	v_add_f32_e32 v22, v22, v23
	v_exp_f32_e32 v22, v22
	v_cvt_i32_f32_e32 v23, v26
	v_cmp_ngt_f32_e32 vcc, s1, v18
	v_exp_f32_e32 v19, v19
	v_cvt_pk_f16_f32 v46, v33, v68
	v_cndmask_b32_e32 v16, 0, v16, vcc
	v_cmp_nlt_f32_e32 vcc, s4, v18
	v_ldexp_f32 v18, v22, v23
	s_nop 0
	v_cndmask_b32_e32 v69, v29, v16, vcc
	v_cmp_ngt_f32_e32 vcc, s1, v21
	v_ldexp_f32 v16, v19, v20
	v_or_b32_e32 v19, 3, v114
	v_cndmask_b32_e32 v18, 0, v18, vcc
	v_cmp_nlt_f32_e32 vcc, s4, v21
	v_mul_u32_u24_e32 v19, 0x210, v19
	s_nop 0
	v_cndmask_b32_e32 v18, v29, v18, vcc
	v_cmp_le_f32_e32 vcc, s0, v21
	s_movk_i32 s0, 0x420
	v_mad_u32_u24 v0, v113, s0, 0
	v_cndmask_b32_e32 v72, 0, v18, vcc
	v_cvt_f16_f32_e32 v18, v72
	v_cmp_ngt_f32_e32 vcc, s1, v17
	v_add3_u32 v5, v0, v19, v112
	s_mov_b32 s0, 0x5040100
	v_cndmask_b32_e32 v16, 0, v16, vcc
	v_cmp_nlt_f32_e32 vcc, s4, v17
	v_mul_u32_u24_e32 v74, 0x10001, v18
	v_mul_u32_u24_e32 v18, 0x210, v54
	v_cndmask_b32_e32 v73, v29, v16, vcc
	v_pk_mul_f16 v16, v38, v74
	v_add3_u32 v4, v0, v18, v112
	v_pk_mul_f16 v17, v34, v74
	v_cvt_f32_f16_e32 v0, v16
	v_cvt_f32_f16_sdwa v1, v16 dst_sel:DWORD dst_unused:UNUSED_PAD src0_sel:WORD_1
	ds_read_u16 v3, v4 offset:1056
	ds_read_u16 v8, v4 offset:1088
	;; [unrolled: 1-line block ×8, first 2 shown]
	ds_read_u16 v6, v5
	ds_read_u16 v15, v5 offset:32
	ds_read_u16 v16, v5 offset:64
	;; [unrolled: 1-line block ×7, first 2 shown]
	s_waitcnt lgkmcnt(7)
	v_perm_b32 v7, v6, v3, s0
	ds_read_u16 v3, v4
	ds_read_u16 v28, v4 offset:32
	ds_read_u16 v38, v4 offset:64
	;; [unrolled: 1-line block ×15, first 2 shown]
	s_waitcnt lgkmcnt(7)
	v_perm_b32 v6, v6, v3, s0
	v_cvt_f32_f16_e32 v2, v17
	v_cvt_f32_f16_sdwa v3, v17 dst_sel:DWORD dst_unused:UNUSED_PAD src0_sel:WORD_1
	v_pk_mul_f16 v17, v37, v74
	v_cvt_pk_f16_f32 v47, v69, v73
	v_mfma_f32_16x16x16_f16 v[0:3], v[6:7], v[44:45], v[0:3]
	ds_read_u16 v6, v4 offset:17952
	ds_read_u16 v30, v4 offset:17984
	ds_read_u16 v37, v4 offset:18016
	ds_read_u16 v77, v4 offset:18048
	ds_read_u16 v78, v4 offset:18080
	ds_read_u16 v79, v4 offset:18112
	ds_read_u16 v80, v4 offset:18144
	ds_read_u16 v81, v4 offset:18176
	ds_read_u16 v7, v5 offset:16896
	ds_read_u16 v31, v5 offset:16928
	ds_read_u16 v82, v5 offset:16960
	ds_read_u16 v83, v5 offset:16992
	ds_read_u16 v84, v5 offset:17024
	ds_read_u16 v85, v5 offset:17056
	ds_read_u16 v86, v5 offset:17088
	ds_read_u16 v87, v5 offset:17120
	s_waitcnt lgkmcnt(7)
	v_perm_b32 v7, v7, v6, s0
	ds_read_u16 v6, v4 offset:16896
	ds_read_u16 v88, v4 offset:16928
	ds_read_u16 v89, v4 offset:16960
	ds_read_u16 v90, v4 offset:16992
	ds_read_u16 v91, v4 offset:17024
	ds_read_u16 v112, v4 offset:17056
	ds_read_u16 v113, v4 offset:17088
	ds_read_u16 v114, v4 offset:17120
	ds_read_u16 v20, v4 offset:17424
	ds_read_u16 v115, v4 offset:17456
	ds_read_u16 v116, v4 offset:17488
	ds_read_u16 v117, v4 offset:17520
	ds_read_u16 v118, v4 offset:17552
	ds_read_u16 v119, v4 offset:17584
	ds_read_u16 v120, v4 offset:17616
	ds_read_u16 v122, v4 offset:17648
	v_cvt_f16_f32_e32 v0, v0
	v_cvt_f16_f32_e32 v1, v1
	;; [unrolled: 1-line block ×4, first 2 shown]
	s_waitcnt lgkmcnt(7)
	v_perm_b32 v6, v20, v6, s0
	v_cvt_f32_f16_e32 v0, v0
	v_cvt_f32_f16_e32 v1, v1
	;; [unrolled: 1-line block ×4, first 2 shown]
	v_pk_mul_f16 v36, v36, v74
	s_nop 0
	v_mfma_f32_16x16x16_f16 v[20:23], v[6:7], v[46:47], v[0:3]
	v_perm_b32 v7, v15, v8, s0
	v_perm_b32 v6, v29, v28, s0
	s_nop 0
	v_cvt_f32_f16_e32 v0, v17
	v_cvt_f32_f16_sdwa v1, v17 dst_sel:DWORD dst_unused:UNUSED_PAD src0_sel:WORD_1
	v_cvt_f32_f16_e32 v2, v36
	v_cvt_f32_f16_sdwa v3, v36 dst_sel:DWORD dst_unused:UNUSED_PAD src0_sel:WORD_1
	v_pk_mul_f16 v8, v41, v74
	v_pk_mul_f16 v15, v40, v74
	v_mfma_f32_16x16x16_f16 v[0:3], v[6:7], v[44:45], v[0:3]
	v_perm_b32 v7, v31, v30, s0
	s_waitcnt lgkmcnt(6)
	v_perm_b32 v6, v115, v88, s0
	s_nop 4
	v_cvt_f16_f32_e32 v0, v0
	v_cvt_f16_f32_e32 v1, v1
	v_cvt_f16_f32_e32 v2, v2
	v_cvt_f16_f32_e32 v3, v3
	v_cvt_f32_f16_e32 v0, v0
	v_cvt_f32_f16_e32 v1, v1
	v_cvt_f32_f16_e32 v2, v2
	v_cvt_f32_f16_e32 v3, v3
	s_nop 1
	v_mfma_f32_16x16x16_f16 v[28:31], v[6:7], v[46:47], v[0:3]
	v_perm_b32 v7, v16, v9, s0
	v_perm_b32 v6, v39, v38, s0
	s_nop 0
	v_cvt_f32_f16_e32 v0, v8
	v_cvt_f32_f16_sdwa v1, v8 dst_sel:DWORD dst_unused:UNUSED_PAD src0_sel:WORD_1
	v_cvt_f32_f16_e32 v2, v15
	v_cvt_f32_f16_sdwa v3, v15 dst_sel:DWORD dst_unused:UNUSED_PAD src0_sel:WORD_1
	v_pk_mul_f16 v8, v51, v74
	v_pk_mul_f16 v9, v50, v74
	v_mfma_f32_16x16x16_f16 v[0:3], v[6:7], v[44:45], v[0:3]
	v_perm_b32 v7, v82, v37, s0
	s_waitcnt lgkmcnt(5)
	v_perm_b32 v6, v116, v89, s0
	s_nop 4
	v_cvt_f16_f32_e32 v0, v0
	v_cvt_f16_f32_e32 v1, v1
	v_cvt_f16_f32_e32 v2, v2
	v_cvt_f16_f32_e32 v3, v3
	v_cvt_f32_f16_e32 v0, v0
	v_cvt_f32_f16_e32 v1, v1
	v_cvt_f32_f16_e32 v2, v2
	v_cvt_f32_f16_e32 v3, v3
	;; [unrolled: 24-line block ×7, first 2 shown]
	s_nop 1
	v_mfma_f32_16x16x16_f16 v[60:63], v[6:7], v[46:47], v[0:3]
	s_nop 2
	v_cvt_f32_f16_e32 v0, v8
	v_cvt_f32_f16_sdwa v1, v8 dst_sel:DWORD dst_unused:UNUSED_PAD src0_sel:WORD_1
	ds_read_u16 v3, v4 offset:1312
	ds_read_u16 v8, v4 offset:1344
	;; [unrolled: 1-line block ×16, first 2 shown]
	s_waitcnt lgkmcnt(7)
	v_perm_b32 v7, v6, v3, s0
	ds_read_u16 v3, v4 offset:256
	ds_read_u16 v13, v4 offset:288
	;; [unrolled: 1-line block ×16, first 2 shown]
	s_waitcnt lgkmcnt(7)
	v_perm_b32 v6, v6, v3, s0
	v_cvt_f32_f16_e32 v2, v9
	v_cvt_f32_f16_sdwa v3, v9 dst_sel:DWORD dst_unused:UNUSED_PAD src0_sel:WORD_1
	v_perm_b32 v9, v10, v8, s0
	s_waitcnt lgkmcnt(6)
	v_perm_b32 v8, v17, v13, s0
	v_mfma_f32_16x16x16_f16 v[0:3], v[6:7], v[44:45], v[0:3]
	ds_read_u16 v6, v4 offset:18208
	ds_read_u16 v87, v4 offset:18240
	;; [unrolled: 1-line block ×16, first 2 shown]
	s_waitcnt lgkmcnt(7)
	v_perm_b32 v5, v7, v6, s0
	ds_read_u16 v6, v4 offset:17152
	ds_read_u16 v122, v4 offset:17184
	;; [unrolled: 1-line block ×16, first 2 shown]
	v_cvt_f16_f32_e32 v0, v0
	v_cvt_f16_f32_e32 v1, v1
	;; [unrolled: 1-line block ×4, first 2 shown]
	s_waitcnt lgkmcnt(7)
	v_perm_b32 v4, v7, v6, s0
	v_cvt_f32_f16_e32 v0, v0
	v_cvt_f32_f16_e32 v1, v1
	;; [unrolled: 1-line block ×4, first 2 shown]
	v_pk_mul_f16 v6, v111, v74
	v_pk_mul_f16 v7, v110, v74
	v_mfma_f32_16x16x16_f16 v[0:3], v[4:5], v[46:47], v[0:3]
	v_cvt_f32_f16_e32 v4, v6
	v_cvt_f32_f16_sdwa v5, v6 dst_sel:DWORD dst_unused:UNUSED_PAD src0_sel:WORD_1
	v_cvt_f32_f16_e32 v6, v7
	v_cvt_f32_f16_sdwa v7, v7 dst_sel:DWORD dst_unused:UNUSED_PAD src0_sel:WORD_1
	v_pk_mul_f16 v10, v109, v74
	v_pk_mul_f16 v17, v108, v74
	v_mfma_f32_16x16x16_f16 v[4:7], v[8:9], v[44:45], v[4:7]
	v_perm_b32 v9, v114, v87, s0
	s_waitcnt lgkmcnt(6)
	v_perm_b32 v8, v129, v122, s0
	v_perm_b32 v13, v12, v11, s0
	;; [unrolled: 1-line block ×3, first 2 shown]
	s_nop 2
	v_cvt_f16_f32_e32 v4, v4
	v_cvt_f16_f32_e32 v5, v5
	;; [unrolled: 1-line block ×4, first 2 shown]
	v_cvt_f32_f16_e32 v4, v4
	v_cvt_f32_f16_e32 v5, v5
	v_cvt_f32_f16_e32 v6, v6
	v_cvt_f32_f16_e32 v7, v7
	v_cvt_f32_f16_sdwa v11, v17 dst_sel:DWORD dst_unused:UNUSED_PAD src0_sel:WORD_1
	v_pk_mul_f16 v14, v107, v74
	v_mfma_f32_16x16x16_f16 v[4:7], v[8:9], v[46:47], v[4:7]
	v_cvt_f32_f16_e32 v8, v10
	v_cvt_f32_f16_sdwa v9, v10 dst_sel:DWORD dst_unused:UNUSED_PAD src0_sel:WORD_1
	v_cvt_f32_f16_e32 v10, v17
	v_pk_mul_f16 v27, v106, v74
	v_perm_b32 v17, v16, v15, s0
	v_mfma_f32_16x16x16_f16 v[8:11], v[12:13], v[44:45], v[8:11]
	v_perm_b32 v13, v115, v88, s0
	s_waitcnt lgkmcnt(5)
	v_perm_b32 v12, v130, v123, s0
	v_perm_b32 v16, v77, v18, s0
	v_cvt_f32_f16_sdwa v15, v27 dst_sel:DWORD dst_unused:UNUSED_PAD src0_sel:WORD_1
	s_nop 2
	v_cvt_f16_f32_e32 v8, v8
	v_cvt_f16_f32_e32 v9, v9
	;; [unrolled: 1-line block ×4, first 2 shown]
	v_cvt_f32_f16_e32 v8, v8
	v_cvt_f32_f16_e32 v9, v9
	;; [unrolled: 1-line block ×4, first 2 shown]
	v_pk_mul_f16 v18, v105, v74
	v_pk_mul_f16 v77, v104, v74
	v_mfma_f32_16x16x16_f16 v[8:11], v[12:13], v[46:47], v[8:11]
	v_cvt_f32_f16_e32 v12, v14
	v_cvt_f32_f16_sdwa v13, v14 dst_sel:DWORD dst_unused:UNUSED_PAD src0_sel:WORD_1
	v_cvt_f32_f16_e32 v14, v27
	v_perm_b32 v27, v26, v19, s0
	v_perm_b32 v26, v78, v76, s0
	v_mfma_f32_16x16x16_f16 v[12:15], v[16:17], v[44:45], v[12:15]
	v_perm_b32 v17, v116, v89, s0
	s_waitcnt lgkmcnt(4)
	v_perm_b32 v16, v131, v124, s0
	v_cvt_f32_f16_sdwa v19, v77 dst_sel:DWORD dst_unused:UNUSED_PAD src0_sel:WORD_1
	v_pk_mul_f16 v87, v102, v74
	s_nop 2
	v_cvt_f16_f32_e32 v12, v12
	v_cvt_f16_f32_e32 v13, v13
	;; [unrolled: 1-line block ×4, first 2 shown]
	v_cvt_f32_f16_e32 v12, v12
	v_cvt_f32_f16_e32 v13, v13
	v_cvt_f32_f16_e32 v14, v14
	v_cvt_f32_f16_e32 v15, v15
	v_cvt_f32_f16_e32 v78, v87
	s_waitcnt lgkmcnt(0)
	v_mfma_f32_16x16x16_f16 v[12:15], v[16:17], v[46:47], v[12:15]
	v_cvt_f32_f16_e32 v16, v18
	v_cvt_f32_f16_sdwa v17, v18 dst_sel:DWORD dst_unused:UNUSED_PAD src0_sel:WORD_1
	v_cvt_f32_f16_e32 v18, v77
	v_pk_mul_f16 v77, v103, v74
	s_barrier
	v_mfma_f32_16x16x16_f16 v[16:19], v[26:27], v[44:45], v[16:19]
	v_perm_b32 v27, v117, v90, s0
	v_perm_b32 v26, v132, v125, s0
	v_cvt_f32_f16_e32 v76, v77
	v_cvt_f32_f16_sdwa v77, v77 dst_sel:DWORD dst_unused:UNUSED_PAD src0_sel:WORD_1
	s_nop 3
	v_cvt_f16_f32_e32 v16, v16
	v_cvt_f16_f32_e32 v17, v17
	v_cvt_f16_f32_e32 v18, v18
	v_cvt_f16_f32_e32 v19, v19
	v_cvt_f32_f16_e32 v16, v16
	v_cvt_f32_f16_e32 v17, v17
	;; [unrolled: 1-line block ×4, first 2 shown]
	s_nop 1
	v_mfma_f32_16x16x16_f16 v[16:19], v[26:27], v[46:47], v[16:19]
	v_perm_b32 v27, v65, v34, s0
	v_perm_b32 v26, v84, v79, s0
	v_cvt_f32_f16_sdwa v79, v87 dst_sel:DWORD dst_unused:UNUSED_PAD src0_sel:WORD_1
	v_pk_mul_f16 v84, v99, v74
	s_nop 0
	v_mfma_f32_16x16x16_f16 v[76:79], v[26:27], v[44:45], v[76:79]
	s_nop 7
	v_cvt_f16_f32_e32 v26, v76
	v_cvt_f16_f32_e32 v27, v77
	;; [unrolled: 1-line block ×4, first 2 shown]
	v_cvt_f32_f16_e32 v76, v26
	v_cvt_f32_f16_e32 v77, v27
	v_perm_b32 v27, v118, v91, s0
	v_perm_b32 v26, v133, v126, s0
	v_cvt_f32_f16_e32 v78, v34
	v_cvt_f32_f16_e32 v79, v65
	v_pk_mul_f16 v65, v100, v74
	v_add_f32_e32 v34, v24, v25
	v_mfma_f32_16x16x16_f16 v[24:27], v[26:27], v[46:47], v[76:79]
	v_add_f32_e32 v34, v35, v34
	v_add_f32_e32 v32, v32, v34
	s_nop 0
	v_cvt_f32_f16_e32 v76, v65
	v_cvt_f32_f16_sdwa v77, v65 dst_sel:DWORD dst_unused:UNUSED_PAD src0_sel:WORD_1
	v_perm_b32 v65, v75, v64, s0
	v_perm_b32 v64, v85, v82, s0
	v_cvt_f32_f16_e32 v78, v84
	v_cvt_f32_f16_sdwa v79, v84 dst_sel:DWORD dst_unused:UNUSED_PAD src0_sel:WORD_1
	v_add_f32_e32 v75, v33, v32
	v_add_f32_e32 v68, v68, v75
	v_mfma_f32_16x16x16_f16 v[32:35], v[64:65], v[44:45], v[76:79]
	v_perm_b32 v65, v119, v112, s0
	v_perm_b32 v64, v134, v127, s0
	v_pk_mul_f16 v75, v98, v74
	v_pk_mul_f16 v77, v97, v74
	s_nop 3
	v_cvt_f16_f32_e32 v32, v32
	v_cvt_f16_f32_e32 v33, v33
	;; [unrolled: 1-line block ×4, first 2 shown]
	v_cvt_f32_f16_e32 v32, v32
	v_cvt_f32_f16_e32 v33, v33
	;; [unrolled: 1-line block ×5, first 2 shown]
	v_cvt_f32_f16_sdwa v75, v75 dst_sel:DWORD dst_unused:UNUSED_PAD src0_sel:WORD_1
	v_mfma_f32_16x16x16_f16 v[32:35], v[64:65], v[46:47], v[32:35]
	v_perm_b32 v65, v81, v80, s0
	v_perm_b32 v64, v86, v83, s0
	v_cvt_f32_f16_e32 v76, v77
	v_cvt_f32_f16_sdwa v77, v77 dst_sel:DWORD dst_unused:UNUSED_PAD src0_sel:WORD_1
	v_add_f32_e32 v68, v69, v68
	v_add_f32_e32 v68, v73, v68
	v_fmac_f32_e32 v68, v66, v72
	v_mfma_f32_16x16x16_f16 v[72:75], v[64:65], v[44:45], v[74:77]
	s_nop 7
	v_cvt_f16_f32_e32 v64, v74
	v_cvt_f16_f32_e32 v44, v72
	;; [unrolled: 1-line block ×4, first 2 shown]
	v_cvt_f32_f16_e32 v74, v64
	ds_bpermute_b32 v64, v70, v68
	v_cvt_f32_f16_e32 v72, v44
	v_cvt_f32_f16_e32 v73, v45
	v_perm_b32 v45, v120, v113, s0
	v_perm_b32 v44, v135, v128, s0
	v_cvt_f32_f16_e32 v75, v65
	s_waitcnt lgkmcnt(0)
	v_add_f32_e32 v64, v68, v64
	ds_bpermute_b32 v65, v67, v64
	v_mfma_f32_16x16x16_f16 v[44:47], v[44:45], v[46:47], v[72:75]
	v_cmp_gt_u32_e64 s[0:1], 16, v92
	s_and_saveexec_b64 s[4:5], s[0:1]
	s_cbranch_execz .LBB31_478
; %bb.477:
	s_waitcnt lgkmcnt(0)
	v_add_f32_e32 v64, v64, v65
	v_or_b32_e32 v65, v101, v92
	s_movk_i32 s3, 0x110
	v_mad_u32_u24 v65, v65, s3, 0
	ds_write2_b32 v65, v71, v64 offset0:64 offset1:65
.LBB31_478:
	s_or_b64 exec, exec, s[4:5]
	v_and_b32_e32 v64, 1, v95
	v_cmp_eq_u32_e32 vcc, 0, v64
	v_cmp_eq_u32_e64 s[4:5], 1, v64
	s_waitcnt lgkmcnt(0)
	s_barrier
	s_and_saveexec_b64 s[6:7], s[4:5]
	s_xor_b64 s[4:5], exec, s[6:7]
	s_cbranch_execz .LBB31_480
; %bb.479:
	s_barrier
                                        ; implicit-def: $vgpr121
                                        ; implicit-def: $vgpr67
.LBB31_480:
	s_andn2_saveexec_b64 s[6:7], s[4:5]
	s_cbranch_execz .LBB31_486
; %bb.481:
	v_and_or_b32 v65, v92, 31, v101
	s_movk_i32 s3, 0x110
	v_mad_u32_u24 v64, v65, s3, 0
	ds_read_b64 v[68:69], v64 offset:256
	s_mov_b32 s3, 0x3fb8aa3b
	s_mov_b32 s8, 0x42b17218
	s_waitcnt lgkmcnt(0)
	s_barrier
	ds_bpermute_b32 v64, v67, v68
	v_max_f32_e32 v66, v68, v68
	s_waitcnt lgkmcnt(0)
	v_max_f32_e32 v64, v64, v64
	v_max_f32_e32 v64, v66, v64
	v_sub_f32_e32 v66, v68, v64
	v_mul_f32_e32 v68, 0x3fb8aa3b, v66
	v_fma_f32 v70, v66, s3, -v68
	v_rndne_f32_e32 v71, v68
	v_fmamk_f32 v70, v66, 0x32a5705f, v70
	v_sub_f32_e32 v68, v68, v71
	v_add_f32_e32 v68, v68, v70
	v_cvt_i32_f32_e32 v71, v71
	v_exp_f32_e32 v68, v68
	s_mov_b32 s3, 0xc2ce8ed0
	v_cmp_ngt_f32_e64 s[4:5], s3, v66
	v_mov_b32_e32 v70, 0x7f800000
	v_ldexp_f32 v68, v68, v71
	v_cndmask_b32_e64 v68, 0, v68, s[4:5]
	v_cmp_nlt_f32_e64 s[4:5], s8, v66
	s_nop 1
	v_cndmask_b32_e64 v66, v70, v68, s[4:5]
	v_mul_f32_e32 v68, v69, v66
	ds_bpermute_b32 v67, v67, v68
	v_cmp_gt_u32_e64 s[4:5], 32, v92
	s_waitcnt lgkmcnt(0)
	v_fmac_f32_e32 v67, v69, v66
	s_and_saveexec_b64 s[8:9], s[4:5]
; %bb.482:
	v_mul_u32_u24_e32 v65, 0x110, v65
	v_add_u32_e32 v65, 0, v65
	ds_write_b64 v65, v[66:67] offset:256
; %bb.483:
	s_or_b64 exec, exec, s[8:9]
	s_and_saveexec_b64 s[4:5], s[0:1]
	s_cbranch_execz .LBB31_485
; %bb.484:
	s_add_i32 s0, s25, s2
	s_lshl_b32 s0, s0, 6
	s_mov_b32 s1, 0
	s_lshl_b64 s[0:1], s[0:1], 3
	s_add_u32 s0, s50, s0
	v_or_b32_e32 v65, v121, v92
	s_addc_u32 s1, s51, s1
	v_lshlrev_b32_e32 v66, 3, v65
	v_mov_b32_e32 v65, v67
	global_store_dwordx2 v66, v[64:65], s[0:1]
.LBB31_485:
	s_or_b64 exec, exec, s[4:5]
.LBB31_486:
	s_or_b64 exec, exec, s[6:7]
	s_mov_b32 s3, 0
	s_lshl_b32 s2, s2, 13
	v_cvt_pk_f16_f32 v22, v22, v23
	v_cvt_pk_f16_f32 v23, v20, v21
	v_or_b32_e32 v20, v101, v94
	s_lshl_b64 s[0:1], s[2:3], 3
	v_mul_u32_u24_e32 v20, 0x110, v20
	s_add_u32 s5, s50, s0
	s_movk_i32 s6, 0x110
	v_add3_u32 v21, 0, v20, v96
	s_addc_u32 s4, s51, s1
	v_lshrrev_b32_e32 v20, 1, v95
	v_cvt_pk_f16_f32 v30, v30, v31
	v_cvt_pk_f16_f32 v28, v28, v29
	;; [unrolled: 1-line block ×14, first 2 shown]
	ds_write2_b32 v21, v23, v22 offset1:1
	ds_write2_b32 v21, v28, v30 offset0:8 offset1:9
	ds_write2_b32 v21, v31, v29 offset0:16 offset1:17
	;; [unrolled: 1-line block ×7, first 2 shown]
	s_waitcnt lgkmcnt(0)
	s_barrier
	s_and_saveexec_b64 s[0:1], vcc
	s_cbranch_execz .LBB31_488
; %bb.487:
	v_bfe_u32 v36, v95, 1, 4
	s_movk_i32 s7, 0x3e0
	v_and_or_b32 v28, v95, s7, v36
	v_mad_u32_u24 v22, v28, s6, v93
	ds_read2st64_b32 v[22:23], v22 offset1:17
	v_readlane_b32 s8, v255, 0
	v_readlane_b32 s9, v255, 1
	s_load_dword s2, s[8:9], 0x10
	v_mad_u32_u24 v28, v28, s6, 0
	ds_read2st64_b32 v[28:29], v28 offset0:1 offset1:18
	s_waitcnt lgkmcnt(0)
	v_cvt_f32_f16_e32 v30, v22
	v_cvt_f32_f16_sdwa v31, v22 dst_sel:DWORD dst_unused:UNUSED_PAD src0_sel:WORD_1
	v_cvt_f32_f16_e32 v22, v23
	v_cvt_f32_f16_sdwa v23, v23 dst_sel:DWORD dst_unused:UNUSED_PAD src0_sel:WORD_1
	s_lshr_b32 s2, s2, 16
	s_cmp_lg_u32 s2, 0
	v_pk_fma_f32 v[30:31], v[28:29], v[30:31], 0 op_sel_hi:[0,1,0]
	v_mov_b32_e32 v28, v29
	s_cselect_b64 s[8:9], -1, 0
	v_pk_fma_f32 v[22:23], v[28:29], v[22:23], v[30:31] op_sel_hi:[0,1,1]
	v_add_u32_e32 v30, 4, v20
	s_cmp_lg_u64 s[8:9], 0
	v_lshlrev_b32_e32 v28, 1, v30
	v_and_b32_e32 v29, 15, v30
	s_movk_i32 s7, 0x7e0
	s_addc_u32 s2, s25, 0
	v_and_or_b32 v31, v28, s7, v29
	s_lshl_b32 s2, s2, 7
	v_mad_u32_u24 v28, v31, s6, v93
	s_lshl_b64 s[2:3], s[2:3], 3
	ds_read2st64_b32 v[28:29], v28 offset1:17
	s_add_u32 s2, s5, s2
	v_lshlrev_b32_e32 v37, 6, v95
	s_addc_u32 s3, s4, s3
	v_add_lshl_u32 v37, v37, v92, 3
	global_store_dwordx2 v37, v[22:23], s[2:3]
	v_mad_u32_u24 v22, v31, s6, 0
	ds_read2st64_b32 v[22:23], v22 offset0:1 offset1:18
	v_lshlrev_b32_e32 v37, 7, v30
	s_waitcnt lgkmcnt(1)
	v_cvt_f32_f16_e32 v30, v28
	v_cvt_f32_f16_sdwa v31, v28 dst_sel:DWORD dst_unused:UNUSED_PAD src0_sel:WORD_1
	v_cvt_f32_f16_e32 v28, v29
	v_cvt_f32_f16_sdwa v29, v29 dst_sel:DWORD dst_unused:UNUSED_PAD src0_sel:WORD_1
	v_add_lshl_u32 v37, v37, v92, 3
	s_waitcnt lgkmcnt(0)
	v_pk_fma_f32 v[30:31], v[22:23], v[30:31], 0 op_sel_hi:[0,1,0]
	v_mov_b32_e32 v22, v23
	v_pk_fma_f32 v[22:23], v[22:23], v[28:29], v[30:31] op_sel_hi:[0,1,1]
	v_add_u32_e32 v30, 8, v20
	v_lshlrev_b32_e32 v28, 1, v30
	v_and_b32_e32 v29, 15, v30
	v_and_or_b32 v31, v28, s7, v29
	v_mad_u32_u24 v28, v31, s6, v93
	ds_read2st64_b32 v[28:29], v28 offset1:17
	global_store_dwordx2 v37, v[22:23], s[2:3]
	v_mad_u32_u24 v22, v31, s6, 0
	ds_read2st64_b32 v[22:23], v22 offset0:1 offset1:18
	v_lshlrev_b32_e32 v37, 7, v30
	s_waitcnt lgkmcnt(1)
	v_cvt_f32_f16_e32 v30, v28
	v_cvt_f32_f16_sdwa v31, v28 dst_sel:DWORD dst_unused:UNUSED_PAD src0_sel:WORD_1
	v_cvt_f32_f16_e32 v28, v29
	v_cvt_f32_f16_sdwa v29, v29 dst_sel:DWORD dst_unused:UNUSED_PAD src0_sel:WORD_1
	v_add_lshl_u32 v37, v37, v92, 3
	s_waitcnt lgkmcnt(0)
	v_pk_fma_f32 v[30:31], v[22:23], v[30:31], 0 op_sel_hi:[0,1,0]
	v_mov_b32_e32 v22, v23
	v_pk_fma_f32 v[22:23], v[22:23], v[28:29], v[30:31] op_sel_hi:[0,1,1]
	v_add_u32_e32 v30, 12, v20
	v_lshlrev_b32_e32 v28, 1, v30
	v_and_b32_e32 v29, 15, v30
	v_and_or_b32 v31, v28, s7, v29
	v_mad_u32_u24 v28, v31, s6, v93
	ds_read2st64_b32 v[28:29], v28 offset1:17
	global_store_dwordx2 v37, v[22:23], s[2:3]
	v_mad_u32_u24 v22, v31, s6, 0
	ds_read2st64_b32 v[22:23], v22 offset0:1 offset1:18
	v_lshlrev_b32_e32 v37, 7, v30
	s_waitcnt lgkmcnt(1)
	v_cvt_f32_f16_e32 v30, v28
	v_cvt_f32_f16_sdwa v31, v28 dst_sel:DWORD dst_unused:UNUSED_PAD src0_sel:WORD_1
	v_cvt_f32_f16_e32 v28, v29
	v_cvt_f32_f16_sdwa v29, v29 dst_sel:DWORD dst_unused:UNUSED_PAD src0_sel:WORD_1
	v_add_lshl_u32 v37, v37, v92, 3
	s_waitcnt lgkmcnt(0)
	v_pk_fma_f32 v[30:31], v[22:23], v[30:31], 0 op_sel_hi:[0,1,0]
	v_mov_b32_e32 v22, v23
	v_pk_fma_f32 v[22:23], v[22:23], v[28:29], v[30:31] op_sel_hi:[0,1,1]
	v_add_u32_e32 v30, 16, v20
	v_lshlrev_b32_e32 v28, 1, v30
	v_and_or_b32 v31, v28, s7, v36
	v_mad_u32_u24 v28, v31, s6, v93
	ds_read2st64_b32 v[28:29], v28 offset1:17
	global_store_dwordx2 v37, v[22:23], s[2:3]
	v_mad_u32_u24 v22, v31, s6, 0
	ds_read2st64_b32 v[22:23], v22 offset0:1 offset1:18
	v_lshlrev_b32_e32 v37, 7, v30
	s_waitcnt lgkmcnt(1)
	v_cvt_f32_f16_e32 v30, v28
	v_cvt_f32_f16_sdwa v31, v28 dst_sel:DWORD dst_unused:UNUSED_PAD src0_sel:WORD_1
	v_cvt_f32_f16_e32 v28, v29
	v_cvt_f32_f16_sdwa v29, v29 dst_sel:DWORD dst_unused:UNUSED_PAD src0_sel:WORD_1
	v_add_lshl_u32 v37, v37, v92, 3
	s_waitcnt lgkmcnt(0)
	v_pk_fma_f32 v[30:31], v[22:23], v[30:31], 0 op_sel_hi:[0,1,0]
	v_mov_b32_e32 v22, v23
	v_pk_fma_f32 v[22:23], v[22:23], v[28:29], v[30:31] op_sel_hi:[0,1,1]
	v_add_u32_e32 v30, 20, v20
	v_lshlrev_b32_e32 v28, 1, v30
	v_and_b32_e32 v29, 15, v30
	v_and_or_b32 v31, v28, s7, v29
	v_mad_u32_u24 v28, v31, s6, v93
	ds_read2st64_b32 v[28:29], v28 offset1:17
	global_store_dwordx2 v37, v[22:23], s[2:3]
	v_mad_u32_u24 v22, v31, s6, 0
	ds_read2st64_b32 v[22:23], v22 offset0:1 offset1:18
	v_lshlrev_b32_e32 v37, 7, v30
	s_waitcnt lgkmcnt(1)
	v_cvt_f32_f16_e32 v30, v28
	v_cvt_f32_f16_sdwa v31, v28 dst_sel:DWORD dst_unused:UNUSED_PAD src0_sel:WORD_1
	v_cvt_f32_f16_e32 v28, v29
	v_cvt_f32_f16_sdwa v29, v29 dst_sel:DWORD dst_unused:UNUSED_PAD src0_sel:WORD_1
	v_add_lshl_u32 v37, v37, v92, 3
	s_waitcnt lgkmcnt(0)
	v_pk_fma_f32 v[30:31], v[22:23], v[30:31], 0 op_sel_hi:[0,1,0]
	v_mov_b32_e32 v22, v23
	v_pk_fma_f32 v[22:23], v[22:23], v[28:29], v[30:31] op_sel_hi:[0,1,1]
	v_add_u32_e32 v30, 24, v20
	v_lshlrev_b32_e32 v28, 1, v30
	v_and_b32_e32 v29, 15, v30
	;; [unrolled: 20-line block ×3, first 2 shown]
	v_and_or_b32 v31, v28, s7, v29
	v_mad_u32_u24 v28, v31, s6, v93
	ds_read2st64_b32 v[28:29], v28 offset1:17
	global_store_dwordx2 v37, v[22:23], s[2:3]
	v_mad_u32_u24 v22, v31, s6, 0
	ds_read2st64_b32 v[22:23], v22 offset0:1 offset1:18
	v_lshlrev_b32_e32 v37, 7, v30
	s_waitcnt lgkmcnt(1)
	v_cvt_f32_f16_e32 v30, v28
	v_cvt_f32_f16_sdwa v31, v28 dst_sel:DWORD dst_unused:UNUSED_PAD src0_sel:WORD_1
	v_cvt_f32_f16_e32 v28, v29
	v_cvt_f32_f16_sdwa v29, v29 dst_sel:DWORD dst_unused:UNUSED_PAD src0_sel:WORD_1
	v_add_lshl_u32 v37, v37, v92, 3
	s_waitcnt lgkmcnt(0)
	v_pk_fma_f32 v[30:31], v[22:23], v[30:31], 0 op_sel_hi:[0,1,0]
	v_mov_b32_e32 v22, v23
	v_pk_fma_f32 v[22:23], v[22:23], v[28:29], v[30:31] op_sel_hi:[0,1,1]
	v_add_u32_e32 v30, 32, v20
	v_lshlrev_b32_e32 v28, 1, v30
	v_and_or_b32 v31, v28, s7, v36
	v_mad_u32_u24 v28, v31, s6, v93
	ds_read2st64_b32 v[28:29], v28 offset1:17
	global_store_dwordx2 v37, v[22:23], s[2:3]
	v_mad_u32_u24 v22, v31, s6, 0
	ds_read2st64_b32 v[22:23], v22 offset0:1 offset1:18
	v_lshlrev_b32_e32 v37, 7, v30
	s_waitcnt lgkmcnt(1)
	v_cvt_f32_f16_e32 v30, v28
	v_cvt_f32_f16_sdwa v31, v28 dst_sel:DWORD dst_unused:UNUSED_PAD src0_sel:WORD_1
	v_cvt_f32_f16_e32 v28, v29
	v_cvt_f32_f16_sdwa v29, v29 dst_sel:DWORD dst_unused:UNUSED_PAD src0_sel:WORD_1
	v_add_lshl_u32 v37, v37, v92, 3
	s_waitcnt lgkmcnt(0)
	v_pk_fma_f32 v[30:31], v[22:23], v[30:31], 0 op_sel_hi:[0,1,0]
	v_mov_b32_e32 v22, v23
	v_pk_fma_f32 v[22:23], v[22:23], v[28:29], v[30:31] op_sel_hi:[0,1,1]
	v_add_u32_e32 v30, 36, v20
	v_lshlrev_b32_e32 v28, 1, v30
	v_and_b32_e32 v29, 15, v30
	v_and_or_b32 v31, v28, s7, v29
	v_mad_u32_u24 v28, v31, s6, v93
	ds_read2st64_b32 v[28:29], v28 offset1:17
	global_store_dwordx2 v37, v[22:23], s[2:3]
	v_mad_u32_u24 v22, v31, s6, 0
	ds_read2st64_b32 v[22:23], v22 offset0:1 offset1:18
	v_lshlrev_b32_e32 v37, 7, v30
	s_waitcnt lgkmcnt(1)
	v_cvt_f32_f16_e32 v30, v28
	v_cvt_f32_f16_sdwa v31, v28 dst_sel:DWORD dst_unused:UNUSED_PAD src0_sel:WORD_1
	v_cvt_f32_f16_e32 v28, v29
	v_cvt_f32_f16_sdwa v29, v29 dst_sel:DWORD dst_unused:UNUSED_PAD src0_sel:WORD_1
	v_add_lshl_u32 v37, v37, v92, 3
	s_waitcnt lgkmcnt(0)
	v_pk_fma_f32 v[30:31], v[22:23], v[30:31], 0 op_sel_hi:[0,1,0]
	v_mov_b32_e32 v22, v23
	v_pk_fma_f32 v[22:23], v[22:23], v[28:29], v[30:31] op_sel_hi:[0,1,1]
	v_add_u32_e32 v30, 40, v20
	v_lshlrev_b32_e32 v28, 1, v30
	v_and_b32_e32 v29, 15, v30
	;; [unrolled: 20-line block ×3, first 2 shown]
	v_and_or_b32 v31, v28, s7, v29
	v_mad_u32_u24 v28, v31, s6, v93
	ds_read2st64_b32 v[28:29], v28 offset1:17
	global_store_dwordx2 v37, v[22:23], s[2:3]
	v_mad_u32_u24 v22, v31, s6, 0
	ds_read2st64_b32 v[22:23], v22 offset0:1 offset1:18
	v_lshlrev_b32_e32 v37, 7, v30
	s_waitcnt lgkmcnt(1)
	v_cvt_f32_f16_e32 v30, v28
	v_cvt_f32_f16_sdwa v31, v28 dst_sel:DWORD dst_unused:UNUSED_PAD src0_sel:WORD_1
	v_cvt_f32_f16_e32 v28, v29
	v_cvt_f32_f16_sdwa v29, v29 dst_sel:DWORD dst_unused:UNUSED_PAD src0_sel:WORD_1
	v_add_lshl_u32 v37, v37, v92, 3
	s_waitcnt lgkmcnt(0)
	v_pk_fma_f32 v[30:31], v[22:23], v[30:31], 0 op_sel_hi:[0,1,0]
	v_mov_b32_e32 v22, v23
	v_pk_fma_f32 v[22:23], v[22:23], v[28:29], v[30:31] op_sel_hi:[0,1,1]
	v_add_u32_e32 v30, 48, v20
	v_lshlrev_b32_e32 v28, 1, v30
	v_and_or_b32 v31, v28, s7, v36
	v_mad_u32_u24 v28, v31, s6, v93
	ds_read2st64_b32 v[28:29], v28 offset1:17
	global_store_dwordx2 v37, v[22:23], s[2:3]
	v_mad_u32_u24 v22, v31, s6, 0
	ds_read2st64_b32 v[22:23], v22 offset0:1 offset1:18
	v_lshlrev_b32_e32 v36, 7, v30
	s_waitcnt lgkmcnt(1)
	v_cvt_f32_f16_e32 v30, v28
	v_cvt_f32_f16_sdwa v31, v28 dst_sel:DWORD dst_unused:UNUSED_PAD src0_sel:WORD_1
	v_cvt_f32_f16_e32 v28, v29
	v_cvt_f32_f16_sdwa v29, v29 dst_sel:DWORD dst_unused:UNUSED_PAD src0_sel:WORD_1
	v_add_lshl_u32 v36, v36, v92, 3
	s_waitcnt lgkmcnt(0)
	v_pk_fma_f32 v[30:31], v[22:23], v[30:31], 0 op_sel_hi:[0,1,0]
	v_mov_b32_e32 v22, v23
	v_pk_fma_f32 v[22:23], v[22:23], v[28:29], v[30:31] op_sel_hi:[0,1,1]
	v_add_u32_e32 v30, 52, v20
	v_lshlrev_b32_e32 v28, 1, v30
	v_and_b32_e32 v29, 15, v30
	v_and_or_b32 v31, v28, s7, v29
	v_mad_u32_u24 v28, v31, s6, v93
	ds_read2st64_b32 v[28:29], v28 offset1:17
	global_store_dwordx2 v36, v[22:23], s[2:3]
	v_mad_u32_u24 v22, v31, s6, 0
	ds_read2st64_b32 v[22:23], v22 offset0:1 offset1:18
	v_lshlrev_b32_e32 v36, 7, v30
	s_waitcnt lgkmcnt(1)
	v_cvt_f32_f16_e32 v30, v28
	v_cvt_f32_f16_sdwa v31, v28 dst_sel:DWORD dst_unused:UNUSED_PAD src0_sel:WORD_1
	v_cvt_f32_f16_e32 v28, v29
	v_cvt_f32_f16_sdwa v29, v29 dst_sel:DWORD dst_unused:UNUSED_PAD src0_sel:WORD_1
	v_add_lshl_u32 v36, v36, v92, 3
	s_waitcnt lgkmcnt(0)
	v_pk_fma_f32 v[30:31], v[22:23], v[30:31], 0 op_sel_hi:[0,1,0]
	v_mov_b32_e32 v22, v23
	v_pk_fma_f32 v[22:23], v[22:23], v[28:29], v[30:31] op_sel_hi:[0,1,1]
	v_add_u32_e32 v30, 56, v20
	v_lshlrev_b32_e32 v28, 1, v30
	v_and_b32_e32 v29, 15, v30
	;; [unrolled: 20-line block ×3, first 2 shown]
	v_and_or_b32 v31, v28, s7, v29
	v_mad_u32_u24 v28, v31, s6, v93
	ds_read2st64_b32 v[28:29], v28 offset1:17
	global_store_dwordx2 v36, v[22:23], s[2:3]
	v_mad_u32_u24 v22, v31, s6, 0
	ds_read2st64_b32 v[22:23], v22 offset0:1 offset1:18
	v_lshlrev_b32_e32 v36, 7, v30
	s_waitcnt lgkmcnt(1)
	v_cvt_f32_f16_e32 v30, v28
	v_cvt_f32_f16_sdwa v31, v28 dst_sel:DWORD dst_unused:UNUSED_PAD src0_sel:WORD_1
	v_cvt_f32_f16_e32 v28, v29
	v_cvt_f32_f16_sdwa v29, v29 dst_sel:DWORD dst_unused:UNUSED_PAD src0_sel:WORD_1
	v_add_lshl_u32 v36, v36, v92, 3
	s_waitcnt lgkmcnt(0)
	v_pk_fma_f32 v[30:31], v[22:23], v[30:31], 0 op_sel_hi:[0,1,0]
	v_mov_b32_e32 v22, v23
	v_pk_fma_f32 v[22:23], v[22:23], v[28:29], v[30:31] op_sel_hi:[0,1,1]
	global_store_dwordx2 v36, v[22:23], s[2:3]
.LBB31_488:
	s_or_b64 exec, exec, s[0:1]
	v_cvt_pk_f16_f32 v2, v2, v3
	v_cvt_pk_f16_f32 v0, v0, v1
	;; [unrolled: 1-line block ×16, first 2 shown]
	s_barrier
	ds_write2_b32 v21, v0, v2 offset1:1
	ds_write2_b32 v21, v3, v1 offset0:8 offset1:9
	ds_write2_b32 v21, v5, v4 offset0:16 offset1:17
	;; [unrolled: 1-line block ×7, first 2 shown]
	s_waitcnt lgkmcnt(0)
	s_barrier
	s_and_saveexec_b64 s[0:1], vcc
	s_cbranch_execz .LBB31_490
; %bb.489:
	v_readlane_b32 s2, v255, 0
	v_readlane_b32 s3, v255, 1
	s_load_dword s2, s[2:3], 0x10
	v_bfe_u32 v6, v95, 1, 4
	s_movk_i32 s6, 0x3e0
	v_and_or_b32 v2, v95, s6, v6
	s_mov_b32 s3, 0
	s_waitcnt lgkmcnt(0)
	s_lshr_b32 s2, s2, 16
	s_cmp_lg_u32 s2, 0
	s_cselect_b64 s[6:7], -1, 0
	s_cmp_lg_u64 s[6:7], 0
	s_addc_u32 s2, s25, 0
	s_lshl_b32 s2, s2, 7
	s_lshl_b64 s[2:3], s[2:3], 3
	s_add_u32 s2, s5, s2
	s_movk_i32 s5, 0x110
	v_mad_u32_u24 v0, v2, s5, v93
	ds_read2st64_b32 v[0:1], v0 offset1:17
	v_mad_u32_u24 v2, v2, s5, 0
	ds_read2st64_b32 v[2:3], v2 offset0:1 offset1:18
	s_addc_u32 s3, s4, s3
	s_movk_i32 s4, 0x7e0
	s_waitcnt lgkmcnt(1)
	v_cvt_f32_f16_e32 v4, v0
	v_cvt_f32_f16_sdwa v5, v0 dst_sel:DWORD dst_unused:UNUSED_PAD src0_sel:WORD_1
	v_cvt_f32_f16_e32 v0, v1
	v_cvt_f32_f16_sdwa v1, v1 dst_sel:DWORD dst_unused:UNUSED_PAD src0_sel:WORD_1
	v_lshlrev_b32_e32 v7, 6, v95
	s_waitcnt lgkmcnt(0)
	v_pk_fma_f32 v[4:5], v[2:3], v[4:5], 0 op_sel_hi:[0,1,0]
	v_mov_b32_e32 v2, v3
	v_pk_fma_f32 v[0:1], v[2:3], v[0:1], v[4:5] op_sel_hi:[0,1,1]
	v_add_u32_e32 v4, 4, v20
	v_lshlrev_b32_e32 v2, 1, v4
	v_and_b32_e32 v3, 15, v4
	v_and_or_b32 v5, v2, s4, v3
	v_mad_u32_u24 v2, v5, s5, v93
	ds_read2st64_b32 v[2:3], v2 offset1:17
	v_add_lshl_u32 v7, v92, v7, 3
	global_store_dwordx2 v7, v[0:1], s[2:3] offset:512
	v_mad_u32_u24 v0, v5, s5, 0
	ds_read2st64_b32 v[0:1], v0 offset0:1 offset1:18
	v_lshlrev_b32_e32 v7, 7, v4
	s_waitcnt lgkmcnt(1)
	v_cvt_f32_f16_e32 v4, v2
	v_cvt_f32_f16_sdwa v5, v2 dst_sel:DWORD dst_unused:UNUSED_PAD src0_sel:WORD_1
	v_cvt_f32_f16_e32 v2, v3
	v_cvt_f32_f16_sdwa v3, v3 dst_sel:DWORD dst_unused:UNUSED_PAD src0_sel:WORD_1
	v_add_lshl_u32 v7, v92, v7, 3
	s_waitcnt lgkmcnt(0)
	v_pk_fma_f32 v[4:5], v[0:1], v[4:5], 0 op_sel_hi:[0,1,0]
	v_mov_b32_e32 v0, v1
	v_pk_fma_f32 v[0:1], v[0:1], v[2:3], v[4:5] op_sel_hi:[0,1,1]
	v_add_u32_e32 v4, 8, v20
	v_lshlrev_b32_e32 v2, 1, v4
	v_and_b32_e32 v3, 15, v4
	v_and_or_b32 v5, v2, s4, v3
	v_mad_u32_u24 v2, v5, s5, v93
	ds_read2st64_b32 v[2:3], v2 offset1:17
	global_store_dwordx2 v7, v[0:1], s[2:3] offset:512
	v_mad_u32_u24 v0, v5, s5, 0
	ds_read2st64_b32 v[0:1], v0 offset0:1 offset1:18
	v_lshlrev_b32_e32 v7, 7, v4
	s_waitcnt lgkmcnt(1)
	v_cvt_f32_f16_e32 v4, v2
	v_cvt_f32_f16_sdwa v5, v2 dst_sel:DWORD dst_unused:UNUSED_PAD src0_sel:WORD_1
	v_cvt_f32_f16_e32 v2, v3
	v_cvt_f32_f16_sdwa v3, v3 dst_sel:DWORD dst_unused:UNUSED_PAD src0_sel:WORD_1
	v_add_lshl_u32 v7, v92, v7, 3
	s_waitcnt lgkmcnt(0)
	v_pk_fma_f32 v[4:5], v[0:1], v[4:5], 0 op_sel_hi:[0,1,0]
	v_mov_b32_e32 v0, v1
	v_pk_fma_f32 v[0:1], v[0:1], v[2:3], v[4:5] op_sel_hi:[0,1,1]
	v_add_u32_e32 v4, 12, v20
	v_lshlrev_b32_e32 v2, 1, v4
	v_and_b32_e32 v3, 15, v4
	v_and_or_b32 v5, v2, s4, v3
	v_mad_u32_u24 v2, v5, s5, v93
	ds_read2st64_b32 v[2:3], v2 offset1:17
	global_store_dwordx2 v7, v[0:1], s[2:3] offset:512
	v_mad_u32_u24 v0, v5, s5, 0
	ds_read2st64_b32 v[0:1], v0 offset0:1 offset1:18
	v_lshlrev_b32_e32 v7, 7, v4
	s_waitcnt lgkmcnt(1)
	v_cvt_f32_f16_e32 v4, v2
	v_cvt_f32_f16_sdwa v5, v2 dst_sel:DWORD dst_unused:UNUSED_PAD src0_sel:WORD_1
	v_cvt_f32_f16_e32 v2, v3
	v_cvt_f32_f16_sdwa v3, v3 dst_sel:DWORD dst_unused:UNUSED_PAD src0_sel:WORD_1
	v_add_lshl_u32 v7, v92, v7, 3
	s_waitcnt lgkmcnt(0)
	v_pk_fma_f32 v[4:5], v[0:1], v[4:5], 0 op_sel_hi:[0,1,0]
	v_mov_b32_e32 v0, v1
	v_pk_fma_f32 v[0:1], v[0:1], v[2:3], v[4:5] op_sel_hi:[0,1,1]
	v_add_u32_e32 v4, 16, v20
	v_lshlrev_b32_e32 v2, 1, v4
	v_and_or_b32 v5, v2, s4, v6
	v_mad_u32_u24 v2, v5, s5, v93
	ds_read2st64_b32 v[2:3], v2 offset1:17
	global_store_dwordx2 v7, v[0:1], s[2:3] offset:512
	v_mad_u32_u24 v0, v5, s5, 0
	ds_read2st64_b32 v[0:1], v0 offset0:1 offset1:18
	v_lshlrev_b32_e32 v7, 7, v4
	s_waitcnt lgkmcnt(1)
	v_cvt_f32_f16_e32 v4, v2
	v_cvt_f32_f16_sdwa v5, v2 dst_sel:DWORD dst_unused:UNUSED_PAD src0_sel:WORD_1
	v_cvt_f32_f16_e32 v2, v3
	v_cvt_f32_f16_sdwa v3, v3 dst_sel:DWORD dst_unused:UNUSED_PAD src0_sel:WORD_1
	v_add_lshl_u32 v7, v92, v7, 3
	s_waitcnt lgkmcnt(0)
	v_pk_fma_f32 v[4:5], v[0:1], v[4:5], 0 op_sel_hi:[0,1,0]
	v_mov_b32_e32 v0, v1
	v_pk_fma_f32 v[0:1], v[0:1], v[2:3], v[4:5] op_sel_hi:[0,1,1]
	v_add_u32_e32 v4, 20, v20
	v_lshlrev_b32_e32 v2, 1, v4
	v_and_b32_e32 v3, 15, v4
	v_and_or_b32 v5, v2, s4, v3
	v_mad_u32_u24 v2, v5, s5, v93
	ds_read2st64_b32 v[2:3], v2 offset1:17
	global_store_dwordx2 v7, v[0:1], s[2:3] offset:512
	v_mad_u32_u24 v0, v5, s5, 0
	ds_read2st64_b32 v[0:1], v0 offset0:1 offset1:18
	v_lshlrev_b32_e32 v7, 7, v4
	s_waitcnt lgkmcnt(1)
	v_cvt_f32_f16_e32 v4, v2
	v_cvt_f32_f16_sdwa v5, v2 dst_sel:DWORD dst_unused:UNUSED_PAD src0_sel:WORD_1
	v_cvt_f32_f16_e32 v2, v3
	v_cvt_f32_f16_sdwa v3, v3 dst_sel:DWORD dst_unused:UNUSED_PAD src0_sel:WORD_1
	v_add_lshl_u32 v7, v92, v7, 3
	s_waitcnt lgkmcnt(0)
	v_pk_fma_f32 v[4:5], v[0:1], v[4:5], 0 op_sel_hi:[0,1,0]
	v_mov_b32_e32 v0, v1
	v_pk_fma_f32 v[0:1], v[0:1], v[2:3], v[4:5] op_sel_hi:[0,1,1]
	v_add_u32_e32 v4, 24, v20
	v_lshlrev_b32_e32 v2, 1, v4
	v_and_b32_e32 v3, 15, v4
	;; [unrolled: 20-line block ×3, first 2 shown]
	v_and_or_b32 v5, v2, s4, v3
	v_mad_u32_u24 v2, v5, s5, v93
	ds_read2st64_b32 v[2:3], v2 offset1:17
	global_store_dwordx2 v7, v[0:1], s[2:3] offset:512
	v_mad_u32_u24 v0, v5, s5, 0
	ds_read2st64_b32 v[0:1], v0 offset0:1 offset1:18
	v_lshlrev_b32_e32 v7, 7, v4
	s_waitcnt lgkmcnt(1)
	v_cvt_f32_f16_e32 v4, v2
	v_cvt_f32_f16_sdwa v5, v2 dst_sel:DWORD dst_unused:UNUSED_PAD src0_sel:WORD_1
	v_cvt_f32_f16_e32 v2, v3
	v_cvt_f32_f16_sdwa v3, v3 dst_sel:DWORD dst_unused:UNUSED_PAD src0_sel:WORD_1
	v_add_lshl_u32 v7, v92, v7, 3
	s_waitcnt lgkmcnt(0)
	v_pk_fma_f32 v[4:5], v[0:1], v[4:5], 0 op_sel_hi:[0,1,0]
	v_mov_b32_e32 v0, v1
	v_pk_fma_f32 v[0:1], v[0:1], v[2:3], v[4:5] op_sel_hi:[0,1,1]
	v_add_u32_e32 v4, 32, v20
	v_lshlrev_b32_e32 v2, 1, v4
	v_and_or_b32 v5, v2, s4, v6
	v_mad_u32_u24 v2, v5, s5, v93
	ds_read2st64_b32 v[2:3], v2 offset1:17
	global_store_dwordx2 v7, v[0:1], s[2:3] offset:512
	v_mad_u32_u24 v0, v5, s5, 0
	ds_read2st64_b32 v[0:1], v0 offset0:1 offset1:18
	v_lshlrev_b32_e32 v7, 7, v4
	s_waitcnt lgkmcnt(1)
	v_cvt_f32_f16_e32 v4, v2
	v_cvt_f32_f16_sdwa v5, v2 dst_sel:DWORD dst_unused:UNUSED_PAD src0_sel:WORD_1
	v_cvt_f32_f16_e32 v2, v3
	v_cvt_f32_f16_sdwa v3, v3 dst_sel:DWORD dst_unused:UNUSED_PAD src0_sel:WORD_1
	v_add_lshl_u32 v7, v92, v7, 3
	s_waitcnt lgkmcnt(0)
	v_pk_fma_f32 v[4:5], v[0:1], v[4:5], 0 op_sel_hi:[0,1,0]
	v_mov_b32_e32 v0, v1
	v_pk_fma_f32 v[0:1], v[0:1], v[2:3], v[4:5] op_sel_hi:[0,1,1]
	v_add_u32_e32 v4, 36, v20
	v_lshlrev_b32_e32 v2, 1, v4
	v_and_b32_e32 v3, 15, v4
	v_and_or_b32 v5, v2, s4, v3
	v_mad_u32_u24 v2, v5, s5, v93
	ds_read2st64_b32 v[2:3], v2 offset1:17
	global_store_dwordx2 v7, v[0:1], s[2:3] offset:512
	v_mad_u32_u24 v0, v5, s5, 0
	ds_read2st64_b32 v[0:1], v0 offset0:1 offset1:18
	v_lshlrev_b32_e32 v7, 7, v4
	s_waitcnt lgkmcnt(1)
	v_cvt_f32_f16_e32 v4, v2
	v_cvt_f32_f16_sdwa v5, v2 dst_sel:DWORD dst_unused:UNUSED_PAD src0_sel:WORD_1
	v_cvt_f32_f16_e32 v2, v3
	v_cvt_f32_f16_sdwa v3, v3 dst_sel:DWORD dst_unused:UNUSED_PAD src0_sel:WORD_1
	v_add_lshl_u32 v7, v92, v7, 3
	s_waitcnt lgkmcnt(0)
	v_pk_fma_f32 v[4:5], v[0:1], v[4:5], 0 op_sel_hi:[0,1,0]
	v_mov_b32_e32 v0, v1
	v_pk_fma_f32 v[0:1], v[0:1], v[2:3], v[4:5] op_sel_hi:[0,1,1]
	v_add_u32_e32 v4, 40, v20
	v_lshlrev_b32_e32 v2, 1, v4
	v_and_b32_e32 v3, 15, v4
	;; [unrolled: 20-line block ×3, first 2 shown]
	v_and_or_b32 v5, v2, s4, v3
	v_mad_u32_u24 v2, v5, s5, v93
	ds_read2st64_b32 v[2:3], v2 offset1:17
	global_store_dwordx2 v7, v[0:1], s[2:3] offset:512
	v_mad_u32_u24 v0, v5, s5, 0
	ds_read2st64_b32 v[0:1], v0 offset0:1 offset1:18
	v_lshlrev_b32_e32 v7, 7, v4
	s_waitcnt lgkmcnt(1)
	v_cvt_f32_f16_e32 v4, v2
	v_cvt_f32_f16_sdwa v5, v2 dst_sel:DWORD dst_unused:UNUSED_PAD src0_sel:WORD_1
	v_cvt_f32_f16_e32 v2, v3
	v_cvt_f32_f16_sdwa v3, v3 dst_sel:DWORD dst_unused:UNUSED_PAD src0_sel:WORD_1
	v_add_lshl_u32 v7, v92, v7, 3
	s_waitcnt lgkmcnt(0)
	v_pk_fma_f32 v[4:5], v[0:1], v[4:5], 0 op_sel_hi:[0,1,0]
	v_mov_b32_e32 v0, v1
	v_pk_fma_f32 v[0:1], v[0:1], v[2:3], v[4:5] op_sel_hi:[0,1,1]
	v_add_u32_e32 v4, 48, v20
	v_lshlrev_b32_e32 v2, 1, v4
	v_and_or_b32 v5, v2, s4, v6
	v_mad_u32_u24 v2, v5, s5, v93
	ds_read2st64_b32 v[2:3], v2 offset1:17
	global_store_dwordx2 v7, v[0:1], s[2:3] offset:512
	v_mad_u32_u24 v0, v5, s5, 0
	ds_read2st64_b32 v[0:1], v0 offset0:1 offset1:18
	v_lshlrev_b32_e32 v6, 7, v4
	s_waitcnt lgkmcnt(1)
	v_cvt_f32_f16_e32 v4, v2
	v_cvt_f32_f16_sdwa v5, v2 dst_sel:DWORD dst_unused:UNUSED_PAD src0_sel:WORD_1
	v_cvt_f32_f16_e32 v2, v3
	v_cvt_f32_f16_sdwa v3, v3 dst_sel:DWORD dst_unused:UNUSED_PAD src0_sel:WORD_1
	v_add_lshl_u32 v6, v92, v6, 3
	s_waitcnt lgkmcnt(0)
	v_pk_fma_f32 v[4:5], v[0:1], v[4:5], 0 op_sel_hi:[0,1,0]
	v_mov_b32_e32 v0, v1
	v_pk_fma_f32 v[0:1], v[0:1], v[2:3], v[4:5] op_sel_hi:[0,1,1]
	v_add_u32_e32 v4, 52, v20
	v_lshlrev_b32_e32 v2, 1, v4
	v_and_b32_e32 v3, 15, v4
	v_and_or_b32 v5, v2, s4, v3
	v_mad_u32_u24 v2, v5, s5, v93
	ds_read2st64_b32 v[2:3], v2 offset1:17
	global_store_dwordx2 v6, v[0:1], s[2:3] offset:512
	v_mad_u32_u24 v0, v5, s5, 0
	ds_read2st64_b32 v[0:1], v0 offset0:1 offset1:18
	v_lshlrev_b32_e32 v6, 7, v4
	s_waitcnt lgkmcnt(1)
	v_cvt_f32_f16_e32 v4, v2
	v_cvt_f32_f16_sdwa v5, v2 dst_sel:DWORD dst_unused:UNUSED_PAD src0_sel:WORD_1
	v_cvt_f32_f16_e32 v2, v3
	v_cvt_f32_f16_sdwa v3, v3 dst_sel:DWORD dst_unused:UNUSED_PAD src0_sel:WORD_1
	v_add_lshl_u32 v6, v92, v6, 3
	s_waitcnt lgkmcnt(0)
	v_pk_fma_f32 v[4:5], v[0:1], v[4:5], 0 op_sel_hi:[0,1,0]
	v_mov_b32_e32 v0, v1
	v_pk_fma_f32 v[0:1], v[0:1], v[2:3], v[4:5] op_sel_hi:[0,1,1]
	v_add_u32_e32 v4, 56, v20
	v_lshlrev_b32_e32 v2, 1, v4
	v_and_b32_e32 v3, 15, v4
	;; [unrolled: 20-line block ×3, first 2 shown]
	v_and_or_b32 v5, v2, s4, v3
	v_mad_u32_u24 v2, v5, s5, v93
	ds_read2st64_b32 v[2:3], v2 offset1:17
	global_store_dwordx2 v6, v[0:1], s[2:3] offset:512
	v_mad_u32_u24 v0, v5, s5, 0
	ds_read2st64_b32 v[0:1], v0 offset0:1 offset1:18
	v_lshlrev_b32_e32 v6, 7, v4
	s_waitcnt lgkmcnt(1)
	v_cvt_f32_f16_e32 v4, v2
	v_cvt_f32_f16_sdwa v5, v2 dst_sel:DWORD dst_unused:UNUSED_PAD src0_sel:WORD_1
	v_cvt_f32_f16_e32 v2, v3
	v_cvt_f32_f16_sdwa v3, v3 dst_sel:DWORD dst_unused:UNUSED_PAD src0_sel:WORD_1
	v_add_lshl_u32 v6, v92, v6, 3
	s_waitcnt lgkmcnt(0)
	v_pk_fma_f32 v[4:5], v[0:1], v[4:5], 0 op_sel_hi:[0,1,0]
	v_mov_b32_e32 v0, v1
	v_pk_fma_f32 v[0:1], v[0:1], v[2:3], v[4:5] op_sel_hi:[0,1,1]
	global_store_dwordx2 v6, v[0:1], s[2:3] offset:512
.LBB31_490:
	s_or_b64 exec, exec, s[0:1]
	s_barrier
	s_endpgm
	.section	.rodata,"a",@progbits
	.p2align	6, 0x0
	.amdhsa_kernel _ZL18flash_attn_ext_f16ILi256ELi256ELi8ELi8ELb0ELb0EEvPKcS1_S1_S1_S1_PKiPfP15HIP_vector_typeIfLj2EEffffjfiS5_IjLj3EEiiiiiiiiiiiliiliiiiil
		.amdhsa_group_segment_fixed_size 0
		.amdhsa_private_segment_fixed_size 140
		.amdhsa_kernarg_size 464
		.amdhsa_user_sgpr_count 2
		.amdhsa_user_sgpr_dispatch_ptr 0
		.amdhsa_user_sgpr_queue_ptr 0
		.amdhsa_user_sgpr_kernarg_segment_ptr 1
		.amdhsa_user_sgpr_dispatch_id 0
		.amdhsa_user_sgpr_kernarg_preload_length 0
		.amdhsa_user_sgpr_kernarg_preload_offset 0
		.amdhsa_user_sgpr_private_segment_size 0
		.amdhsa_uses_dynamic_stack 0
		.amdhsa_enable_private_segment 1
		.amdhsa_system_sgpr_workgroup_id_x 1
		.amdhsa_system_sgpr_workgroup_id_y 0
		.amdhsa_system_sgpr_workgroup_id_z 0
		.amdhsa_system_sgpr_workgroup_info 0
		.amdhsa_system_vgpr_workitem_id 1
		.amdhsa_next_free_vgpr 256
		.amdhsa_next_free_sgpr 100
		.amdhsa_accum_offset 256
		.amdhsa_reserve_vcc 1
		.amdhsa_float_round_mode_32 0
		.amdhsa_float_round_mode_16_64 0
		.amdhsa_float_denorm_mode_32 3
		.amdhsa_float_denorm_mode_16_64 3
		.amdhsa_dx10_clamp 1
		.amdhsa_ieee_mode 1
		.amdhsa_fp16_overflow 0
		.amdhsa_tg_split 0
		.amdhsa_exception_fp_ieee_invalid_op 0
		.amdhsa_exception_fp_denorm_src 0
		.amdhsa_exception_fp_ieee_div_zero 0
		.amdhsa_exception_fp_ieee_overflow 0
		.amdhsa_exception_fp_ieee_underflow 0
		.amdhsa_exception_fp_ieee_inexact 0
		.amdhsa_exception_int_div_zero 0
	.end_amdhsa_kernel
	.section	.text._ZL18flash_attn_ext_f16ILi256ELi256ELi8ELi8ELb0ELb0EEvPKcS1_S1_S1_S1_PKiPfP15HIP_vector_typeIfLj2EEffffjfiS5_IjLj3EEiiiiiiiiiiiliiliiiiil,"axG",@progbits,_ZL18flash_attn_ext_f16ILi256ELi256ELi8ELi8ELb0ELb0EEvPKcS1_S1_S1_S1_PKiPfP15HIP_vector_typeIfLj2EEffffjfiS5_IjLj3EEiiiiiiiiiiiliiliiiiil,comdat
.Lfunc_end31:
	.size	_ZL18flash_attn_ext_f16ILi256ELi256ELi8ELi8ELb0ELb0EEvPKcS1_S1_S1_S1_PKiPfP15HIP_vector_typeIfLj2EEffffjfiS5_IjLj3EEiiiiiiiiiiiliiliiiiil, .Lfunc_end31-_ZL18flash_attn_ext_f16ILi256ELi256ELi8ELi8ELb0ELb0EEvPKcS1_S1_S1_S1_PKiPfP15HIP_vector_typeIfLj2EEffffjfiS5_IjLj3EEiiiiiiiiiiiliiliiiiil
                                        ; -- End function
	.set _ZL18flash_attn_ext_f16ILi256ELi256ELi8ELi8ELb0ELb0EEvPKcS1_S1_S1_S1_PKiPfP15HIP_vector_typeIfLj2EEffffjfiS5_IjLj3EEiiiiiiiiiiiliiliiiiil.num_vgpr, 256
	.set _ZL18flash_attn_ext_f16ILi256ELi256ELi8ELi8ELb0ELb0EEvPKcS1_S1_S1_S1_PKiPfP15HIP_vector_typeIfLj2EEffffjfiS5_IjLj3EEiiiiiiiiiiiliiliiiiil.num_agpr, 0
	.set _ZL18flash_attn_ext_f16ILi256ELi256ELi8ELi8ELb0ELb0EEvPKcS1_S1_S1_S1_PKiPfP15HIP_vector_typeIfLj2EEffffjfiS5_IjLj3EEiiiiiiiiiiiliiliiiiil.numbered_sgpr, 100
	.set _ZL18flash_attn_ext_f16ILi256ELi256ELi8ELi8ELb0ELb0EEvPKcS1_S1_S1_S1_PKiPfP15HIP_vector_typeIfLj2EEffffjfiS5_IjLj3EEiiiiiiiiiiiliiliiiiil.num_named_barrier, 0
	.set _ZL18flash_attn_ext_f16ILi256ELi256ELi8ELi8ELb0ELb0EEvPKcS1_S1_S1_S1_PKiPfP15HIP_vector_typeIfLj2EEffffjfiS5_IjLj3EEiiiiiiiiiiiliiliiiiil.private_seg_size, 140
	.set _ZL18flash_attn_ext_f16ILi256ELi256ELi8ELi8ELb0ELb0EEvPKcS1_S1_S1_S1_PKiPfP15HIP_vector_typeIfLj2EEffffjfiS5_IjLj3EEiiiiiiiiiiiliiliiiiil.uses_vcc, 1
	.set _ZL18flash_attn_ext_f16ILi256ELi256ELi8ELi8ELb0ELb0EEvPKcS1_S1_S1_S1_PKiPfP15HIP_vector_typeIfLj2EEffffjfiS5_IjLj3EEiiiiiiiiiiiliiliiiiil.uses_flat_scratch, 0
	.set _ZL18flash_attn_ext_f16ILi256ELi256ELi8ELi8ELb0ELb0EEvPKcS1_S1_S1_S1_PKiPfP15HIP_vector_typeIfLj2EEffffjfiS5_IjLj3EEiiiiiiiiiiiliiliiiiil.has_dyn_sized_stack, 0
	.set _ZL18flash_attn_ext_f16ILi256ELi256ELi8ELi8ELb0ELb0EEvPKcS1_S1_S1_S1_PKiPfP15HIP_vector_typeIfLj2EEffffjfiS5_IjLj3EEiiiiiiiiiiiliiliiiiil.has_recursion, 0
	.set _ZL18flash_attn_ext_f16ILi256ELi256ELi8ELi8ELb0ELb0EEvPKcS1_S1_S1_S1_PKiPfP15HIP_vector_typeIfLj2EEffffjfiS5_IjLj3EEiiiiiiiiiiiliiliiiiil.has_indirect_call, 0
	.section	.AMDGPU.csdata,"",@progbits
; Kernel info:
; codeLenInByte = 70344
; TotalNumSgprs: 106
; NumVgprs: 256
; NumAgprs: 0
; TotalNumVgprs: 256
; ScratchSize: 140
; MemoryBound: 0
; FloatMode: 240
; IeeeMode: 1
; LDSByteSize: 0 bytes/workgroup (compile time only)
; SGPRBlocks: 13
; VGPRBlocks: 31
; NumSGPRsForWavesPerEU: 106
; NumVGPRsForWavesPerEU: 256
; AccumOffset: 256
; Occupancy: 2
; WaveLimiterHint : 1
; COMPUTE_PGM_RSRC2:SCRATCH_EN: 1
; COMPUTE_PGM_RSRC2:USER_SGPR: 2
; COMPUTE_PGM_RSRC2:TRAP_HANDLER: 0
; COMPUTE_PGM_RSRC2:TGID_X_EN: 1
; COMPUTE_PGM_RSRC2:TGID_Y_EN: 0
; COMPUTE_PGM_RSRC2:TGID_Z_EN: 0
; COMPUTE_PGM_RSRC2:TIDIG_COMP_CNT: 1
; COMPUTE_PGM_RSRC3_GFX90A:ACCUM_OFFSET: 63
; COMPUTE_PGM_RSRC3_GFX90A:TG_SPLIT: 0
	.section	.text._ZL18flash_attn_ext_f16ILi256ELi256ELi8ELi8ELb1ELb0EEvPKcS1_S1_S1_S1_PKiPfP15HIP_vector_typeIfLj2EEffffjfiS5_IjLj3EEiiiiiiiiiiiliiliiiiil,"axG",@progbits,_ZL18flash_attn_ext_f16ILi256ELi256ELi8ELi8ELb1ELb0EEvPKcS1_S1_S1_S1_PKiPfP15HIP_vector_typeIfLj2EEffffjfiS5_IjLj3EEiiiiiiiiiiiliiliiiiil,comdat
	.globl	_ZL18flash_attn_ext_f16ILi256ELi256ELi8ELi8ELb1ELb0EEvPKcS1_S1_S1_S1_PKiPfP15HIP_vector_typeIfLj2EEffffjfiS5_IjLj3EEiiiiiiiiiiiliiliiiiil ; -- Begin function _ZL18flash_attn_ext_f16ILi256ELi256ELi8ELi8ELb1ELb0EEvPKcS1_S1_S1_S1_PKiPfP15HIP_vector_typeIfLj2EEffffjfiS5_IjLj3EEiiiiiiiiiiiliiliiiiil
	.p2align	8
	.type	_ZL18flash_attn_ext_f16ILi256ELi256ELi8ELi8ELb1ELb0EEvPKcS1_S1_S1_S1_PKiPfP15HIP_vector_typeIfLj2EEffffjfiS5_IjLj3EEiiiiiiiiiiiliiliiiiil,@function
_ZL18flash_attn_ext_f16ILi256ELi256ELi8ELi8ELb1ELb0EEvPKcS1_S1_S1_S1_PKiPfP15HIP_vector_typeIfLj2EEffffjfiS5_IjLj3EEiiiiiiiiiiiliiliiiiil: ; @_ZL18flash_attn_ext_f16ILi256ELi256ELi8ELi8ELb1ELb0EEvPKcS1_S1_S1_S1_PKiPfP15HIP_vector_typeIfLj2EEffffjfiS5_IjLj3EEiiiiiiiiiiiliiliiiiil
; %bb.0:
	s_load_dwordx2 s[4:5], s[0:1], 0x80
	s_load_dwordx4 s[36:39], s[0:1], 0x64
	s_load_dword s33, s[0:1], 0xd0
	s_mov_b32 s6, 0
	s_waitcnt lgkmcnt(0)
	s_abs_i32 s3, s5
	v_cvt_f32_u32_e32 v1, s3
	s_sub_i32 s9, 0, s3
	s_abs_i32 s8, s37
	s_xor_b32 s7, s37, s5
	v_rcp_iflag_f32_e32 v1, v1
	s_ashr_i32 s7, s7, 31
	v_mul_f32_e32 v1, 0x4f7ffffe, v1
	v_cvt_u32_f32_e32 v1, v1
	s_nop 0
	v_readfirstlane_b32 s10, v1
	s_mul_i32 s9, s9, s10
	s_mul_hi_u32 s9, s10, s9
	s_add_i32 s10, s10, s9
	s_mul_hi_u32 s9, s8, s10
	s_mul_i32 s10, s9, s3
	s_sub_i32 s8, s8, s10
	s_add_i32 s11, s9, 1
	s_sub_i32 s10, s8, s3
	s_cmp_ge_u32 s8, s3
	s_cselect_b32 s9, s11, s9
	s_cselect_b32 s8, s10, s8
	s_add_i32 s10, s9, 1
	s_cmp_ge_u32 s8, s3
	s_cselect_b32 s3, s10, s9
	s_add_i32 s4, s4, 63
	s_xor_b32 s3, s3, s7
	s_ashr_i32 s8, s4, 31
	s_sub_i32 s80, s3, s7
	s_lshr_b32 s3, s8, 26
	s_add_i32 s4, s4, s3
	s_add_i32 s3, s36, 7
	s_lshr_b32 s81, s3, 3
	s_add_i32 s3, s80, 7
	s_ashr_i32 s85, s4, 6
	s_ashr_i32 s4, s3, 31
	s_lshr_b32 s4, s4, 29
	s_add_i32 s3, s3, s4
	s_ashr_i32 s3, s3, 3
	s_mul_i32 s82, s81, s85
	s_mul_i32 s83, s82, s3
	;; [unrolled: 1-line block ×4, first 2 shown]
	s_ashr_i32 s10, s3, 31
	s_mul_i32 s4, s10, s2
	s_mul_hi_u32 s5, s3, s2
	s_add_i32 s7, s5, s4
	s_add_u32 s66, s0, 0xd0
	s_addc_u32 s67, s1, 0
	s_cmp_lg_u64 s[6:7], 0
	s_mul_i32 s6, s3, s2
	s_cbranch_scc0 .LBB32_631
; %bb.1:
	s_add_u32 s4, s33, 0
	s_addc_u32 s5, 0, 0
	s_xor_b64 s[8:9], s[4:5], 0
	v_cvt_f32_u32_e32 v1, s8
	v_cvt_f32_u32_e32 v2, s9
	s_sub_u32 s11, 0, s8
	s_subb_u32 s14, 0, s9
	v_fmamk_f32 v1, v2, 0x4f800000, v1
	v_rcp_f32_e32 v1, v1
	s_nop 0
	v_mul_f32_e32 v1, 0x5f7ffffc, v1
	v_mul_f32_e32 v2, 0x2f800000, v1
	v_trunc_f32_e32 v2, v2
	v_fmamk_f32 v1, v2, 0xcf800000, v1
	v_cvt_u32_f32_e32 v2, v2
	v_cvt_u32_f32_e32 v1, v1
	v_readfirstlane_b32 s15, v2
	v_readfirstlane_b32 s12, v1
	s_mul_i32 s13, s11, s15
	s_mul_hi_u32 s17, s11, s12
	s_mul_i32 s16, s14, s12
	s_add_i32 s13, s17, s13
	s_add_i32 s13, s13, s16
	s_mul_i32 s18, s11, s12
	s_mul_i32 s17, s12, s13
	s_mul_hi_u32 s19, s12, s18
	s_mul_hi_u32 s16, s12, s13
	s_add_u32 s17, s19, s17
	s_addc_u32 s16, 0, s16
	s_mul_hi_u32 s20, s15, s18
	s_mul_i32 s18, s15, s18
	s_add_u32 s17, s17, s18
	s_mul_hi_u32 s19, s15, s13
	s_addc_u32 s16, s16, s20
	s_addc_u32 s17, s19, 0
	s_mul_i32 s13, s15, s13
	s_add_u32 s13, s16, s13
	s_addc_u32 s16, 0, s17
	s_add_u32 s17, s12, s13
	s_cselect_b64 s[12:13], -1, 0
	s_cmp_lg_u64 s[12:13], 0
	s_addc_u32 s15, s15, s16
	s_mul_i32 s12, s11, s15
	s_mul_hi_u32 s13, s11, s17
	s_add_i32 s12, s13, s12
	s_mul_i32 s14, s14, s17
	s_add_i32 s12, s12, s14
	s_mul_i32 s11, s11, s17
	s_mul_hi_u32 s14, s15, s11
	s_mul_i32 s16, s15, s11
	s_mul_i32 s19, s17, s12
	s_mul_hi_u32 s11, s17, s11
	s_mul_hi_u32 s18, s17, s12
	s_add_u32 s11, s11, s19
	s_addc_u32 s18, 0, s18
	s_add_u32 s11, s11, s16
	s_mul_hi_u32 s13, s15, s12
	s_addc_u32 s11, s18, s14
	s_addc_u32 s13, s13, 0
	s_mul_i32 s12, s15, s12
	s_add_u32 s11, s11, s12
	s_addc_u32 s14, 0, s13
	s_add_u32 s11, s17, s11
	s_cselect_b64 s[12:13], -1, 0
	s_cmp_lg_u64 s[12:13], 0
	s_addc_u32 s16, s15, s14
	s_ashr_i32 s12, s7, 31
	s_add_u32 s14, s6, s12
	s_mov_b32 s13, s12
	s_addc_u32 s15, s7, s12
	s_xor_b64 s[14:15], s[14:15], s[12:13]
	s_mul_i32 s17, s14, s16
	s_mul_hi_u32 s18, s14, s11
	s_mul_hi_u32 s7, s14, s16
	s_add_u32 s17, s18, s17
	s_addc_u32 s7, 0, s7
	s_mul_hi_u32 s19, s15, s11
	s_mul_i32 s11, s15, s11
	s_add_u32 s11, s17, s11
	s_mul_hi_u32 s18, s15, s16
	s_addc_u32 s7, s7, s19
	s_addc_u32 s11, s18, 0
	s_mul_i32 s16, s15, s16
	s_add_u32 s7, s7, s16
	s_addc_u32 s11, 0, s11
	s_mul_i32 s16, s8, s11
	s_mul_hi_u32 s17, s8, s7
	s_add_i32 s16, s17, s16
	s_mul_i32 s17, s9, s7
	s_add_i32 s20, s16, s17
	s_sub_i32 s18, s15, s20
	s_mul_i32 s16, s8, s7
	s_sub_u32 s14, s14, s16
	s_cselect_b64 s[16:17], -1, 0
	s_cmp_lg_u64 s[16:17], 0
	s_subb_u32 s21, s18, s9
	s_sub_u32 s22, s14, s8
	s_cselect_b64 s[18:19], -1, 0
	s_cmp_lg_u64 s[18:19], 0
	s_subb_u32 s18, s21, 0
	s_cmp_ge_u32 s18, s9
	s_cselect_b32 s19, -1, 0
	s_cmp_ge_u32 s22, s8
	s_cselect_b32 s21, -1, 0
	s_cmp_eq_u32 s18, s9
	s_cselect_b32 s18, s21, s19
	s_add_u32 s19, s7, 1
	s_addc_u32 s21, s11, 0
	s_add_u32 s22, s7, 2
	s_addc_u32 s23, s11, 0
	s_cmp_lg_u32 s18, 0
	s_cselect_b32 s18, s22, s19
	s_cselect_b32 s19, s23, s21
	s_cmp_lg_u64 s[16:17], 0
	s_subb_u32 s15, s15, s20
	s_cmp_ge_u32 s15, s9
	s_cselect_b32 s16, -1, 0
	s_cmp_ge_u32 s14, s8
	s_cselect_b32 s8, -1, 0
	s_cmp_eq_u32 s15, s9
	s_cselect_b32 s8, s8, s16
	s_cmp_lg_u32 s8, 0
	s_cselect_b32 s9, s19, s11
	s_cselect_b32 s8, s18, s7
	s_xor_b64 s[12:13], s[12:13], 0
	s_xor_b64 s[8:9], s[8:9], s[12:13]
	s_sub_u32 s58, s8, s12
	s_load_dwordx2 s[56:57], s[0:1], 0x74
	v_cvt_f32_u32_e32 v1, s33
	s_cbranch_execnz .LBB32_3
.LBB32_2:
	v_rcp_iflag_f32_e32 v2, v1
	s_sub_i32 s4, 0, s33
	v_mul_f32_e32 v2, 0x4f7ffffe, v2
	v_cvt_u32_f32_e32 v2, v2
	s_nop 0
	v_readfirstlane_b32 s5, v2
	s_mul_i32 s4, s4, s5
	s_mul_hi_u32 s4, s5, s4
	s_add_i32 s5, s5, s4
	s_mul_hi_u32 s4, s6, s5
	s_mul_i32 s7, s4, s33
	s_sub_i32 s6, s6, s7
	s_add_i32 s5, s4, 1
	s_sub_i32 s7, s6, s33
	s_cmp_ge_u32 s6, s33
	s_cselect_b32 s4, s5, s4
	s_cselect_b32 s6, s7, s6
	s_add_i32 s5, s4, 1
	s_cmp_ge_u32 s6, s33
	s_cselect_b32 s58, s5, s4
.LBB32_3:
	s_add_i32 s4, s2, 1
	s_mul_i32 s5, s10, s4
	s_mul_hi_u32 s6, s3, s4
	s_add_i32 s9, s6, s5
	s_mov_b32 s8, 0
	s_cmp_lg_u64 s[8:9], 0
	s_mul_i32 s3, s3, s4
	s_cbranch_scc0 .LBB32_632
; %bb.4:
	s_add_u32 s4, s33, 0
	s_addc_u32 s5, 0, 0
	s_xor_b64 s[6:7], s[4:5], 0
	v_cvt_f32_u32_e32 v2, s6
	v_cvt_f32_u32_e32 v3, s7
	s_sub_u32 s8, 0, s6
	s_subb_u32 s12, 0, s7
	v_fmamk_f32 v2, v3, 0x4f800000, v2
	v_rcp_f32_e32 v2, v2
	s_nop 0
	v_mul_f32_e32 v2, 0x5f7ffffc, v2
	v_mul_f32_e32 v3, 0x2f800000, v2
	v_trunc_f32_e32 v3, v3
	v_fmamk_f32 v2, v3, 0xcf800000, v2
	v_cvt_u32_f32_e32 v3, v3
	v_cvt_u32_f32_e32 v2, v2
	v_readfirstlane_b32 s13, v3
	v_readfirstlane_b32 s10, v2
	s_mul_i32 s11, s8, s13
	s_mul_hi_u32 s15, s8, s10
	s_mul_i32 s14, s12, s10
	s_add_i32 s11, s15, s11
	s_add_i32 s11, s11, s14
	s_mul_i32 s16, s8, s10
	s_mul_i32 s15, s10, s11
	s_mul_hi_u32 s17, s10, s16
	s_mul_hi_u32 s14, s10, s11
	s_add_u32 s15, s17, s15
	s_addc_u32 s14, 0, s14
	s_mul_hi_u32 s18, s13, s16
	s_mul_i32 s16, s13, s16
	s_add_u32 s15, s15, s16
	s_mul_hi_u32 s17, s13, s11
	s_addc_u32 s14, s14, s18
	s_addc_u32 s15, s17, 0
	s_mul_i32 s11, s13, s11
	s_add_u32 s11, s14, s11
	s_addc_u32 s14, 0, s15
	s_add_u32 s15, s10, s11
	s_cselect_b64 s[10:11], -1, 0
	s_cmp_lg_u64 s[10:11], 0
	s_addc_u32 s13, s13, s14
	s_mul_i32 s10, s8, s13
	s_mul_hi_u32 s11, s8, s15
	s_add_i32 s10, s11, s10
	s_mul_i32 s12, s12, s15
	s_add_i32 s10, s10, s12
	s_mul_i32 s8, s8, s15
	s_mul_hi_u32 s12, s13, s8
	s_mul_i32 s14, s13, s8
	s_mul_i32 s17, s15, s10
	s_mul_hi_u32 s8, s15, s8
	s_mul_hi_u32 s16, s15, s10
	s_add_u32 s8, s8, s17
	s_addc_u32 s16, 0, s16
	s_add_u32 s8, s8, s14
	s_mul_hi_u32 s11, s13, s10
	s_addc_u32 s8, s16, s12
	s_addc_u32 s11, s11, 0
	s_mul_i32 s10, s13, s10
	s_add_u32 s8, s8, s10
	s_addc_u32 s12, 0, s11
	s_add_u32 s14, s15, s8
	s_cselect_b64 s[10:11], -1, 0
	s_cmp_lg_u64 s[10:11], 0
	s_addc_u32 s12, s13, s12
	s_ashr_i32 s10, s9, 31
	s_add_u32 s8, s3, s10
	s_mov_b32 s11, s10
	s_addc_u32 s9, s9, s10
	s_xor_b64 s[8:9], s[8:9], s[10:11]
	s_mul_i32 s15, s8, s12
	s_mul_hi_u32 s16, s8, s14
	s_mul_hi_u32 s13, s8, s12
	s_add_u32 s15, s16, s15
	s_addc_u32 s13, 0, s13
	s_mul_hi_u32 s17, s9, s14
	s_mul_i32 s14, s9, s14
	s_add_u32 s14, s15, s14
	s_mul_hi_u32 s16, s9, s12
	s_addc_u32 s13, s13, s17
	s_addc_u32 s14, s16, 0
	s_mul_i32 s12, s9, s12
	s_add_u32 s16, s13, s12
	s_addc_u32 s17, 0, s14
	s_mul_i32 s12, s6, s17
	s_mul_hi_u32 s13, s6, s16
	s_add_i32 s12, s13, s12
	s_mul_i32 s13, s7, s16
	s_add_i32 s18, s12, s13
	s_sub_i32 s14, s9, s18
	s_mul_i32 s12, s6, s16
	s_sub_u32 s8, s8, s12
	s_cselect_b64 s[12:13], -1, 0
	s_cmp_lg_u64 s[12:13], 0
	s_subb_u32 s19, s14, s7
	s_sub_u32 s20, s8, s6
	s_cselect_b64 s[14:15], -1, 0
	s_cmp_lg_u64 s[14:15], 0
	s_subb_u32 s14, s19, 0
	s_cmp_ge_u32 s14, s7
	s_cselect_b32 s15, -1, 0
	s_cmp_ge_u32 s20, s6
	s_cselect_b32 s19, -1, 0
	s_cmp_eq_u32 s14, s7
	s_cselect_b32 s14, s19, s15
	s_add_u32 s15, s16, 1
	s_addc_u32 s19, s17, 0
	s_add_u32 s20, s16, 2
	s_addc_u32 s21, s17, 0
	s_cmp_lg_u32 s14, 0
	s_cselect_b32 s14, s20, s15
	s_cselect_b32 s15, s21, s19
	s_cmp_lg_u64 s[12:13], 0
	s_subb_u32 s9, s9, s18
	s_cmp_ge_u32 s9, s7
	s_cselect_b32 s12, -1, 0
	s_cmp_ge_u32 s8, s6
	s_cselect_b32 s6, -1, 0
	s_cmp_eq_u32 s9, s7
	s_cselect_b32 s6, s6, s12
	s_cmp_lg_u32 s6, 0
	s_cselect_b32 s7, s15, s17
	s_cselect_b32 s6, s14, s16
	s_xor_b64 s[8:9], s[10:11], 0
	s_xor_b64 s[6:7], s[6:7], s[8:9]
	s_sub_u32 s62, s6, s8
	s_load_dwordx2 s[44:45], s[0:1], 0x5c
	s_cbranch_execnz .LBB32_6
.LBB32_5:
	v_rcp_iflag_f32_e32 v1, v1
	s_sub_i32 s4, 0, s33
	v_mul_f32_e32 v1, 0x4f7ffffe, v1
	v_cvt_u32_f32_e32 v1, v1
	s_nop 0
	v_readfirstlane_b32 s5, v1
	s_mul_i32 s4, s4, s5
	s_mul_hi_u32 s4, s5, s4
	s_add_i32 s5, s5, s4
	s_mul_hi_u32 s4, s3, s5
	s_mul_i32 s6, s4, s33
	s_sub_i32 s3, s3, s6
	s_add_i32 s5, s4, 1
	s_sub_i32 s6, s3, s33
	s_cmp_ge_u32 s3, s33
	s_cselect_b32 s4, s5, s4
	s_cselect_b32 s3, s6, s3
	s_add_i32 s5, s4, 1
	s_cmp_ge_u32 s3, s33
	s_cselect_b32 s62, s5, s4
.LBB32_6:
	s_abs_i32 s86, s85
	v_cvt_f32_u32_e32 v1, s86
	s_load_dwordx16 s[16:31], s[0:1], 0x0
	s_load_dword s6, s[0:1], 0x40
	s_load_dword s3, s[0:1], 0x54
	s_load_dwordx2 s[54:55], s[0:1], 0x8c
	s_load_dwordx4 s[40:43], s[0:1], 0x98
	s_load_dwordx2 s[50:51], s[0:1], 0xa8
	s_load_dwordx2 s[60:61], s[0:1], 0xb8
	;; [unrolled: 1-line block ×3, first 2 shown]
	s_waitcnt lgkmcnt(0)
	s_ashr_i32 s46, s54, 2
	s_sub_i32 s4, 0, s86
	v_rcp_iflag_f32_e32 v1, v1
	s_abs_i32 s1, s58
	s_ashr_i32 s59, s39, 3
	s_ashr_i32 s63, s56, 3
	v_mul_f32_e32 v1, 0x4f7ffffe, v1
	v_cvt_u32_f32_e32 v1, v1
	s_ashr_i32 s48, s61, 1
	s_ashr_i32 s38, s42, 2
	;; [unrolled: 1-line block ×3, first 2 shown]
	v_readfirstlane_b32 s54, v1
	s_mul_i32 s4, s4, s54
	s_mul_hi_u32 s4, s54, s4
	s_add_i32 s54, s54, s4
	s_mul_hi_u32 s4, s1, s54
	s_mul_i32 s4, s4, s86
	s_sub_i32 s1, s1, s4
	s_ashr_i32 s42, s85, 31
	s_sub_i32 s4, s1, s86
	s_cmp_ge_u32 s1, s86
	s_cselect_b32 s1, s4, s1
	s_sub_i32 s4, s1, s86
	s_cmp_ge_u32 s1, s86
	s_cselect_b32 s1, s4, s1
	s_xor_b32 s1, s1, s0
	s_sub_i32 s35, s1, s0
	s_sub_i32 s0, s62, s58
	s_add_i32 s4, s0, s35
	s_min_i32 s34, s85, s4
	s_cmp_gt_i32 s62, s58
	s_cselect_b64 s[10:11], -1, 0
	s_cmp_le_i32 s62, s58
	s_cselect_b64 s[0:1], -1, 0
	s_cmp_gt_i32 s85, s4
	v_cvt_f16_f32_e32 v137, s6
	s_cselect_b64 s[4:5], -1, 0
	s_or_b64 s[0:1], s[4:5], s[0:1]
	v_bfe_u32 v95, v0, 10, 10
	s_mov_b32 s65, 0
	s_and_b64 vcc, exec, s[0:1]
	v_bfe_u32 v123, v0, 10, 3
	v_lshlrev_b32_e32 v121, 3, v95
	v_lshlrev_b32_e32 v101, 4, v95
	v_lshrrev_b32_e32 v141, 10, v0
	v_add_u32_e32 v135, 8, v95
	v_add_u32_e32 v133, 16, v95
	;; [unrolled: 1-line block ×7, first 2 shown]
	s_cbranch_vccz .LBB32_9
; %bb.7:
	s_andn2_b64 vcc, exec, s[10:11]
	s_cbranch_vccz .LBB32_560
.LBB32_8:
	s_endpgm
.LBB32_9:
	v_and_b32_e32 v94, 0x3ff, v0
	v_lshlrev_b32_e32 v2, 2, v94
	v_bfe_u32 v7, v0, 5, 5
	v_and_b32_e32 v4, 15, v0
	v_lshrrev_b32_e32 v6, 1, v0
	v_lshl_add_u32 v196, v95, 1, v7
	s_movk_i32 s4, 0x90
	v_and_b32_e32 v96, 0x7c, v2
	v_add_u32_e32 v194, 0, v2
	v_mul_u32_u24_e32 v5, 0x210, v4
	v_and_b32_e32 v6, 0xf8, v6
	v_mad_u32_u24 v7, v196, s4, 0
	v_mul_u32_u24_e32 v9, 0x180, v196
	v_lshlrev_b32_e32 v2, 2, v96
	v_and_b32_e32 v3, 0xff0, v121
	s_movk_i32 s15, 0x210
	v_add3_u32 v5, 0, v5, v6
	v_add3_u32 v197, v7, v9, v2
	v_and_b32_e32 v2, 16, v101
	v_mad_u32_u24 v195, v3, s15, v5
	v_mad_u32_u24 v198, v2, s15, v5
	v_bfe_u32 v5, v0, 2, 8
	v_and_b32_e32 v9, 0x7c, v5
	v_and_or_b32 v3, v0, 8, v3
	v_add_u32_e32 v10, v9, v2
	v_lshrrev_b32_e32 v3, 3, v3
	v_add_u16_e32 v2, v9, v2
	v_mad_u32_u24 v3, v3, s4, 0
	v_lshrrev_b16_e32 v2, 1, v2
	v_lshl_add_u32 v199, v2, 2, v3
	v_lshl_add_u32 v2, v10, 1, v3
	v_and_b32_e32 v3, 8, v121
	v_or_b32_e32 v5, 3, v5
	s_movk_i32 s4, 0x420
	v_mul_u32_u24_e32 v9, 0x210, v9
	v_mul_u32_u24_e32 v5, 0x210, v5
	v_mad_u32_u24 v3, v3, s4, 0
	v_lshlrev_b32_e32 v10, 1, v4
	v_add3_u32 v200, v3, v9, v10
	v_add3_u32 v201, v3, v5, v10
	v_bfe_u32 v3, v0, 10, 1
	v_cmp_eq_u32_e64 s[12:13], 0, v3
	v_and_b32_e32 v3, 0x400, v0
                                        ; implicit-def: $vgpr255 : SGPR spill to VGPR lane
	v_cmp_ne_u32_e64 s[4:5], 0, v3
	v_or_b32_e32 v3, v101, v4
	v_writelane_b32 v255, s66, 0
	s_cmp_eq_u64 s[24:25], 0
	v_mul_u32_u24_e32 v3, 0x110, v3
	v_writelane_b32 v255, s67, 1
	s_cselect_b64 s[66:67], -1, 0
	s_cmp_lg_u64 s[26:27], 0
	v_add3_u32 v202, 0, v3, v6
	v_bfe_u32 v3, v141, 1, 9
	s_cselect_b64 s[68:69], -1, 0
	s_lshl_b32 s64, s2, 6
	v_add_u32_e32 v4, 4, v3
	s_lshl_b64 s[8:9], s[64:65], 3
	v_lshlrev_b32_e32 v5, 1, v4
	v_and_b32_e32 v6, 15, v4
	s_movk_i32 s64, 0x3e0
	v_and_or_b32 v5, v5, s64, v6
	v_add_u32_e32 v6, 8, v3
	v_lshlrev_b32_e32 v9, 1, v6
	v_and_b32_e32 v10, 15, v6
	v_and_or_b32 v9, v9, s64, v10
	v_add_u32_e32 v10, 12, v3
	v_lshlrev_b32_e32 v11, 1, v10
	v_and_b32_e32 v12, 15, v10
	;; [unrolled: 4-line block ×3, first 2 shown]
	v_and_or_b32 v13, v13, s64, v14
	v_add_u32_e32 v14, 24, v3
	s_ashr_i32 s49, s48, 31
	s_ashr_i32 s47, s46, 31
	s_lshl_b32 s6, s46, 4
	s_ashr_i32 s39, s38, 31
	s_lshl_b32 s7, s38, 4
	v_lshlrev_b32_e32 v15, 1, v14
	v_and_b32_e32 v16, 15, v14
	s_add_u32 s10, s30, s8
	v_and_or_b32 v15, v15, s64, v16
	v_add_u32_e32 v16, 28, v3
	s_addc_u32 s11, s31, s9
	v_lshlrev_b32_e32 v17, 1, v16
	v_and_b32_e32 v18, 15, v16
	s_abs_i32 s61, s84
	v_and_or_b32 v17, v17, s64, v18
	v_add_u32_e32 v18, 36, v3
	v_cvt_f32_u32_e32 v29, s61
	v_lshlrev_b32_e32 v19, 1, v18
	v_and_b32_e32 v20, 15, v18
	v_and_or_b32 v19, v19, s64, v20
	v_add_u32_e32 v20, 40, v3
	v_lshlrev_b32_e32 v21, 1, v20
	v_and_b32_e32 v22, 15, v20
	v_and_or_b32 v21, v21, s64, v22
	v_add_u32_e32 v22, 44, v3
	v_rcp_iflag_f32_e32 v29, v29
	v_lshlrev_b32_e32 v23, 1, v22
	v_and_b32_e32 v24, 15, v22
	v_and_or_b32 v23, v23, s64, v24
	v_add_u32_e32 v24, 52, v3
	v_lshlrev_b32_e32 v25, 1, v24
	v_and_b32_e32 v26, 15, v24
	s_abs_i32 s87, s83
	v_and_or_b32 v25, v25, s64, v26
	v_add_u32_e32 v26, 56, v3
	v_cvt_f32_u32_e32 v32, s87
	v_mul_f32_e32 v29, 0x4f7ffffe, v29
	v_lshlrev_b32_e32 v27, 1, v26
	v_and_b32_e32 v28, 15, v26
	v_cvt_u32_f32_e32 v29, v29
	v_and_or_b32 v27, v27, s64, v28
	v_add_u32_e32 v28, 60, v3
	s_abs_i32 s88, s82
	v_lshlrev_b32_e32 v30, 1, v28
	v_and_b32_e32 v31, 15, v28
	v_cvt_f32_u32_e32 v33, s88
	v_and_or_b32 v30, v30, s64, v31
	v_rcp_iflag_f32_e32 v31, v32
	s_sub_i32 s8, 0, s61
	v_mul_lo_u32 v32, s8, v29
	v_mul_hi_u32 v32, v29, v32
	s_abs_i32 s89, s60
	v_add_u32_e32 v203, v29, v32
	v_rcp_iflag_f32_e32 v32, v33
	v_cvt_f32_u32_e32 v33, s89
	v_mul_f32_e32 v31, 0x4f7ffffe, v31
	v_cvt_u32_f32_e32 v31, v31
	s_sub_i32 s8, 0, s87
	v_rcp_iflag_f32_e32 v33, v33
	v_lshlrev_b32_e32 v8, 1, v94
	v_mul_lo_u32 v29, s8, v31
	v_mul_hi_u32 v29, v31, v29
	v_add_u32_e32 v204, v31, v29
	v_mul_f32_e32 v31, 0x4f7ffffe, v33
	v_cvt_u32_f32_e32 v31, v31
	v_add_u32_e32 v207, 64, v2
	v_add_u32_e32 v208, 0x44, v2
	;; [unrolled: 1-line block ×3, first 2 shown]
	v_and_b32_e32 v100, 62, v8
	v_mul_u32_u24_e32 v209, 0x110, v2
	v_and_b32_e32 v2, 31, v0
	v_readfirstlane_b32 s70, v31
	v_lshl_add_u32 v206, v100, 1, v7
	v_add_u32_e32 v7, v101, v2
	v_add_u32_e32 v8, 16, v3
	;; [unrolled: 1-line block ×4, first 2 shown]
	v_mul_u32_u24_e32 v210, 0x110, v7
	v_bfe_u32 v7, v95, 1, 4
	v_lshlrev_b32_e32 v33, 1, v3
	v_mul_f32_e32 v32, 0x4f7ffffe, v32
	v_and_or_b32 v33, v33, s64, v7
	v_lshrrev_b32_e32 v3, 3, v3
	v_cvt_u32_f32_e32 v32, v32
	scratch_store_dword off, v3, off offset:72 ; 4-byte Folded Spill
	v_mul_u32_u24_e32 v3, 0x110, v33
	scratch_store_dword off, v3, off offset:84 ; 4-byte Folded Spill
	v_mul_u32_u24_e32 v3, 0x110, v25
	v_lshlrev_b32_e32 v118, 4, v2
                                        ; implicit-def: $vgpr2
                                        ; implicit-def: $vgpr2
	;; [unrolled: 1-line block ×3, first 2 shown]
	scratch_store_dword off, v3, off offset:92 ; 4-byte Folded Spill
	v_lshrrev_b32_e32 v3, 3, v26
	v_mbcnt_lo_u32_b32 v2, -1, 0
	s_sub_i32 s8, 0, s88
	scratch_store_dword off, v3, off offset:96 ; 4-byte Folded Spill
	v_mul_u32_u24_e32 v3, 0x110, v27
	v_mbcnt_hi_u32_b32 v234, -1, v2
	v_lshrrev_b32_e32 v2, 3, v16
	v_mul_lo_u32 v29, s8, v32
	v_mul_u32_u24_e32 v212, 0x110, v5
	v_lshrrev_b32_e32 v5, 3, v14
	scratch_store_dword off, v3, off offset:108 ; 4-byte Folded Spill
	v_mul_u32_u24_e32 v3, 0x110, v30
	scratch_store_dword off, v2, off offset:16 ; 4-byte Folded Spill
	v_and_b32_e32 v2, 7, v16
	v_mul_hi_u32 v29, v32, v29
	scratch_store_dword off, v5, off        ; 4-byte Folded Spill
	v_mul_u32_u24_e32 v5, 0x110, v15
	scratch_store_dwordx2 off, v[2:3], off offset:4 ; 8-byte Folded Spill
	v_lshrrev_b32_e32 v2, 3, v18
	v_add_u32_e32 v205, v32, v29
	v_or_b32_e32 v29, v121, v94
	v_lshlrev_b32_e32 v32, 1, v31
	scratch_store_dword off, v5, off offset:12 ; 4-byte Folded Spill
	v_mul_u32_u24_e32 v5, 0x110, v17
	scratch_store_dword off, v2, off offset:40 ; 4-byte Folded Spill
	v_and_b32_e32 v2, 7, v18
	v_lshlrev_b32_e32 v98, 3, v29
	v_mul_lo_u32 v102, s46, v196
	v_mul_lo_u32 v110, s38, v196
	v_lshlrev_b32_e32 v29, 1, v8
	v_and_or_b32 v32, v32, s64, v7
	scratch_store_dword off, v5, off offset:20 ; 4-byte Folded Spill
	v_lshrrev_b32_e32 v5, 3, v31
	scratch_store_dwordx2 off, v[2:3], off offset:28 ; 8-byte Folded Spill
	v_lshrrev_b32_e32 v2, 3, v22
	v_add_u32_e32 v104, s6, v102
	v_add_u32_e32 v112, s7, v110
	v_and_or_b32 v29, v29, s64, v7
	scratch_store_dword off, v5, off offset:24 ; 4-byte Folded Spill
	v_mul_u32_u24_e32 v5, 0x110, v32
	s_sub_i32 s64, 0, s89
	scratch_store_dword off, v2, off offset:64 ; 4-byte Folded Spill
	v_and_b32_e32 v2, 7, v22
	v_add_u32_e32 v106, s6, v104
	v_add_u32_e32 v114, s7, v112
	scratch_store_dword off, v5, off offset:36 ; 4-byte Folded Spill
	v_mul_u32_u24_e32 v5, 0x110, v19
	s_mul_i32 s64, s64, s70
	scratch_store_dwordx2 off, v[2:3], off offset:52 ; 8-byte Folded Spill
	v_lshrrev_b32_e32 v2, 3, v24
	v_mov_b32_e32 v99, 0
	v_add_u32_e32 v108, s6, v106
	v_add_u32_e32 v116, s7, v114
	s_movk_i32 s71, 0x1e0
	scratch_store_dword off, v5, off offset:44 ; 4-byte Folded Spill
	v_lshrrev_b32_e32 v5, 3, v20
	s_mul_hi_u32 s64, s70, s64
	scratch_store_dword off, v2, off offset:88 ; 4-byte Folded Spill
	v_and_b32_e32 v2, 7, v24
	s_mov_b32 s14, 0x10001
	v_mov_b32_e32 v97, v99
	v_ashrrev_i32_e32 v103, 31, v102
	v_ashrrev_i32_e32 v105, 31, v104
	;; [unrolled: 1-line block ×8, first 2 shown]
	v_and_or_b32 v7, v141, s71, v7
	scratch_store_dword off, v5, off offset:48 ; 4-byte Folded Spill
	v_mul_u32_u24_e32 v5, 0x110, v21
	s_add_i32 s93, s70, s64
	s_lshl_b64 s[70:71], s[48:49], 1
	v_mad_u32_u24 v241, v95, s15, v194
	scratch_store_dwordx2 off, v[2:3], off offset:76 ; 8-byte Folded Spill
	v_lshrrev_b32_e32 v2, 3, v28
	v_cmp_gt_u32_e64 s[0:1], 8, v196
	v_cmp_gt_u32_e64 s[6:7], 16, v94
	;; [unrolled: 1-line block ×3, first 2 shown]
	v_mul_u32_u24_e32 v211, 0x110, v7
	v_lshrrev_b32_e32 v213, 3, v6
	v_mul_u32_u24_e32 v214, 0x110, v9
	v_mul_u32_u24_e32 v215, 0x110, v11
	v_lshrrev_b32_e32 v216, 3, v8
	v_mul_u32_u24_e32 v217, 0x110, v29
	v_mul_u32_u24_e32 v126, 0x110, v13
	scratch_store_dword off, v5, off offset:60 ; 4-byte Folded Spill
	v_mul_u32_u24_e32 v5, 0x110, v23
	s_ashr_i32 s90, s84, 31
	s_ashr_i32 s91, s83, 31
	;; [unrolled: 1-line block ×3, first 2 shown]
	v_mov_b32_e32 v119, v99
	s_lshl_b64 s[72:73], s[38:39], 8
	s_lshl_b64 s[74:75], s[46:47], 8
	s_mov_b32 s49, 0x3f200000
	s_mov_b32 s71, 0x3fb8aa3b
	;; [unrolled: 1-line block ×4, first 2 shown]
	s_brev_b32 s96, -2
	s_mov_b32 s97, 0xc1a00000
	s_mov_b32 s98, 0x5040100
	s_movk_i32 s99, 0x47
	v_mul_lo_u32 v235, v137, s14
	v_add_u32_e32 v236, 0x2100, v197
	v_add_u32_e32 v237, 0x4200, v197
	;; [unrolled: 1-line block ×4, first 2 shown]
	v_mul_u32_u24_e32 v240, 0x210, v95
	v_lshrrev_b32_e32 v242, 3, v135
	v_add_u32_e32 v243, 0x1080, v241
	v_lshrrev_b32_e32 v244, 3, v133
	v_add_u32_e32 v245, 0x2100, v241
	;; [unrolled: 2-line block ×7, first 2 shown]
	v_bfe_u32 v231, v141, 4, 6
	v_lshrrev_b32_e32 v232, 3, v4
	v_and_b32_e32 v120, 7, v4
	v_lshrrev_b32_e32 v230, 3, v10
	v_and_b32_e32 v122, 7, v10
	;; [unrolled: 2-line block ×3, first 2 shown]
	scratch_store_dword off, v2, off offset:112 ; 4-byte Folded Spill
	v_and_b32_e32 v2, 7, v28
	v_mov_b32_e32 v227, 0x3ca908c9
	v_mov_b32_e32 v132, 0x7f800000
	v_and_b32_e32 v136, 7, v0
	v_lshl_add_u64 v[138:139], s[10:11], 0, v[98:99]
	v_bfe_u32 v140, v95, 1, 3
	v_mad_u64_u32 v[142:143], s[10:11], v123, s63, v[94:95]
	v_lshl_add_u64 v[144:145], s[22:23], 0, v[96:97]
	v_lshl_add_u64 v[146:147], v[110:111], 2, s[20:21]
	v_lshl_add_u64 v[148:149], v[112:113], 2, s[20:21]
	v_lshl_add_u64 v[150:151], v[114:115], 2, s[20:21]
	v_lshl_add_u64 v[152:153], v[116:117], 2, s[20:21]
	v_lshl_add_u64 v[154:155], v[102:103], 2, s[18:19]
	v_lshl_add_u64 v[156:157], v[104:105], 2, s[18:19]
	v_lshl_add_u64 v[158:159], v[106:107], 2, s[18:19]
	v_lshl_add_u64 v[160:161], v[108:109], 2, s[18:19]
	scratch_store_dword off, v5, off offset:68 ; 4-byte Folded Spill
	scratch_store_dword off, v3, off offset:116 ; 4-byte Folded Spill
	scratch_store_dwordx2 off, v[2:3], off offset:100 ; 8-byte Folded Spill
	s_branch .LBB32_12
.LBB32_10:                              ;   in Loop: Header=BB32_12 Depth=1
	s_or_b64 exec, exec, s[76:77]
	s_barrier
.LBB32_11:                              ;   in Loop: Header=BB32_12 Depth=1
	s_add_i32 s10, s58, s85
	s_abs_i32 s14, s10
	s_mul_hi_u32 s15, s14, s54
	s_mul_i32 s15, s15, s86
	s_sub_i32 s14, s14, s15
	s_ashr_i32 s11, s10, 31
	s_sub_i32 s15, s14, s86
	s_cmp_ge_u32 s14, s86
	s_cselect_b32 s14, s15, s14
	s_sub_i32 s15, s14, s86
	s_cmp_ge_u32 s14, s86
	s_cselect_b32 s14, s15, s14
	s_xor_b32 s14, s14, s11
	s_sub_i32 s11, s11, s14
	s_add_i32 s58, s10, s11
	s_sub_i32 s14, s62, s58
	s_min_i32 s34, s85, s14
	s_cmp_gt_i32 s62, s58
	s_cselect_b64 s[10:11], -1, 0
	s_cmp_le_i32 s85, s14
	s_cselect_b64 s[14:15], -1, 0
	s_and_b64 s[14:15], s[14:15], s[10:11]
	s_mov_b32 s35, 0
	s_and_b64 vcc, exec, s[14:15]
	s_cbranch_vccz .LBB32_559
.LBB32_12:                              ; =>This Loop Header: Depth=1
                                        ;     Child Loop BB32_324 Depth 2
                                        ;     Child Loop BB32_50 Depth 2
	s_abs_i32 s11, s58
	v_mul_hi_u32 v2, s11, v203
	v_mul_lo_u32 v3, v2, s61
	v_sub_u32_e32 v3, s11, v3
	v_add_u32_e32 v4, 1, v2
	v_subrev_u32_e32 v5, s61, v3
	v_cmp_le_u32_e32 vcc, s61, v3
	s_ashr_i32 s10, s58, 31
	s_xor_b32 s10, s10, s90
	v_cndmask_b32_e32 v2, v2, v4, vcc
	v_cndmask_b32_e32 v3, v3, v5, vcc
	v_add_u32_e32 v4, 1, v2
	v_cmp_le_u32_e32 vcc, s61, v3
	s_nop 1
	v_cndmask_b32_e32 v2, v2, v4, vcc
	v_xor_b32_e32 v2, s10, v2
	v_subrev_u32_e32 v2, s10, v2
	v_mul_lo_u32 v3, v2, s84
	v_sub_u32_e32 v4, s58, v3
	v_sub_u32_e32 v5, 0, v4
	v_max_i32_e32 v5, v4, v5
	v_mul_hi_u32 v6, v5, v204
	v_mul_lo_u32 v7, v6, s87
	v_sub_u32_e32 v5, v5, v7
	v_add_u32_e32 v7, 1, v6
	v_subrev_u32_e32 v8, s87, v5
	v_cmp_le_u32_e32 vcc, s87, v5
	v_ashrrev_i32_e32 v3, 31, v4
	v_xor_b32_e32 v3, s91, v3
	v_cndmask_b32_e32 v6, v6, v7, vcc
	v_cndmask_b32_e32 v5, v5, v8, vcc
	v_add_u32_e32 v7, 1, v6
	v_cmp_le_u32_e32 vcc, s87, v5
	s_nop 1
	v_cndmask_b32_e32 v5, v6, v7, vcc
	v_xor_b32_e32 v5, v5, v3
	v_sub_u32_e32 v3, v5, v3
	v_mul_lo_u32 v5, v3, s83
	v_sub_u32_e32 v4, v4, v5
	v_sub_u32_e32 v6, 0, v4
	v_max_i32_e32 v6, v4, v6
	v_mul_hi_u32 v7, v6, v205
	v_mul_lo_u32 v8, v7, s88
	v_sub_u32_e32 v6, v6, v8
	v_add_u32_e32 v8, 1, v7
	v_subrev_u32_e32 v9, s88, v6
	v_cmp_le_u32_e32 vcc, s88, v6
	v_ashrrev_i32_e32 v5, 31, v4
	v_xor_b32_e32 v5, s92, v5
	v_cndmask_b32_e32 v7, v7, v8, vcc
	v_cndmask_b32_e32 v6, v6, v9, vcc
	v_add_u32_e32 v8, 1, v7
	v_cmp_le_u32_e32 vcc, s88, v6
	s_nop 1
	v_cndmask_b32_e32 v6, v7, v8, vcc
	v_xor_b32_e32 v6, v6, v5
	v_sub_u32_e32 v5, v6, v5
	v_mul_lo_u32 v6, v5, s82
	v_sub_u32_e32 v4, v4, v6
	v_sub_u32_e32 v7, 0, v4
	v_ashrrev_i32_e32 v6, 31, v4
	v_max_i32_e32 v4, v4, v7
	v_mul_hi_u32 v7, v4, s54
	v_mul_lo_u32 v8, v7, s86
	v_sub_u32_e32 v4, v4, v8
	v_add_u32_e32 v8, 1, v7
	v_subrev_u32_e32 v9, s86, v4
	v_cmp_le_u32_e32 vcc, s86, v4
	v_xor_b32_e32 v6, s42, v6
	s_nop 0
	v_cndmask_b32_e32 v7, v7, v8, vcc
	v_cndmask_b32_e32 v4, v4, v9, vcc
	v_add_u32_e32 v8, 1, v7
	v_cmp_le_u32_e32 vcc, s86, v4
	s_nop 1
	v_cndmask_b32_e32 v4, v7, v8, vcc
	v_xor_b32_e32 v4, v4, v6
	s_andn2_b64 vcc, exec, s[68:69]
	v_sub_u32_e32 v4, v4, v6
	s_cbranch_vccnz .LBB32_14
; %bb.13:                               ;   in Loop: Header=BB32_12 Depth=1
	v_mul_lo_u32 v6, v2, s81
	v_add_u32_e32 v6, v4, v6
	v_ashrrev_i32_e32 v7, 31, v6
	v_lshlrev_b64 v[6:7], 2, v[6:7]
	v_lshl_add_u64 v[6:7], s[26:27], 0, v[6:7]
	global_load_dword v6, v[6:7], off
	s_waitcnt vmcnt(0)
	v_readfirstlane_b32 s10, v6
	s_ashr_i32 s11, s10, 31
	s_lshr_b32 s11, s11, 26
	s_add_i32 s10, s10, s11
	s_ashr_i32 s10, s10, 6
	s_min_i32 s34, s34, s10
.LBB32_14:                              ;   in Loop: Header=BB32_12 Depth=1
	v_mul_lo_u32 v6, v3, s80
	v_lshlrev_b32_e32 v97, 3, v5
	v_add_u32_e32 v6, v97, v6
	v_mul_lo_u32 v8, v2, s57
	v_ashrrev_i32_e32 v9, 31, v8
	v_mul_lo_u32 v10, v6, s56
	v_lshl_add_u64 v[8:9], s[16:17], 0, v[8:9]
	v_ashrrev_i32_e32 v11, 31, v10
	v_ashrrev_i32_e32 v5, 31, v2
	v_lshl_add_u64 v[180:181], v[8:9], 0, v[10:11]
	v_mul_hi_u32 v7, s40, v2
	v_mul_lo_u32 v8, s40, v5
	v_add_u32_e32 v7, v7, v8
	v_mul_lo_u32 v8, s41, v2
	v_add_u32_e32 v173, v7, v8
	v_mul_lo_u32 v172, s40, v2
	v_mul_lo_u32 v174, v3, s55
	v_sub_u32_e32 v7, 0, v2
	v_lshl_add_u64 v[8:9], s[18:19], 0, v[172:173]
	v_ashrrev_i32_e32 v175, 31, v174
	v_max_i32_e32 v7, v2, v7
	v_lshl_add_u64 v[168:169], v[8:9], 0, v[174:175]
	v_mul_hi_u32 v8, v7, s93
	v_mul_lo_u32 v8, v8, s89
	v_sub_u32_e32 v7, v7, v8
	v_subrev_u32_e32 v8, s89, v7
	v_cmp_le_u32_e32 vcc, s89, v7
	s_mul_i32 s10, s36, s37
	v_mul_lo_u32 v178, s50, v2
	v_cndmask_b32_e32 v7, v7, v8, vcc
	v_subrev_u32_e32 v8, s89, v7
	v_cmp_le_u32_e32 vcc, s89, v7
	v_mul_lo_u32 v182, v3, s43
	v_ashrrev_i32_e32 v183, 31, v182
	v_cndmask_b32_e32 v7, v7, v8, vcc
	v_xor_b32_e32 v7, v7, v5
	v_sub_u32_e32 v7, v7, v5
	v_ashrrev_i32_e32 v8, 31, v7
	v_mul_lo_u32 v8, s52, v8
	v_mul_hi_u32 v9, s52, v7
	v_add_u32_e32 v8, v9, v8
	v_mul_lo_u32 v9, s53, v7
	v_mul_lo_u32 v176, s52, v7
	;; [unrolled: 1-line block ×3, first 2 shown]
	v_add_u32_e32 v7, v6, v7
	v_lshlrev_b32_e32 v98, 7, v7
	v_mul_hi_u32 v7, s50, v2
	v_mul_lo_u32 v5, s50, v5
	v_add_u32_e32 v5, v7, v5
	v_mul_lo_u32 v7, s51, v2
	v_add_u32_e32 v179, v5, v7
	v_ashrrev_i32_e32 v7, 31, v6
	v_lshlrev_b64 v[2:3], 2, v[6:7]
	v_add_u32_e32 v177, v8, v9
	v_lshlrev_b64 v[8:9], 3, v[98:99]
	v_lshl_add_u64 v[2:3], s[24:25], 0, v[2:3]
	v_lshl_add_u64 v[162:163], s[28:29], 0, v[8:9]
	;; [unrolled: 1-line block ×3, first 2 shown]
	v_cndmask_b32_e64 v164, v2, 0, s[66:67]
	v_lshlrev_b32_e32 v143, 3, v4
	v_bfe_u32 v2, v141, 3, 7
	v_lshl_add_u64 v[170:171], s[22:23], 0, v[176:177]
	v_lshl_add_u64 v[166:167], v[8:9], 0, v[182:183]
	v_cndmask_b32_e64 v165, v3, 0, s[66:67]
	s_cmp_lg_u32 s35, 0
	v_add_u32_e32 v190, v2, v143
	v_or_b32_e32 v191, v123, v97
	s_cbranch_scc0 .LBB32_84
; %bb.15:                               ;   in Loop: Header=BB32_12 Depth=1
	v_cmp_le_i32_e64 s[10:11], s36, v190
	v_cmp_le_i32_e64 s[14:15], s80, v191
	v_cmp_gt_i32_e32 vcc, s80, v191
	s_or_b64 s[10:11], s[10:11], s[14:15]
	s_and_saveexec_b64 s[14:15], s[10:11]
	s_xor_b64 s[10:11], exec, s[14:15]
; %bb.16:                               ;   in Loop: Header=BB32_12 Depth=1
	v_add_u32_e32 v2, v194, v240
	ds_write2st64_b32 v2, v99, v99 offset1:1
; %bb.17:                               ;   in Loop: Header=BB32_12 Depth=1
	s_andn2_saveexec_b64 s[10:11], s[10:11]
	s_cbranch_execz .LBB32_19
; %bb.18:                               ;   in Loop: Header=BB32_12 Depth=1
	v_mad_u64_u32 v[2:3], s[14:15], v190, s59, v[142:143]
	v_ashrrev_i32_e32 v3, 31, v2
	v_lshl_add_u64 v[2:3], v[2:3], 3, v[180:181]
	global_load_dwordx2 v[4:5], v[2:3], off
	s_nop 0
	global_load_dwordx2 v[2:3], v[2:3], off offset:512
	s_waitcnt vmcnt(1)
	v_cvt_pk_f16_f32 v4, v4, v5
	s_waitcnt vmcnt(0)
	v_cvt_pk_f16_f32 v2, v2, v3
	v_pk_mul_f16 v3, v4, v235
	v_pk_mul_f16 v2, v2, v235
	ds_write2st64_b32 v241, v3, v2 offset1:1
.LBB32_19:                              ;   in Loop: Header=BB32_12 Depth=1
	s_or_b64 exec, exec, s[10:11]
	v_add_u32_e32 v2, v242, v143
	v_cmp_le_i32_e64 s[10:11], s36, v2
	s_xor_b64 s[14:15], vcc, -1
	s_or_b64 s[10:11], s[10:11], s[14:15]
	s_and_saveexec_b64 s[76:77], s[10:11]
	s_xor_b64 s[10:11], exec, s[76:77]
; %bb.20:                               ;   in Loop: Header=BB32_12 Depth=1
	v_add_u32_e32 v2, v194, v240
	v_add_u32_e32 v2, 0x80, v2
	ds_write2st64_b32 v2, v99, v99 offset0:16 offset1:17
                                        ; implicit-def: $vgpr2
; %bb.21:                               ;   in Loop: Header=BB32_12 Depth=1
	s_andn2_saveexec_b64 s[10:11], s[10:11]
	s_cbranch_execz .LBB32_23
; %bb.22:                               ;   in Loop: Header=BB32_12 Depth=1
	v_mad_u64_u32 v[2:3], s[76:77], v2, s59, v[142:143]
	v_ashrrev_i32_e32 v3, 31, v2
	v_lshl_add_u64 v[2:3], v[2:3], 3, v[180:181]
	global_load_dwordx2 v[4:5], v[2:3], off
	s_nop 0
	global_load_dwordx2 v[2:3], v[2:3], off offset:512
	s_waitcnt vmcnt(1)
	v_cvt_pk_f16_f32 v4, v4, v5
	s_waitcnt vmcnt(0)
	v_cvt_pk_f16_f32 v2, v2, v3
	v_pk_mul_f16 v3, v4, v235
	v_pk_mul_f16 v2, v2, v235
	ds_write2st64_b32 v243, v3, v2 offset1:1
.LBB32_23:                              ;   in Loop: Header=BB32_12 Depth=1
	s_or_b64 exec, exec, s[10:11]
	v_add_u32_e32 v2, v244, v143
	v_cmp_le_i32_e32 vcc, s36, v2
	s_or_b64 s[10:11], vcc, s[14:15]
	s_and_saveexec_b64 s[76:77], s[10:11]
	s_xor_b64 s[10:11], exec, s[76:77]
; %bb.24:                               ;   in Loop: Header=BB32_12 Depth=1
	v_add_u32_e32 v2, v194, v240
	ds_write2st64_b32 v2, v99, v99 offset0:33 offset1:34
                                        ; implicit-def: $vgpr2
; %bb.25:                               ;   in Loop: Header=BB32_12 Depth=1
	s_andn2_saveexec_b64 s[10:11], s[10:11]
	s_cbranch_execz .LBB32_27
; %bb.26:                               ;   in Loop: Header=BB32_12 Depth=1
	v_mad_u64_u32 v[2:3], s[76:77], v2, s59, v[142:143]
	v_ashrrev_i32_e32 v3, 31, v2
	v_lshl_add_u64 v[2:3], v[2:3], 3, v[180:181]
	global_load_dwordx2 v[4:5], v[2:3], off
	s_nop 0
	global_load_dwordx2 v[2:3], v[2:3], off offset:512
	s_waitcnt vmcnt(1)
	v_cvt_pk_f16_f32 v4, v4, v5
	s_waitcnt vmcnt(0)
	v_cvt_pk_f16_f32 v2, v2, v3
	v_pk_mul_f16 v3, v4, v235
	v_pk_mul_f16 v2, v2, v235
	ds_write2st64_b32 v245, v3, v2 offset1:1
.LBB32_27:                              ;   in Loop: Header=BB32_12 Depth=1
	s_or_b64 exec, exec, s[10:11]
	v_add_u32_e32 v2, v246, v143
	v_cmp_le_i32_e32 vcc, s36, v2
	s_or_b64 s[10:11], vcc, s[14:15]
	s_and_saveexec_b64 s[76:77], s[10:11]
	s_xor_b64 s[10:11], exec, s[76:77]
; %bb.28:                               ;   in Loop: Header=BB32_12 Depth=1
	v_add_u32_e32 v2, v194, v240
	v_add_u32_e32 v2, 0x80, v2
	ds_write2st64_b32 v2, v99, v99 offset0:49 offset1:50
                                        ; implicit-def: $vgpr2
; %bb.29:                               ;   in Loop: Header=BB32_12 Depth=1
	s_andn2_saveexec_b64 s[10:11], s[10:11]
	s_cbranch_execz .LBB32_31
; %bb.30:                               ;   in Loop: Header=BB32_12 Depth=1
	v_mad_u64_u32 v[2:3], s[76:77], v2, s59, v[142:143]
	v_ashrrev_i32_e32 v3, 31, v2
	v_lshl_add_u64 v[2:3], v[2:3], 3, v[180:181]
	global_load_dwordx2 v[4:5], v[2:3], off
	s_nop 0
	global_load_dwordx2 v[2:3], v[2:3], off offset:512
	s_waitcnt vmcnt(1)
	v_cvt_pk_f16_f32 v4, v4, v5
	s_waitcnt vmcnt(0)
	v_cvt_pk_f16_f32 v2, v2, v3
	v_pk_mul_f16 v3, v4, v235
	v_pk_mul_f16 v2, v2, v235
	ds_write2st64_b32 v247, v3, v2 offset1:1
.LBB32_31:                              ;   in Loop: Header=BB32_12 Depth=1
	s_or_b64 exec, exec, s[10:11]
	v_add_u32_e32 v2, v248, v143
	v_cmp_le_i32_e32 vcc, s36, v2
	s_or_b64 s[10:11], vcc, s[14:15]
	s_and_saveexec_b64 s[76:77], s[10:11]
	s_xor_b64 s[10:11], exec, s[76:77]
; %bb.32:                               ;   in Loop: Header=BB32_12 Depth=1
	v_add_u32_e32 v2, v194, v240
	ds_write2st64_b32 v2, v99, v99 offset0:66 offset1:67
                                        ; implicit-def: $vgpr2
; %bb.33:                               ;   in Loop: Header=BB32_12 Depth=1
	s_andn2_saveexec_b64 s[10:11], s[10:11]
	s_cbranch_execz .LBB32_35
; %bb.34:                               ;   in Loop: Header=BB32_12 Depth=1
	v_mad_u64_u32 v[2:3], s[76:77], v2, s59, v[142:143]
	v_ashrrev_i32_e32 v3, 31, v2
	v_lshl_add_u64 v[2:3], v[2:3], 3, v[180:181]
	global_load_dwordx2 v[4:5], v[2:3], off
	s_nop 0
	global_load_dwordx2 v[2:3], v[2:3], off offset:512
	s_waitcnt vmcnt(1)
	v_cvt_pk_f16_f32 v4, v4, v5
	s_waitcnt vmcnt(0)
	v_cvt_pk_f16_f32 v2, v2, v3
	v_pk_mul_f16 v3, v4, v235
	v_pk_mul_f16 v2, v2, v235
	ds_write2st64_b32 v249, v3, v2 offset1:1
.LBB32_35:                              ;   in Loop: Header=BB32_12 Depth=1
	s_or_b64 exec, exec, s[10:11]
	v_add_u32_e32 v2, v250, v143
	v_cmp_le_i32_e32 vcc, s36, v2
	s_or_b64 s[10:11], vcc, s[14:15]
	;; [unrolled: 57-line block ×3, first 2 shown]
	s_and_saveexec_b64 s[14:15], s[10:11]
	s_xor_b64 s[10:11], exec, s[14:15]
; %bb.44:                               ;   in Loop: Header=BB32_12 Depth=1
	v_add_u32_e32 v2, v194, v240
	v_add_u32_e32 v2, 0x80, v2
	ds_write2st64_b32 v2, v99, v99 offset0:115 offset1:116
                                        ; implicit-def: $vgpr2
; %bb.45:                               ;   in Loop: Header=BB32_12 Depth=1
	s_andn2_saveexec_b64 s[10:11], s[10:11]
	s_cbranch_execz .LBB32_47
; %bb.46:                               ;   in Loop: Header=BB32_12 Depth=1
	v_mad_u64_u32 v[2:3], s[14:15], v2, s59, v[142:143]
	v_ashrrev_i32_e32 v3, 31, v2
	v_lshl_add_u64 v[2:3], v[2:3], 3, v[180:181]
	global_load_dwordx2 v[4:5], v[2:3], off
	s_nop 0
	global_load_dwordx2 v[2:3], v[2:3], off offset:512
	s_waitcnt vmcnt(1)
	v_cvt_pk_f16_f32 v4, v4, v5
	s_waitcnt vmcnt(0)
	v_cvt_pk_f16_f32 v2, v2, v3
	v_pk_mul_f16 v3, v4, v235
	v_pk_mul_f16 v2, v2, v235
	ds_write2st64_b32 v233, v3, v2 offset1:1
.LBB32_47:                              ;   in Loop: Header=BB32_12 Depth=1
	s_or_b64 exec, exec, s[10:11]
	s_waitcnt lgkmcnt(0)
	s_barrier
	ds_read2_b64 v[30:33], v195 offset1:4
	ds_read2_b64 v[26:29], v195 offset0:8 offset1:12
	ds_read2_b64 v[22:25], v195 offset0:16 offset1:20
	;; [unrolled: 1-line block ×7, first 2 shown]
	s_add_i32 s64, s34, -1
	s_cmp_ge_i32 s35, s64
	s_waitcnt lgkmcnt(0)
	s_barrier
	s_cbranch_scc1 .LBB32_85
; %bb.48:                               ;   in Loop: Header=BB32_12 Depth=1
	v_add_u32_e32 v34, v143, v196
	v_mul_hi_u32 v35, s44, v34
	v_add_u32_e32 v35, v34, v35
	v_lshrrev_b32_e32 v35, s45, v35
	v_mul_lo_u32 v35, v35, s36
	v_sub_u32_e32 v34, v34, v35
	v_mad_i64_i32 v[34:35], s[10:11], v34, s48, 0
	v_lshl_add_u64 v[34:35], v[34:35], 1, v[170:171]
	v_lshlrev_b32_e32 v98, 1, v100
	v_lshl_add_u64 v[184:185], v[34:35], 0, v[98:99]
	v_and_b32_e32 v34, 64, v234
	v_add_u32_e32 v34, 64, v34
	v_xor_b32_e32 v35, 32, v234
	v_cmp_lt_i32_e32 vcc, v35, v34
	s_lshl_b32 s10, s35, 6
	v_mov_b32_e32 v186, 0
	v_cndmask_b32_e32 v35, v234, v35, vcc
	v_lshlrev_b32_e32 v192, 2, v35
	v_xor_b32_e32 v35, 16, v234
	v_cmp_lt_i32_e32 vcc, v35, v34
	v_mov_b32_e32 v53, 0xfeffffff
	v_mov_b32_e32 v52, 0
	v_cndmask_b32_e32 v34, v234, v35, vcc
	v_lshlrev_b32_e32 v193, 2, v34
	v_mov_b32_e32 v187, 0
	v_mov_b32_e32 v91, 0
	;; [unrolled: 1-line block ×31, first 2 shown]
	s_ashr_i32 s11, s10, 31
	s_and_saveexec_b64 s[14:15], s[0:1]
	s_cbranch_execz .LBB32_50
.LBB32_49:                              ;   in Loop: Header=BB32_12 Depth=1
	v_lshl_add_u64 v[34:35], s[10:11], 1, v[184:185]
	global_load_dword v34, v[34:35], off
	s_waitcnt vmcnt(0)
	ds_write_b32 v206, v34 offset:33792
.LBB32_50:                              ;   Parent Loop BB32_12 Depth=1
                                        ; =>  This Inner Loop Header: Depth=2
	s_or_b64 exec, exec, s[14:15]
	s_mul_hi_i32 s15, s10, s46
	s_mul_i32 s14, s10, s46
	s_lshl_b64 s[14:15], s[14:15], 2
	v_lshl_add_u64 v[34:35], v[168:169], 0, s[14:15]
	v_lshl_add_u64 v[36:37], v[102:103], 2, v[34:35]
	v_lshlrev_b32_e32 v98, 2, v96
	v_lshl_add_u64 v[36:37], v[36:37], 0, v[98:99]
	v_lshl_add_u64 v[38:39], v[104:105], 2, v[34:35]
	v_lshl_add_u64 v[40:41], v[106:107], 2, v[34:35]
	v_lshl_add_u64 v[34:35], v[108:109], 2, v[34:35]
	v_lshl_add_u64 v[56:57], v[34:35], 0, v[98:99]
	global_load_dwordx4 v[34:37], v[36:37], off
	v_lshl_add_u64 v[38:39], v[38:39], 0, v[98:99]
	v_lshl_add_u64 v[40:41], v[40:41], 0, v[98:99]
	v_add_u32_e32 v61, 0x4000, v198
	s_waitcnt vmcnt(0)
	ds_write_b128 v197, v[34:37]
	global_load_dwordx4 v[34:37], v[38:39], off
	s_waitcnt vmcnt(0)
	ds_write_b128 v236, v[34:37]
	global_load_dwordx4 v[34:37], v[40:41], off
	;; [unrolled: 3-line block ×3, first 2 shown]
	s_waitcnt vmcnt(0)
	ds_write_b128 v238, v[34:37]
	s_waitcnt lgkmcnt(0)
	s_barrier
	ds_read2_b64 v[34:37], v198 offset1:4
	s_waitcnt lgkmcnt(0)
	v_mfma_f32_16x16x16_f16 v[38:41], v[34:35], v[30:31], 0
	v_mfma_f32_16x16x16_f16 v[34:37], v[36:37], v[32:33], v[38:41]
	s_nop 6
	ds_read2_b64 v[38:41], v198 offset0:8 offset1:12
	s_waitcnt lgkmcnt(0)
	v_mfma_f32_16x16x16_f16 v[34:37], v[38:39], v[26:27], v[34:37]
	v_mfma_f32_16x16x16_f16 v[34:37], v[40:41], v[28:29], v[34:37]
	ds_read2_b64 v[38:41], v198 offset0:16 offset1:20
	s_waitcnt lgkmcnt(0)
	v_mfma_f32_16x16x16_f16 v[34:37], v[38:39], v[22:23], v[34:37]
	v_mfma_f32_16x16x16_f16 v[34:37], v[40:41], v[24:25], v[34:37]
	;; [unrolled: 4-line block ×7, first 2 shown]
	ds_read2_b64 v[38:41], v61 offset0:64 offset1:68
	s_waitcnt lgkmcnt(0)
	v_mfma_f32_16x16x16_f16 v[56:59], v[38:39], v[30:31], 0
	s_nop 4
	v_cmp_nlt_f32_e64 s[14:15], |v34|, s49
	v_mfma_f32_16x16x16_f16 v[38:41], v[40:41], v[32:33], v[56:59]
	s_nop 2
	ds_read2_b64 v[56:59], v61 offset0:72 offset1:76
	s_waitcnt lgkmcnt(0)
	v_mfma_f32_16x16x16_f16 v[38:41], v[56:57], v[26:27], v[38:41]
	v_mfma_f32_16x16x16_f16 v[38:41], v[58:59], v[28:29], v[38:41]
	ds_read2_b64 v[56:59], v61 offset0:80 offset1:84
	s_waitcnt lgkmcnt(0)
	v_mfma_f32_16x16x16_f16 v[38:41], v[56:57], v[22:23], v[38:41]
	v_mfma_f32_16x16x16_f16 v[38:41], v[58:59], v[24:25], v[38:41]
	;; [unrolled: 4-line block ×6, first 2 shown]
	ds_read2_b64 v[56:59], v61 offset0:120 offset1:124
	s_waitcnt lgkmcnt(0)
	s_barrier
	v_mfma_f32_16x16x16_f16 v[38:41], v[56:57], v[2:3], v[38:41]
                                        ; implicit-def: $vgpr56
	v_mfma_f32_16x16x16_f16 v[38:41], v[58:59], v[4:5], v[38:41]
	s_and_saveexec_b64 s[76:77], s[14:15]
	s_xor_b64 s[14:15], exec, s[76:77]
	s_cbranch_execz .LBB32_52
; %bb.51:                               ;   in Loop: Header=BB32_50 Depth=2
	v_add_f32_e64 v56, |v34|, |v34|
	v_mul_f32_e32 v57, 0x3fb8aa3b, v56
	v_rndne_f32_e32 v58, v57
	v_sub_f32_e32 v59, v57, v58
	v_fma_f32 v57, v56, s71, -v57
	v_fmac_f32_e32 v57, 0x32a5705f, v56
	v_add_f32_e32 v57, v59, v57
	v_cvt_i32_f32_e32 v58, v58
	v_exp_f32_e32 v57, v57
	v_cmp_ngt_f32_e32 vcc, s94, v56
	v_ldexp_f32 v57, v57, v58
	s_nop 0
	v_cndmask_b32_e32 v57, 0, v57, vcc
	v_cmp_nlt_f32_e32 vcc, s95, v56
	s_nop 1
	v_cndmask_b32_e32 v56, v132, v57, vcc
	v_add_f32_e32 v56, 1.0, v56
	v_rcp_f32_e32 v56, v56
	s_nop 0
	v_fma_f32 v56, v56, -2.0, 1.0
.LBB32_52:                              ;   in Loop: Header=BB32_50 Depth=2
	s_andn2_saveexec_b64 s[14:15], s[14:15]
; %bb.53:                               ;   in Loop: Header=BB32_50 Depth=2
	v_mul_f32_e32 v56, v34, v34
	v_fmamk_f32 v57, v56, 0xbbbac73d, v227
	v_fmaak_f32 v57, v56, v57, 0xbd5c1c4e
	v_fmaak_f32 v57, v56, v57, 0x3e088382
	;; [unrolled: 1-line block ×3, first 2 shown]
	v_mul_f32_e64 v57, |v34|, v57
	v_fma_f32 v56, v56, v57, |v34|
; %bb.54:                               ;   in Loop: Header=BB32_50 Depth=2
	s_or_b64 exec, exec, s[14:15]
	v_cmp_nlt_f32_e64 s[14:15], |v35|, s49
                                        ; implicit-def: $vgpr57
	s_and_saveexec_b64 s[76:77], s[14:15]
	s_xor_b64 s[14:15], exec, s[76:77]
	s_cbranch_execz .LBB32_56
; %bb.55:                               ;   in Loop: Header=BB32_50 Depth=2
	v_add_f32_e64 v57, |v35|, |v35|
	v_mul_f32_e32 v58, 0x3fb8aa3b, v57
	v_rndne_f32_e32 v59, v58
	v_sub_f32_e32 v61, v58, v59
	v_fma_f32 v58, v57, s71, -v58
	v_fmac_f32_e32 v58, 0x32a5705f, v57
	v_add_f32_e32 v58, v61, v58
	v_cvt_i32_f32_e32 v59, v59
	v_exp_f32_e32 v58, v58
	v_cmp_ngt_f32_e32 vcc, s94, v57
	v_ldexp_f32 v58, v58, v59
	s_nop 0
	v_cndmask_b32_e32 v58, 0, v58, vcc
	v_cmp_nlt_f32_e32 vcc, s95, v57
	s_nop 1
	v_cndmask_b32_e32 v57, v132, v58, vcc
	v_add_f32_e32 v57, 1.0, v57
	v_rcp_f32_e32 v57, v57
	s_nop 0
	v_fma_f32 v57, v57, -2.0, 1.0
.LBB32_56:                              ;   in Loop: Header=BB32_50 Depth=2
	s_andn2_saveexec_b64 s[14:15], s[14:15]
; %bb.57:                               ;   in Loop: Header=BB32_50 Depth=2
	v_mul_f32_e32 v57, v35, v35
	v_fmamk_f32 v58, v57, 0xbbbac73d, v227
	v_fmaak_f32 v58, v57, v58, 0xbd5c1c4e
	v_fmaak_f32 v58, v57, v58, 0x3e088382
	;; [unrolled: 1-line block ×3, first 2 shown]
	v_mul_f32_e64 v58, |v35|, v58
	v_fma_f32 v57, v57, v58, |v35|
; %bb.58:                               ;   in Loop: Header=BB32_50 Depth=2
	s_or_b64 exec, exec, s[14:15]
	v_cmp_nlt_f32_e64 s[14:15], |v36|, s49
                                        ; implicit-def: $vgpr58
	s_and_saveexec_b64 s[76:77], s[14:15]
	s_xor_b64 s[14:15], exec, s[76:77]
	s_cbranch_execz .LBB32_60
; %bb.59:                               ;   in Loop: Header=BB32_50 Depth=2
	v_add_f32_e64 v58, |v36|, |v36|
	v_mul_f32_e32 v59, 0x3fb8aa3b, v58
	v_rndne_f32_e32 v61, v59
	v_sub_f32_e32 v62, v59, v61
	v_fma_f32 v59, v58, s71, -v59
	v_fmac_f32_e32 v59, 0x32a5705f, v58
	v_add_f32_e32 v59, v62, v59
	v_cvt_i32_f32_e32 v61, v61
	v_exp_f32_e32 v59, v59
	v_cmp_ngt_f32_e32 vcc, s94, v58
	v_ldexp_f32 v59, v59, v61
	s_nop 0
	v_cndmask_b32_e32 v59, 0, v59, vcc
	v_cmp_nlt_f32_e32 vcc, s95, v58
	s_nop 1
	v_cndmask_b32_e32 v58, v132, v59, vcc
	v_add_f32_e32 v58, 1.0, v58
	v_rcp_f32_e32 v58, v58
	s_nop 0
	v_fma_f32 v58, v58, -2.0, 1.0
.LBB32_60:                              ;   in Loop: Header=BB32_50 Depth=2
	s_andn2_saveexec_b64 s[14:15], s[14:15]
; %bb.61:                               ;   in Loop: Header=BB32_50 Depth=2
	v_mul_f32_e32 v58, v36, v36
	v_fmamk_f32 v59, v58, 0xbbbac73d, v227
	v_fmaak_f32 v59, v58, v59, 0xbd5c1c4e
	v_fmaak_f32 v59, v58, v59, 0x3e088382
	;; [unrolled: 1-line block ×3, first 2 shown]
	v_mul_f32_e64 v59, |v36|, v59
	v_fma_f32 v58, v58, v59, |v36|
; %bb.62:                               ;   in Loop: Header=BB32_50 Depth=2
	s_or_b64 exec, exec, s[14:15]
	v_cmp_nlt_f32_e64 s[14:15], |v37|, s49
                                        ; implicit-def: $vgpr59
	s_and_saveexec_b64 s[76:77], s[14:15]
	s_xor_b64 s[14:15], exec, s[76:77]
	s_cbranch_execz .LBB32_64
; %bb.63:                               ;   in Loop: Header=BB32_50 Depth=2
	v_add_f32_e64 v59, |v37|, |v37|
	v_mul_f32_e32 v61, 0x3fb8aa3b, v59
	v_rndne_f32_e32 v62, v61
	v_sub_f32_e32 v63, v61, v62
	v_fma_f32 v61, v59, s71, -v61
	v_fmac_f32_e32 v61, 0x32a5705f, v59
	v_add_f32_e32 v61, v63, v61
	v_cvt_i32_f32_e32 v62, v62
	v_exp_f32_e32 v61, v61
	v_cmp_ngt_f32_e32 vcc, s94, v59
	v_ldexp_f32 v61, v61, v62
	s_nop 0
	v_cndmask_b32_e32 v61, 0, v61, vcc
	v_cmp_nlt_f32_e32 vcc, s95, v59
	s_nop 1
	v_cndmask_b32_e32 v59, v132, v61, vcc
	v_add_f32_e32 v59, 1.0, v59
	v_rcp_f32_e32 v59, v59
	s_nop 0
	v_fma_f32 v59, v59, -2.0, 1.0
.LBB32_64:                              ;   in Loop: Header=BB32_50 Depth=2
	s_andn2_saveexec_b64 s[14:15], s[14:15]
; %bb.65:                               ;   in Loop: Header=BB32_50 Depth=2
	v_mul_f32_e32 v59, v37, v37
	v_fmamk_f32 v61, v59, 0xbbbac73d, v227
	v_fmaak_f32 v61, v59, v61, 0xbd5c1c4e
	v_fmaak_f32 v61, v59, v61, 0x3e088382
	;; [unrolled: 1-line block ×3, first 2 shown]
	v_mul_f32_e64 v61, |v37|, v61
	v_fma_f32 v59, v59, v61, |v37|
; %bb.66:                               ;   in Loop: Header=BB32_50 Depth=2
	s_or_b64 exec, exec, s[14:15]
	v_cmp_nlt_f32_e64 s[14:15], |v38|, s49
                                        ; implicit-def: $vgpr61
	s_and_saveexec_b64 s[76:77], s[14:15]
	s_xor_b64 s[14:15], exec, s[76:77]
	s_cbranch_execz .LBB32_68
; %bb.67:                               ;   in Loop: Header=BB32_50 Depth=2
	v_add_f32_e64 v61, |v38|, |v38|
	v_mul_f32_e32 v62, 0x3fb8aa3b, v61
	v_rndne_f32_e32 v63, v62
	v_sub_f32_e32 v69, v62, v63
	v_fma_f32 v62, v61, s71, -v62
	v_fmac_f32_e32 v62, 0x32a5705f, v61
	v_add_f32_e32 v62, v69, v62
	v_cvt_i32_f32_e32 v63, v63
	v_exp_f32_e32 v62, v62
	v_cmp_ngt_f32_e32 vcc, s94, v61
	v_ldexp_f32 v62, v62, v63
	s_nop 0
	v_cndmask_b32_e32 v62, 0, v62, vcc
	v_cmp_nlt_f32_e32 vcc, s95, v61
	s_nop 1
	v_cndmask_b32_e32 v61, v132, v62, vcc
	v_add_f32_e32 v61, 1.0, v61
	v_rcp_f32_e32 v61, v61
	s_nop 0
	v_fma_f32 v61, v61, -2.0, 1.0
.LBB32_68:                              ;   in Loop: Header=BB32_50 Depth=2
	s_andn2_saveexec_b64 s[14:15], s[14:15]
; %bb.69:                               ;   in Loop: Header=BB32_50 Depth=2
	v_mul_f32_e32 v61, v38, v38
	v_fmamk_f32 v62, v61, 0xbbbac73d, v227
	v_fmaak_f32 v62, v61, v62, 0xbd5c1c4e
	v_fmaak_f32 v62, v61, v62, 0x3e088382
	;; [unrolled: 1-line block ×3, first 2 shown]
	v_mul_f32_e64 v62, |v38|, v62
	v_fma_f32 v61, v61, v62, |v38|
; %bb.70:                               ;   in Loop: Header=BB32_50 Depth=2
	s_or_b64 exec, exec, s[14:15]
	v_cmp_nlt_f32_e64 s[14:15], |v39|, s49
                                        ; implicit-def: $vgpr62
	s_and_saveexec_b64 s[76:77], s[14:15]
	s_xor_b64 s[14:15], exec, s[76:77]
	s_cbranch_execz .LBB32_72
; %bb.71:                               ;   in Loop: Header=BB32_50 Depth=2
	v_add_f32_e64 v62, |v39|, |v39|
	v_mul_f32_e32 v63, 0x3fb8aa3b, v62
	v_rndne_f32_e32 v69, v63
	v_sub_f32_e32 v72, v63, v69
	v_fma_f32 v63, v62, s71, -v63
	v_fmac_f32_e32 v63, 0x32a5705f, v62
	v_add_f32_e32 v63, v72, v63
	v_cvt_i32_f32_e32 v69, v69
	v_exp_f32_e32 v63, v63
	v_cmp_ngt_f32_e32 vcc, s94, v62
	v_ldexp_f32 v63, v63, v69
	s_nop 0
	v_cndmask_b32_e32 v63, 0, v63, vcc
	v_cmp_nlt_f32_e32 vcc, s95, v62
	s_nop 1
	v_cndmask_b32_e32 v62, v132, v63, vcc
	v_add_f32_e32 v62, 1.0, v62
	v_rcp_f32_e32 v62, v62
	s_nop 0
	v_fma_f32 v62, v62, -2.0, 1.0
.LBB32_72:                              ;   in Loop: Header=BB32_50 Depth=2
	s_andn2_saveexec_b64 s[14:15], s[14:15]
; %bb.73:                               ;   in Loop: Header=BB32_50 Depth=2
	v_mul_f32_e32 v62, v39, v39
	v_fmamk_f32 v63, v62, 0xbbbac73d, v227
	v_fmaak_f32 v63, v62, v63, 0xbd5c1c4e
	v_fmaak_f32 v63, v62, v63, 0x3e088382
	;; [unrolled: 1-line block ×3, first 2 shown]
	v_mul_f32_e64 v63, |v39|, v63
	v_fma_f32 v62, v62, v63, |v39|
; %bb.74:                               ;   in Loop: Header=BB32_50 Depth=2
	s_or_b64 exec, exec, s[14:15]
	v_cmp_nlt_f32_e64 s[14:15], |v40|, s49
                                        ; implicit-def: $vgpr63
	s_and_saveexec_b64 s[76:77], s[14:15]
	s_xor_b64 s[14:15], exec, s[76:77]
	s_cbranch_execz .LBB32_76
; %bb.75:                               ;   in Loop: Header=BB32_50 Depth=2
	v_add_f32_e64 v63, |v40|, |v40|
	v_mul_f32_e32 v69, 0x3fb8aa3b, v63
	v_rndne_f32_e32 v72, v69
	v_sub_f32_e32 v73, v69, v72
	v_fma_f32 v69, v63, s71, -v69
	v_fmac_f32_e32 v69, 0x32a5705f, v63
	v_add_f32_e32 v69, v73, v69
	v_cvt_i32_f32_e32 v72, v72
	v_exp_f32_e32 v69, v69
	v_cmp_ngt_f32_e32 vcc, s94, v63
	v_ldexp_f32 v69, v69, v72
	s_nop 0
	v_cndmask_b32_e32 v69, 0, v69, vcc
	v_cmp_nlt_f32_e32 vcc, s95, v63
	s_nop 1
	v_cndmask_b32_e32 v63, v132, v69, vcc
	v_add_f32_e32 v63, 1.0, v63
	v_rcp_f32_e32 v63, v63
	s_nop 0
	v_fma_f32 v63, v63, -2.0, 1.0
.LBB32_76:                              ;   in Loop: Header=BB32_50 Depth=2
	s_andn2_saveexec_b64 s[14:15], s[14:15]
; %bb.77:                               ;   in Loop: Header=BB32_50 Depth=2
	v_mul_f32_e32 v63, v40, v40
	v_fmamk_f32 v69, v63, 0xbbbac73d, v227
	v_fmaak_f32 v69, v63, v69, 0xbd5c1c4e
	v_fmaak_f32 v69, v63, v69, 0x3e088382
	;; [unrolled: 1-line block ×3, first 2 shown]
	v_mul_f32_e64 v69, |v40|, v69
	v_fma_f32 v63, v63, v69, |v40|
; %bb.78:                               ;   in Loop: Header=BB32_50 Depth=2
	s_or_b64 exec, exec, s[14:15]
	v_cmp_nlt_f32_e64 s[14:15], |v41|, s49
                                        ; implicit-def: $vgpr69
	s_and_saveexec_b64 s[76:77], s[14:15]
	s_xor_b64 s[14:15], exec, s[76:77]
	s_cbranch_execz .LBB32_80
; %bb.79:                               ;   in Loop: Header=BB32_50 Depth=2
	v_add_f32_e64 v69, |v41|, |v41|
	v_mul_f32_e32 v72, 0x3fb8aa3b, v69
	v_rndne_f32_e32 v73, v72
	v_sub_f32_e32 v76, v72, v73
	v_fma_f32 v72, v69, s71, -v72
	v_fmac_f32_e32 v72, 0x32a5705f, v69
	v_add_f32_e32 v72, v76, v72
	v_cvt_i32_f32_e32 v73, v73
	v_exp_f32_e32 v72, v72
	v_cmp_ngt_f32_e32 vcc, s94, v69
	v_ldexp_f32 v72, v72, v73
	s_nop 0
	v_cndmask_b32_e32 v72, 0, v72, vcc
	v_cmp_nlt_f32_e32 vcc, s95, v69
	s_nop 1
	v_cndmask_b32_e32 v69, v132, v72, vcc
	v_add_f32_e32 v69, 1.0, v69
	v_rcp_f32_e32 v69, v69
	s_nop 0
	v_fma_f32 v69, v69, -2.0, 1.0
.LBB32_80:                              ;   in Loop: Header=BB32_50 Depth=2
	s_andn2_saveexec_b64 s[14:15], s[14:15]
; %bb.81:                               ;   in Loop: Header=BB32_50 Depth=2
	v_mul_f32_e32 v69, v41, v41
	v_fmamk_f32 v72, v69, 0xbbbac73d, v227
	v_fmaak_f32 v72, v69, v72, 0xbd5c1c4e
	v_fmaak_f32 v72, v69, v72, 0x3e088382
	v_fmaak_f32 v72, v69, v72, 0xbeaaaa99
	v_mul_f32_e64 v72, |v41|, v72
	v_fma_f32 v69, v69, v72, |v41|
; %bb.82:                               ;   in Loop: Header=BB32_50 Depth=2
	s_or_b64 exec, exec, s[14:15]
	v_bfi_b32 v56, s96, v56, v34
	v_add_u32_e32 v34, 0x8400, v199
	v_bfi_b32 v57, s96, v57, v35
	ds_read2_b32 v[34:35], v34 offset1:1
	v_bfi_b32 v37, s96, v59, v37
	v_bfi_b32 v36, s96, v58, v36
	;; [unrolled: 1-line block ×4, first 2 shown]
	s_waitcnt lgkmcnt(0)
	v_fma_mix_f32 v36, s3, v36, v35 op_sel_hi:[0,0,1]
	v_fma_mix_f32 v35, s3, v37, v35 op_sel:[0,0,1] op_sel_hi:[0,0,1]
	ds_read_b32 v37, v207 offset:33792
	v_fma_mix_f32 v56, s3, v56, v34 op_sel_hi:[0,0,1]
	v_fma_mix_f32 v34, s3, v57, v34 op_sel:[0,0,1] op_sel_hi:[0,0,1]
	v_bfi_b32 v40, s96, v63, v40
	v_bfi_b32 v41, s96, v69, v41
	s_waitcnt lgkmcnt(0)
	v_fma_mix_f32 v57, s3, v38, v37 op_sel_hi:[0,0,1]
	ds_read_b32 v38, v208 offset:33792
	v_fma_mix_f32 v37, s3, v39, v37 op_sel:[0,0,1] op_sel_hi:[0,0,1]
	v_add_f32_e32 v39, 0x40051340, v34
	s_mul_hi_i32 s15, s10, s38
	s_mul_i32 s14, s10, s38
	s_waitcnt lgkmcnt(0)
	v_fma_mix_f32 v58, s3, v40, v38 op_sel_hi:[0,0,1]
	v_fma_mix_f32 v41, s3, v41, v38 op_sel:[0,0,1] op_sel_hi:[0,0,1]
	v_add_f32_e32 v38, 0x40051340, v56
	v_max3_f32 v38, v53, v38, v39
	v_add_f32_e32 v39, 0x40051340, v36
	v_add_f32_e32 v40, 0x40051340, v35
	v_max3_f32 v38, v38, v39, v40
	v_add_f32_e32 v39, 0x40051340, v57
	;; [unrolled: 3-line block ×3, first 2 shown]
	v_add_f32_e32 v40, 0x40051340, v41
	v_max3_f32 v38, v38, v39, v40
	ds_bpermute_b32 v39, v192, v38
	s_lshl_b64 s[14:15], s[14:15], 2
	s_add_i32 s35, s35, 1
	s_add_i32 s10, s10, 64
	s_cmp_lt_i32 s35, s64
	s_waitcnt lgkmcnt(0)
	v_max_f32_e32 v39, v39, v39
	v_max_f32_e32 v38, v38, v39
	ds_bpermute_b32 v39, v193, v38
	s_waitcnt lgkmcnt(0)
	v_max_f32_e32 v39, v39, v39
	v_max_f32_e32 v130, v38, v39
	v_sub_f32_e32 v38, v56, v130
	v_mul_f32_e32 v39, 0x3fb8aa3b, v38
	v_fma_f32 v40, v38, s71, -v39
	v_rndne_f32_e32 v56, v39
	v_fmac_f32_e32 v40, 0x32a5705f, v38
	v_sub_f32_e32 v39, v39, v56
	v_add_f32_e32 v39, v39, v40
	v_exp_f32_e32 v39, v39
	v_cvt_i32_f32_e32 v40, v56
	v_cmp_ngt_f32_e32 vcc, s94, v38
	v_sub_f32_e32 v34, v34, v130
	v_sub_f32_e32 v36, v36, v130
	v_ldexp_f32 v39, v39, v40
	v_cndmask_b32_e32 v39, 0, v39, vcc
	v_cmp_nlt_f32_e32 vcc, s95, v38
	v_sub_f32_e32 v35, v35, v130
	s_nop 0
	v_cndmask_b32_e32 v38, v132, v39, vcc
	v_mul_f32_e32 v39, 0x3fb8aa3b, v34
	v_fma_f32 v40, v34, s71, -v39
	v_rndne_f32_e32 v56, v39
	v_fmac_f32_e32 v40, 0x32a5705f, v34
	v_sub_f32_e32 v39, v39, v56
	v_add_f32_e32 v39, v39, v40
	v_exp_f32_e32 v39, v39
	v_cvt_i32_f32_e32 v40, v56
	v_cmp_ngt_f32_e32 vcc, s94, v34
	v_ldexp_f32 v39, v39, v40
	v_mul_f32_e32 v40, 0x3fb8aa3b, v36
	v_fma_f32 v56, v36, s71, -v40
	v_rndne_f32_e32 v59, v40
	v_fmac_f32_e32 v56, 0x32a5705f, v36
	v_sub_f32_e32 v40, v40, v59
	v_add_f32_e32 v40, v40, v56
	v_exp_f32_e32 v40, v40
	v_cvt_i32_f32_e32 v56, v59
	v_cndmask_b32_e32 v39, 0, v39, vcc
	v_cmp_nlt_f32_e32 vcc, s95, v34
	v_ldexp_f32 v40, v40, v56
	s_nop 0
	v_cndmask_b32_e32 v39, v132, v39, vcc
	v_cmp_ngt_f32_e32 vcc, s94, v36
	v_add_f32_e32 v34, v38, v39
	v_cvt_pk_f16_f32 v188, v38, v39
	v_cndmask_b32_e32 v40, 0, v40, vcc
	v_cmp_nlt_f32_e32 vcc, s95, v36
	v_mul_f32_e32 v36, 0x3fb8aa3b, v35
	v_fma_f32 v56, v35, s71, -v36
	v_rndne_f32_e32 v59, v36
	v_fmac_f32_e32 v56, 0x32a5705f, v35
	v_sub_f32_e32 v36, v36, v59
	v_add_f32_e32 v36, v36, v56
	v_exp_f32_e32 v36, v36
	v_cvt_i32_f32_e32 v56, v59
	v_cndmask_b32_e32 v40, v132, v40, vcc
	v_cmp_ngt_f32_e32 vcc, s94, v35
	v_add_f32_e32 v34, v40, v34
	v_ldexp_f32 v36, v36, v56
	v_cndmask_b32_e32 v36, 0, v36, vcc
	v_cmp_nlt_f32_e32 vcc, s95, v35
	v_sub_f32_e32 v35, v57, v130
	s_nop 0
	v_cndmask_b32_e32 v56, v132, v36, vcc
	v_mul_f32_e32 v36, 0x3fb8aa3b, v35
	v_fma_f32 v57, v35, s71, -v36
	v_rndne_f32_e32 v59, v36
	v_fmac_f32_e32 v57, 0x32a5705f, v35
	v_sub_f32_e32 v36, v36, v59
	v_add_f32_e32 v36, v36, v57
	v_exp_f32_e32 v36, v36
	v_cvt_i32_f32_e32 v57, v59
	v_cmp_ngt_f32_e32 vcc, s94, v35
	v_add_f32_e32 v34, v56, v34
	v_cvt_pk_f16_f32 v189, v40, v56
	v_ldexp_f32 v36, v36, v57
	v_cndmask_b32_e32 v36, 0, v36, vcc
	v_cmp_nlt_f32_e32 vcc, s95, v35
	v_sub_f32_e32 v35, v37, v130
	s_nop 0
	v_cndmask_b32_e32 v57, v132, v36, vcc
	v_mul_f32_e32 v36, 0x3fb8aa3b, v35
	v_fma_f32 v37, v35, s71, -v36
	v_rndne_f32_e32 v59, v36
	v_fmac_f32_e32 v37, 0x32a5705f, v35
	v_sub_f32_e32 v36, v36, v59
	v_add_f32_e32 v36, v36, v37
	v_exp_f32_e32 v36, v36
	v_cvt_i32_f32_e32 v37, v59
	v_cmp_ngt_f32_e32 vcc, s94, v35
	v_add_f32_e32 v34, v57, v34
	v_ldexp_f32 v36, v36, v37
	v_cndmask_b32_e32 v36, 0, v36, vcc
	v_cmp_nlt_f32_e32 vcc, s95, v35
	v_sub_f32_e32 v35, v58, v130
	s_nop 0
	v_cndmask_b32_e32 v61, v132, v36, vcc
	v_mul_f32_e32 v36, 0x3fb8aa3b, v35
	v_fma_f32 v37, v35, s71, -v36
	v_rndne_f32_e32 v58, v36
	v_fmac_f32_e32 v37, 0x32a5705f, v35
	v_sub_f32_e32 v36, v36, v58
	v_add_f32_e32 v36, v36, v37
	v_exp_f32_e32 v36, v36
	v_cvt_i32_f32_e32 v37, v58
	v_cmp_ngt_f32_e32 vcc, s94, v35
	v_add_f32_e32 v34, v61, v34
	;; [unrolled: 16-line block ×3, first 2 shown]
	v_ldexp_f32 v36, v36, v37
	v_cndmask_b32_e32 v36, 0, v36, vcc
	v_cmp_nlt_f32_e32 vcc, s95, v35
	s_nop 1
	v_cndmask_b32_e32 v72, v132, v36, vcc
	v_add_f32_e32 v225, v72, v34
	v_sub_f32_e32 v34, v53, v130
	v_mul_f32_e32 v35, 0x3fb8aa3b, v34
	v_fma_f32 v36, v34, s71, -v35
	v_rndne_f32_e32 v37, v35
	v_fmac_f32_e32 v36, 0x32a5705f, v34
	v_sub_f32_e32 v35, v35, v37
	v_add_f32_e32 v35, v35, v36
	v_exp_f32_e32 v35, v35
	v_cvt_i32_f32_e32 v36, v37
	v_cmp_ngt_f32_e32 vcc, s94, v34
	v_ldexp_f32 v35, v35, v36
	s_nop 0
	v_cndmask_b32_e32 v35, 0, v35, vcc
	v_cmp_nlt_f32_e32 vcc, s95, v34
	s_nop 1
	v_cndmask_b32_e32 v35, v132, v35, vcc
	v_cmp_le_f32_e32 vcc, s97, v34
	s_nop 1
	v_cndmask_b32_e32 v34, 0, v35, vcc
	v_fmac_f32_e32 v225, v52, v34
	v_cvt_f16_f32_e32 v34, v34
	v_mul_u32_u24_e32 v34, 0x10001, v34
	v_pk_mul_f16 v49, v49, v34
	v_pk_mul_f16 v48, v48, v34
	;; [unrolled: 1-line block ×32, first 2 shown]
	v_lshl_add_u64 v[34:35], v[166:167], 0, s[14:15]
	v_lshl_add_u64 v[36:37], v[110:111], 2, v[34:35]
	v_lshl_add_u64 v[36:37], v[36:37], 0, v[98:99]
	v_lshl_add_u64 v[52:53], v[112:113], 2, v[34:35]
	v_lshl_add_u64 v[64:65], v[114:115], 2, v[34:35]
	v_lshl_add_u64 v[34:35], v[116:117], 2, v[34:35]
	v_lshl_add_u64 v[76:77], v[34:35], 0, v[98:99]
	global_load_dwordx4 v[34:37], v[36:37], off
	v_lshl_add_u64 v[52:53], v[52:53], 0, v[98:99]
	v_lshl_add_u64 v[64:65], v[64:65], 0, v[98:99]
	v_cvt_pk_f16_f32 v187, v69, v72
	v_cvt_pk_f16_f32 v186, v57, v61
	v_cvt_f32_f16_e32 v218, v43
	v_cvt_f32_f16_sdwa v219, v43 dst_sel:DWORD dst_unused:UNUSED_PAD src0_sel:WORD_1
	v_cvt_f32_f16_e32 v220, v42
	v_cvt_f32_f16_sdwa v221, v42 dst_sel:DWORD dst_unused:UNUSED_PAD src0_sel:WORD_1
	s_waitcnt vmcnt(0)
	ds_write_b128 v197, v[34:37]
	global_load_dwordx4 v[34:37], v[52:53], off
	s_waitcnt vmcnt(0)
	ds_write_b128 v236, v[34:37]
	global_load_dwordx4 v[34:37], v[64:65], off
	;; [unrolled: 3-line block ×3, first 2 shown]
	s_waitcnt vmcnt(0)
	ds_write_b128 v238, v[34:37]
	s_waitcnt lgkmcnt(0)
	s_barrier
	ds_read_u16 v44, v200 offset:528
	ds_read_u16 v52, v200 offset:1056
	v_cvt_f32_f16_e32 v36, v48
	v_cvt_f32_f16_sdwa v37, v48 dst_sel:DWORD dst_unused:UNUSED_PAD src0_sel:WORD_1
	ds_read_u16 v48, v201
	ds_read_u16 v53, v201 offset:32
	v_cvt_f32_f16_e32 v34, v49
	v_cvt_f32_f16_sdwa v35, v49 dst_sel:DWORD dst_unused:UNUSED_PAD src0_sel:WORD_1
	s_waitcnt lgkmcnt(1)
	v_perm_b32 v49, v48, v52, s98
	ds_read_u16 v48, v200
	ds_read_u16 v52, v200 offset:32
	s_waitcnt lgkmcnt(1)
	v_perm_b32 v48, v44, v48, s98
	s_nop 1
	v_mfma_f32_16x16x16_f16 v[34:37], v[48:49], v[188:189], v[34:37]
	ds_read_u16 v38, v200 offset:16896
	ds_read_u16 v40, v200 offset:17424
	;; [unrolled: 1-line block ×4, first 2 shown]
	s_nop 3
	v_cvt_f16_f32_e32 v34, v34
	v_cvt_f16_f32_e32 v35, v35
	;; [unrolled: 1-line block ×4, first 2 shown]
	s_waitcnt lgkmcnt(0)
	v_perm_b32 v39, v44, v39, s98
	v_perm_b32 v38, v40, v38, s98
	ds_read_u16 v44, v200 offset:560
	ds_read_u16 v48, v200 offset:1088
	v_cvt_f32_f16_e32 v34, v34
	v_cvt_f32_f16_e32 v35, v35
	;; [unrolled: 1-line block ×4, first 2 shown]
	s_waitcnt lgkmcnt(1)
	v_perm_b32 v44, v44, v52, s98
	v_cvt_f32_f16_e32 v40, v41
	v_mfma_f32_16x16x16_f16 v[34:37], v[38:39], v[186:187], v[34:37]
	v_cvt_f32_f16_e32 v38, v45
	v_cvt_f32_f16_sdwa v39, v45 dst_sel:DWORD dst_unused:UNUSED_PAD src0_sel:WORD_1
	s_waitcnt lgkmcnt(0)
	v_perm_b32 v45, v53, v48, s98
	v_cvt_f32_f16_sdwa v41, v41 dst_sel:DWORD dst_unused:UNUSED_PAD src0_sel:WORD_1
	s_nop 1
	v_mfma_f32_16x16x16_f16 v[38:41], v[44:45], v[188:189], v[38:41]
	ds_read_u16 v44, v200 offset:16928
	ds_read_u16 v48, v200 offset:17456
	;; [unrolled: 1-line block ×4, first 2 shown]
	s_nop 3
	v_cvt_f16_f32_e32 v38, v38
	v_cvt_f16_f32_e32 v39, v39
	;; [unrolled: 1-line block ×4, first 2 shown]
	s_waitcnt lgkmcnt(0)
	v_perm_b32 v45, v49, v45, s98
	v_perm_b32 v44, v48, v44, s98
	v_cvt_f32_f16_e32 v38, v38
	v_cvt_f32_f16_e32 v39, v39
	;; [unrolled: 1-line block ×4, first 2 shown]
	s_nop 1
	v_mfma_f32_16x16x16_f16 v[38:41], v[44:45], v[186:187], v[38:41]
	ds_read_u16 v44, v200 offset:64
	ds_read_u16 v45, v200 offset:592
	;; [unrolled: 1-line block ×4, first 2 shown]
	s_waitcnt lgkmcnt(2)
	v_perm_b32 v42, v45, v44, s98
	s_waitcnt lgkmcnt(0)
	v_perm_b32 v43, v49, v48, s98
	ds_read_u16 v48, v200 offset:16960
	ds_read_u16 v52, v200 offset:17488
	;; [unrolled: 1-line block ×4, first 2 shown]
	v_mfma_f32_16x16x16_f16 v[42:45], v[42:43], v[188:189], v[218:221]
	s_waitcnt lgkmcnt(0)
	v_perm_b32 v49, v53, v49, s98
	v_perm_b32 v48, v52, v48, s98
	v_cvt_f32_f16_e32 v218, v47
	s_nop 3
	v_cvt_f16_f32_e32 v42, v42
	v_cvt_f16_f32_e32 v43, v43
	;; [unrolled: 1-line block ×4, first 2 shown]
	v_cvt_f32_f16_e32 v42, v42
	v_cvt_f32_f16_e32 v43, v43
	v_cvt_f32_f16_e32 v44, v44
	v_cvt_f32_f16_e32 v45, v45
	v_cvt_f32_f16_sdwa v219, v47 dst_sel:DWORD dst_unused:UNUSED_PAD src0_sel:WORD_1
	v_cvt_f32_f16_e32 v220, v46
	v_mfma_f32_16x16x16_f16 v[42:45], v[48:49], v[186:187], v[42:45]
	ds_read_u16 v48, v200 offset:96
	ds_read_u16 v49, v200 offset:624
	;; [unrolled: 1-line block ×4, first 2 shown]
	v_cvt_f32_f16_sdwa v221, v46 dst_sel:DWORD dst_unused:UNUSED_PAD src0_sel:WORD_1
	s_waitcnt lgkmcnt(2)
	v_perm_b32 v46, v49, v48, s98
	s_nop 0
	v_cvt_pk_f16_f32 v43, v42, v43
	s_waitcnt lgkmcnt(0)
	v_perm_b32 v47, v53, v52, s98
	ds_read_u16 v52, v200 offset:16992
	ds_read_u16 v56, v200 offset:17520
	ds_read_u16 v53, v200 offset:18048
	ds_read_u16 v57, v201 offset:16992
	v_mfma_f32_16x16x16_f16 v[46:49], v[46:47], v[188:189], v[218:221]
	s_waitcnt lgkmcnt(0)
	v_perm_b32 v53, v57, v53, s98
	v_perm_b32 v52, v56, v52, s98
	v_cvt_f32_f16_e32 v218, v51
	s_nop 3
	v_cvt_f16_f32_e32 v46, v46
	v_cvt_f16_f32_e32 v47, v47
	v_cvt_f16_f32_e32 v48, v48
	v_cvt_f16_f32_e32 v49, v49
	v_cvt_f32_f16_e32 v46, v46
	v_cvt_f32_f16_e32 v47, v47
	v_cvt_f32_f16_e32 v48, v48
	v_cvt_f32_f16_e32 v49, v49
	v_cvt_f32_f16_sdwa v219, v51 dst_sel:DWORD dst_unused:UNUSED_PAD src0_sel:WORD_1
	v_cvt_f32_f16_e32 v220, v50
	v_mfma_f32_16x16x16_f16 v[46:49], v[52:53], v[186:187], v[46:49]
	ds_read_u16 v52, v200 offset:128
	ds_read_u16 v53, v200 offset:656
	ds_read_u16 v56, v200 offset:1184
	ds_read_u16 v57, v201 offset:128
	v_cvt_f32_f16_sdwa v221, v50 dst_sel:DWORD dst_unused:UNUSED_PAD src0_sel:WORD_1
	v_cvt_pk_f16_f32 v42, v44, v45
	s_waitcnt lgkmcnt(2)
	v_perm_b32 v50, v53, v52, s98
	v_cvt_pk_f16_f32 v47, v46, v47
	s_waitcnt lgkmcnt(0)
	v_perm_b32 v51, v57, v56, s98
	ds_read_u16 v56, v200 offset:17024
	ds_read_u16 v60, v200 offset:17552
	ds_read_u16 v57, v200 offset:18080
	ds_read_u16 v61, v201 offset:17024
	v_mfma_f32_16x16x16_f16 v[50:53], v[50:51], v[188:189], v[218:221]
	s_waitcnt lgkmcnt(0)
	v_perm_b32 v57, v61, v57, s98
	v_perm_b32 v56, v60, v56, s98
	v_cvt_f32_f16_e32 v218, v55
	s_nop 3
	v_cvt_f16_f32_e32 v50, v50
	v_cvt_f16_f32_e32 v51, v51
	v_cvt_f16_f32_e32 v52, v52
	v_cvt_f16_f32_e32 v53, v53
	v_cvt_f32_f16_e32 v50, v50
	v_cvt_f32_f16_e32 v51, v51
	v_cvt_f32_f16_e32 v52, v52
	v_cvt_f32_f16_e32 v53, v53
	v_cvt_f32_f16_sdwa v219, v55 dst_sel:DWORD dst_unused:UNUSED_PAD src0_sel:WORD_1
	v_cvt_f32_f16_e32 v220, v54
	v_mfma_f32_16x16x16_f16 v[50:53], v[56:57], v[186:187], v[50:53]
	ds_read_u16 v56, v200 offset:160
	ds_read_u16 v57, v200 offset:688
	ds_read_u16 v60, v200 offset:1216
	ds_read_u16 v61, v201 offset:160
	v_cvt_f32_f16_sdwa v221, v54 dst_sel:DWORD dst_unused:UNUSED_PAD src0_sel:WORD_1
	v_cvt_pk_f16_f32 v46, v48, v49
	s_waitcnt lgkmcnt(2)
	v_perm_b32 v54, v57, v56, s98
	;; [unrolled: 32-line block ×4, first 2 shown]
	v_cvt_pk_f16_f32 v60, v60, v61
	s_waitcnt lgkmcnt(0)
	v_perm_b32 v63, v69, v68, s98
	v_cvt_pk_f16_f32 v45, v38, v39
	v_cvt_pk_f16_f32 v44, v40, v41
	v_mfma_f32_16x16x16_f16 v[218:221], v[62:63], v[188:189], v[218:221]
	ds_read_u16 v62, v200 offset:17120
	ds_read_u16 v63, v200 offset:17648
	;; [unrolled: 1-line block ×4, first 2 shown]
	v_cvt_pk_f16_f32 v49, v34, v35
	v_cvt_pk_f16_f32 v48, v36, v37
	s_nop 1
	v_cvt_f16_f32_e32 v64, v218
	v_cvt_f16_f32_e32 v65, v219
	;; [unrolled: 1-line block ×4, first 2 shown]
	v_cvt_f32_f16_e32 v218, v64
	v_cvt_f32_f16_e32 v219, v65
	;; [unrolled: 1-line block ×4, first 2 shown]
	s_waitcnt lgkmcnt(0)
	v_perm_b32 v65, v73, v72, s98
	v_perm_b32 v64, v63, v62, s98
	ds_read_u16 v68, v200 offset:256
	ds_read_u16 v69, v200 offset:784
	;; [unrolled: 1-line block ×4, first 2 shown]
	v_mfma_f32_16x16x16_f16 v[62:65], v[64:65], v[186:187], v[218:221]
	s_nop 2
	v_cvt_f32_f16_e32 v218, v67
	v_cvt_f32_f16_sdwa v219, v67 dst_sel:DWORD dst_unused:UNUSED_PAD src0_sel:WORD_1
	v_cvt_f32_f16_e32 v220, v66
	v_cvt_f32_f16_sdwa v221, v66 dst_sel:DWORD dst_unused:UNUSED_PAD src0_sel:WORD_1
	s_waitcnt lgkmcnt(0)
	v_perm_b32 v67, v73, v72, s98
	v_perm_b32 v66, v69, v68, s98
	ds_read_u16 v72, v200 offset:17152
	ds_read_u16 v76, v200 offset:17680
	ds_read_u16 v73, v200 offset:18208
	ds_read_u16 v77, v201 offset:17152
	v_mfma_f32_16x16x16_f16 v[66:69], v[66:67], v[188:189], v[218:221]
	s_waitcnt lgkmcnt(0)
	v_perm_b32 v73, v77, v73, s98
	v_perm_b32 v72, v76, v72, s98
	v_cvt_f32_f16_e32 v218, v71
	s_nop 3
	v_cvt_f16_f32_e32 v66, v66
	v_cvt_f16_f32_e32 v67, v67
	v_cvt_f16_f32_e32 v68, v68
	v_cvt_f16_f32_e32 v69, v69
	v_cvt_f32_f16_e32 v66, v66
	v_cvt_f32_f16_e32 v67, v67
	v_cvt_f32_f16_e32 v68, v68
	v_cvt_f32_f16_e32 v69, v69
	v_cvt_f32_f16_sdwa v219, v71 dst_sel:DWORD dst_unused:UNUSED_PAD src0_sel:WORD_1
	v_cvt_f32_f16_e32 v220, v70
	v_mfma_f32_16x16x16_f16 v[66:69], v[72:73], v[186:187], v[66:69]
	ds_read_u16 v72, v200 offset:288
	ds_read_u16 v73, v200 offset:816
	ds_read_u16 v76, v200 offset:1344
	ds_read_u16 v77, v201 offset:288
	v_cvt_f32_f16_sdwa v221, v70 dst_sel:DWORD dst_unused:UNUSED_PAD src0_sel:WORD_1
	v_cvt_pk_f16_f32 v64, v64, v65
	s_waitcnt lgkmcnt(2)
	v_perm_b32 v70, v73, v72, s98
	v_cvt_pk_f16_f32 v67, v66, v67
	s_waitcnt lgkmcnt(0)
	v_perm_b32 v71, v77, v76, s98
	ds_read_u16 v76, v200 offset:17184
	ds_read_u16 v80, v200 offset:17712
	ds_read_u16 v77, v200 offset:18240
	ds_read_u16 v81, v201 offset:17184
	v_mfma_f32_16x16x16_f16 v[70:73], v[70:71], v[188:189], v[218:221]
	s_waitcnt lgkmcnt(0)
	v_perm_b32 v77, v81, v77, s98
	v_perm_b32 v76, v80, v76, s98
	v_cvt_f32_f16_e32 v218, v75
	s_nop 3
	v_cvt_f16_f32_e32 v70, v70
	v_cvt_f16_f32_e32 v71, v71
	v_cvt_f16_f32_e32 v72, v72
	v_cvt_f16_f32_e32 v73, v73
	v_cvt_f32_f16_e32 v70, v70
	v_cvt_f32_f16_e32 v71, v71
	v_cvt_f32_f16_e32 v72, v72
	v_cvt_f32_f16_e32 v73, v73
	v_cvt_f32_f16_sdwa v219, v75 dst_sel:DWORD dst_unused:UNUSED_PAD src0_sel:WORD_1
	v_cvt_f32_f16_e32 v220, v74
	v_mfma_f32_16x16x16_f16 v[70:73], v[76:77], v[186:187], v[70:73]
	ds_read_u16 v76, v200 offset:320
	ds_read_u16 v77, v200 offset:848
	ds_read_u16 v80, v200 offset:1376
	ds_read_u16 v81, v201 offset:320
	v_cvt_f32_f16_sdwa v221, v74 dst_sel:DWORD dst_unused:UNUSED_PAD src0_sel:WORD_1
	v_cvt_pk_f16_f32 v66, v68, v69
	s_waitcnt lgkmcnt(2)
	v_perm_b32 v74, v77, v76, s98
	v_cvt_pk_f16_f32 v71, v70, v71
	s_waitcnt lgkmcnt(0)
	;; [unrolled: 32-line block ×6, first 2 shown]
	v_perm_b32 v91, v128, v98, s98
	v_cvt_pk_f16_f32 v86, v88, v89
	v_cvt_pk_f16_f32 v68, v62, v63
	v_mfma_f32_16x16x16_f16 v[90:93], v[90:91], v[188:189], v[218:221]
	ds_read_u16 v98, v200 offset:17344
	ds_read_u16 v128, v200 offset:17872
	s_nop 0
	ds_read_u16 v218, v200 offset:18400
	ds_read_u16 v219, v201 offset:17344
	v_cvt_f32_f16_e32 v220, v226
	v_cvt_f32_f16_sdwa v221, v226 dst_sel:DWORD dst_unused:UNUSED_PAD src0_sel:WORD_1
	s_nop 0
	v_cvt_f16_f32_e32 v90, v90
	v_cvt_f16_f32_e32 v91, v91
	;; [unrolled: 1-line block ×4, first 2 shown]
	s_waitcnt lgkmcnt(0)
	v_perm_b32 v219, v219, v218, s98
	v_perm_b32 v218, v128, v98, s98
	ds_read_u16 v98, v200 offset:480
	ds_read_u16 v128, v200 offset:1008
	ds_read_u16 v222, v200 offset:1536
	ds_read_u16 v223, v201 offset:480
	v_cvt_f32_f16_e32 v90, v90
	v_cvt_f32_f16_e32 v91, v91
	;; [unrolled: 1-line block ×4, first 2 shown]
	s_waitcnt lgkmcnt(0)
	v_perm_b32 v223, v223, v222, s98
	v_perm_b32 v222, v128, v98, s98
	v_mfma_f32_16x16x16_f16 v[90:93], v[218:219], v[186:187], v[90:93]
	v_cvt_f32_f16_e32 v218, v224
	v_cvt_f32_f16_sdwa v219, v224 dst_sel:DWORD dst_unused:UNUSED_PAD src0_sel:WORD_1
	v_cvt_pk_f16_f32 v65, v58, v59
	s_nop 0
	v_mfma_f32_16x16x16_f16 v[218:221], v[222:223], v[188:189], v[218:221]
	ds_read_u16 v98, v200 offset:17376
	ds_read_u16 v188, v200 offset:17904
	;; [unrolled: 1-line block ×4, first 2 shown]
	v_cvt_pk_f16_f32 v91, v90, v91
	v_cvt_pk_f16_f32 v90, v92, v93
	s_nop 1
	v_cvt_f16_f32_e32 v189, v218
	v_cvt_f16_f32_e32 v224, v219
	;; [unrolled: 1-line block ×4, first 2 shown]
	v_cvt_f32_f16_e32 v218, v189
	s_waitcnt lgkmcnt(0)
	v_perm_b32 v189, v222, v128, s98
	v_perm_b32 v188, v188, v98, s98
	v_cvt_f32_f16_e32 v219, v224
	v_cvt_f32_f16_e32 v220, v226
	;; [unrolled: 1-line block ×3, first 2 shown]
	s_barrier
	s_nop 0
	v_mfma_f32_16x16x16_f16 v[186:189], v[188:189], v[186:187], v[218:221]
	s_nop 7
	v_cvt_pk_f16_f32 v186, v186, v187
	v_cvt_pk_f16_f32 v187, v188, v189
	s_cbranch_scc0 .LBB32_86
; %bb.83:                               ;   in Loop: Header=BB32_50 Depth=2
	v_mov_b32_e32 v52, v225
	v_mov_b32_e32 v53, v130
	s_ashr_i32 s11, s10, 31
	s_and_saveexec_b64 s[14:15], s[0:1]
	s_cbranch_execnz .LBB32_49
	s_branch .LBB32_50
.LBB32_84:                              ;   in Loop: Header=BB32_12 Depth=1
	s_cbranch_execz .LBB32_11
	s_branch .LBB32_289
.LBB32_85:                              ;   in Loop: Header=BB32_12 Depth=1
	v_mov_b32_e32 v130, 0xfeffffff
	v_mov_b32_e32 v225, 0
	;; [unrolled: 1-line block ×34, first 2 shown]
.LBB32_86:                              ;   in Loop: Header=BB32_12 Depth=1
	s_lshl_b32 s10, s35, 6
	s_ashr_i32 s11, s10, 31
	s_and_saveexec_b64 s[14:15], s[0:1]
	s_cbranch_execz .LBB32_88
; %bb.87:                               ;   in Loop: Header=BB32_12 Depth=1
	v_or_b32_e32 v36, v143, v196
	v_mul_hi_u32 v37, s44, v36
	v_add_u32_e32 v37, v36, v37
	v_lshrrev_b32_e32 v37, s45, v37
	v_mul_lo_u32 v37, v37, s36
	s_lshl_b64 s[76:77], s[10:11], 1
	v_sub_u32_e32 v36, v36, v37
	v_lshl_add_u64 v[34:35], v[170:171], 0, s[76:77]
	v_mad_i64_i32 v[36:37], s[76:77], v36, s48, 0
	v_lshl_add_u64 v[34:35], v[36:37], 1, v[34:35]
	v_lshlrev_b32_e32 v98, 1, v100
	v_lshl_add_u64 v[34:35], v[34:35], 0, v[98:99]
	global_load_dword v34, v[34:35], off
	s_waitcnt vmcnt(0)
	ds_write_b32 v206, v34 offset:33792
.LBB32_88:                              ;   in Loop: Header=BB32_12 Depth=1
	s_or_b64 exec, exec, s[14:15]
	s_mul_hi_i32 s15, s10, s46
	s_mul_i32 s14, s10, s46
	s_lshl_b64 s[14:15], s[14:15], 2
	v_lshl_add_u64 v[34:35], v[168:169], 0, s[14:15]
	v_lshl_add_u64 v[36:37], v[102:103], 2, v[34:35]
	v_lshlrev_b32_e32 v98, 2, v96
	v_lshl_add_u64 v[38:39], v[104:105], 2, v[34:35]
	v_lshl_add_u64 v[36:37], v[36:37], 0, v[98:99]
	;; [unrolled: 1-line block ×7, first 2 shown]
	global_load_dwordx4 v[34:37], v[36:37], off
	s_nop 0
	global_load_dwordx4 v[38:41], v[38:39], off
	s_nop 0
	global_load_dwordx4 v[56:59], v[52:53], off
	global_load_dwordx4 v[218:221], v[62:63], off
	v_add_u32_e32 v52, 0x4000, v198
	s_waitcnt vmcnt(3)
	ds_write_b128 v197, v[34:37]
	s_waitcnt vmcnt(2)
	ds_write_b128 v236, v[38:41]
	;; [unrolled: 2-line block ×4, first 2 shown]
	s_waitcnt lgkmcnt(0)
	s_barrier
	ds_read2_b64 v[34:37], v198 offset1:4
	ds_read2_b64 v[56:59], v52 offset0:64 offset1:68
	s_waitcnt lgkmcnt(1)
	v_mfma_f32_16x16x16_f16 v[38:41], v[34:35], v[30:31], 0
	s_waitcnt lgkmcnt(0)
	v_mfma_f32_16x16x16_f16 v[218:221], v[56:57], v[30:31], 0
	v_mfma_f32_16x16x16_f16 v[34:37], v[36:37], v[32:33], v[38:41]
	;; [unrolled: 1-line block ×3, first 2 shown]
	s_nop 3
	ds_read2_b64 v[38:41], v198 offset0:8 offset1:12
	ds_read2_b64 v[56:59], v52 offset0:72 offset1:76
	s_waitcnt lgkmcnt(1)
	v_mfma_f32_16x16x16_f16 v[34:37], v[38:39], v[26:27], v[34:37]
	s_waitcnt lgkmcnt(0)
	v_mfma_f32_16x16x16_f16 v[30:33], v[56:57], v[26:27], v[30:33]
	v_mfma_f32_16x16x16_f16 v[34:37], v[40:41], v[28:29], v[34:37]
	ds_read2_b64 v[38:41], v52 offset0:80 offset1:84
	v_mfma_f32_16x16x16_f16 v[26:29], v[58:59], v[28:29], v[30:33]
	s_nop 4
	ds_read2_b64 v[30:33], v198 offset0:16 offset1:20
	s_waitcnt lgkmcnt(0)
	v_mfma_f32_16x16x16_f16 v[34:37], v[30:31], v[22:23], v[34:37]
	v_mfma_f32_16x16x16_f16 v[26:29], v[38:39], v[22:23], v[26:29]
	v_mfma_f32_16x16x16_f16 v[30:33], v[32:33], v[24:25], v[34:37]
	v_mfma_f32_16x16x16_f16 v[22:25], v[40:41], v[24:25], v[26:29]
	s_nop 4
	ds_read2_b64 v[34:37], v52 offset0:88 offset1:92
	ds_read2_b64 v[26:29], v198 offset0:24 offset1:28
	s_waitcnt lgkmcnt(0)
	v_mfma_f32_16x16x16_f16 v[30:33], v[26:27], v[18:19], v[30:33]
	v_mfma_f32_16x16x16_f16 v[22:25], v[34:35], v[18:19], v[22:25]
	v_mfma_f32_16x16x16_f16 v[26:29], v[28:29], v[20:21], v[30:33]
	v_mfma_f32_16x16x16_f16 v[18:21], v[36:37], v[20:21], v[22:25]
	s_nop 4
	ds_read2_b64 v[30:33], v52 offset0:96 offset1:100
	;; [unrolled: 8-line block ×5, first 2 shown]
	ds_read2_b64 v[10:13], v198 offset0:56 offset1:60
	s_waitcnt lgkmcnt(0)
	v_mfma_f32_16x16x16_f16 v[14:17], v[10:11], v[2:3], v[14:17]
	s_barrier
	v_mfma_f32_16x16x16_f16 v[22:25], v[18:19], v[2:3], v[6:9]
                                        ; implicit-def: $vgpr10
	v_mfma_f32_16x16x16_f16 v[6:9], v[12:13], v[4:5], v[14:17]
	v_mfma_f32_16x16x16_f16 v[2:5], v[20:21], v[4:5], v[22:25]
	s_nop 6
	v_cmp_nlt_f32_e64 s[14:15], |v6|, s49
	s_and_saveexec_b64 s[76:77], s[14:15]
	s_xor_b64 s[14:15], exec, s[76:77]
	s_cbranch_execz .LBB32_90
; %bb.89:                               ;   in Loop: Header=BB32_12 Depth=1
	v_add_f32_e64 v10, |v6|, |v6|
	v_mul_f32_e32 v11, 0x3fb8aa3b, v10
	v_rndne_f32_e32 v12, v11
	v_sub_f32_e32 v13, v11, v12
	v_fma_f32 v11, v10, s71, -v11
	v_fmac_f32_e32 v11, 0x32a5705f, v10
	v_add_f32_e32 v11, v13, v11
	v_cvt_i32_f32_e32 v12, v12
	v_exp_f32_e32 v11, v11
	v_cmp_ngt_f32_e32 vcc, s94, v10
	v_ldexp_f32 v11, v11, v12
	s_nop 0
	v_cndmask_b32_e32 v11, 0, v11, vcc
	v_cmp_nlt_f32_e32 vcc, s95, v10
	s_nop 1
	v_cndmask_b32_e32 v10, v132, v11, vcc
	v_add_f32_e32 v10, 1.0, v10
	v_rcp_f32_e32 v10, v10
	s_nop 0
	v_fma_f32 v10, v10, -2.0, 1.0
.LBB32_90:                              ;   in Loop: Header=BB32_12 Depth=1
	s_andn2_saveexec_b64 s[14:15], s[14:15]
; %bb.91:                               ;   in Loop: Header=BB32_12 Depth=1
	v_mul_f32_e32 v10, v6, v6
	v_fmamk_f32 v11, v10, 0xbbbac73d, v227
	v_fmaak_f32 v11, v10, v11, 0xbd5c1c4e
	v_fmaak_f32 v11, v10, v11, 0x3e088382
	;; [unrolled: 1-line block ×3, first 2 shown]
	v_mul_f32_e64 v11, |v6|, v11
	v_fma_f32 v10, v10, v11, |v6|
; %bb.92:                               ;   in Loop: Header=BB32_12 Depth=1
	s_or_b64 exec, exec, s[14:15]
	v_cmp_nlt_f32_e64 s[14:15], |v7|, s49
                                        ; implicit-def: $vgpr11
	s_and_saveexec_b64 s[76:77], s[14:15]
	s_xor_b64 s[14:15], exec, s[76:77]
	s_cbranch_execz .LBB32_94
; %bb.93:                               ;   in Loop: Header=BB32_12 Depth=1
	v_add_f32_e64 v11, |v7|, |v7|
	v_mul_f32_e32 v12, 0x3fb8aa3b, v11
	v_rndne_f32_e32 v13, v12
	v_sub_f32_e32 v14, v12, v13
	v_fma_f32 v12, v11, s71, -v12
	v_fmac_f32_e32 v12, 0x32a5705f, v11
	v_add_f32_e32 v12, v14, v12
	v_cvt_i32_f32_e32 v13, v13
	v_exp_f32_e32 v12, v12
	v_cmp_ngt_f32_e32 vcc, s94, v11
	v_ldexp_f32 v12, v12, v13
	s_nop 0
	v_cndmask_b32_e32 v12, 0, v12, vcc
	v_cmp_nlt_f32_e32 vcc, s95, v11
	s_nop 1
	v_cndmask_b32_e32 v11, v132, v12, vcc
	v_add_f32_e32 v11, 1.0, v11
	v_rcp_f32_e32 v11, v11
	s_nop 0
	v_fma_f32 v11, v11, -2.0, 1.0
.LBB32_94:                              ;   in Loop: Header=BB32_12 Depth=1
	s_andn2_saveexec_b64 s[14:15], s[14:15]
; %bb.95:                               ;   in Loop: Header=BB32_12 Depth=1
	v_mul_f32_e32 v11, v7, v7
	v_fmamk_f32 v12, v11, 0xbbbac73d, v227
	v_fmaak_f32 v12, v11, v12, 0xbd5c1c4e
	v_fmaak_f32 v12, v11, v12, 0x3e088382
	;; [unrolled: 1-line block ×3, first 2 shown]
	v_mul_f32_e64 v12, |v7|, v12
	v_fma_f32 v11, v11, v12, |v7|
; %bb.96:                               ;   in Loop: Header=BB32_12 Depth=1
	s_or_b64 exec, exec, s[14:15]
	v_cmp_nlt_f32_e64 s[14:15], |v8|, s49
                                        ; implicit-def: $vgpr12
	s_and_saveexec_b64 s[76:77], s[14:15]
	s_xor_b64 s[14:15], exec, s[76:77]
	s_cbranch_execz .LBB32_98
; %bb.97:                               ;   in Loop: Header=BB32_12 Depth=1
	v_add_f32_e64 v12, |v8|, |v8|
	v_mul_f32_e32 v13, 0x3fb8aa3b, v12
	v_rndne_f32_e32 v14, v13
	v_sub_f32_e32 v15, v13, v14
	v_fma_f32 v13, v12, s71, -v13
	v_fmac_f32_e32 v13, 0x32a5705f, v12
	v_add_f32_e32 v13, v15, v13
	v_cvt_i32_f32_e32 v14, v14
	v_exp_f32_e32 v13, v13
	v_cmp_ngt_f32_e32 vcc, s94, v12
	v_ldexp_f32 v13, v13, v14
	s_nop 0
	v_cndmask_b32_e32 v13, 0, v13, vcc
	v_cmp_nlt_f32_e32 vcc, s95, v12
	s_nop 1
	v_cndmask_b32_e32 v12, v132, v13, vcc
	v_add_f32_e32 v12, 1.0, v12
	v_rcp_f32_e32 v12, v12
	s_nop 0
	v_fma_f32 v12, v12, -2.0, 1.0
.LBB32_98:                              ;   in Loop: Header=BB32_12 Depth=1
	s_andn2_saveexec_b64 s[14:15], s[14:15]
; %bb.99:                               ;   in Loop: Header=BB32_12 Depth=1
	v_mul_f32_e32 v12, v8, v8
	v_fmamk_f32 v13, v12, 0xbbbac73d, v227
	v_fmaak_f32 v13, v12, v13, 0xbd5c1c4e
	v_fmaak_f32 v13, v12, v13, 0x3e088382
	;; [unrolled: 1-line block ×3, first 2 shown]
	v_mul_f32_e64 v13, |v8|, v13
	v_fma_f32 v12, v12, v13, |v8|
; %bb.100:                              ;   in Loop: Header=BB32_12 Depth=1
	s_or_b64 exec, exec, s[14:15]
	v_cmp_nlt_f32_e64 s[14:15], |v9|, s49
                                        ; implicit-def: $vgpr13
	s_and_saveexec_b64 s[76:77], s[14:15]
	s_xor_b64 s[14:15], exec, s[76:77]
	s_cbranch_execz .LBB32_102
; %bb.101:                              ;   in Loop: Header=BB32_12 Depth=1
	v_add_f32_e64 v13, |v9|, |v9|
	v_mul_f32_e32 v14, 0x3fb8aa3b, v13
	v_rndne_f32_e32 v15, v14
	v_sub_f32_e32 v16, v14, v15
	v_fma_f32 v14, v13, s71, -v14
	v_fmac_f32_e32 v14, 0x32a5705f, v13
	v_add_f32_e32 v14, v16, v14
	v_cvt_i32_f32_e32 v15, v15
	v_exp_f32_e32 v14, v14
	v_cmp_ngt_f32_e32 vcc, s94, v13
	v_ldexp_f32 v14, v14, v15
	s_nop 0
	v_cndmask_b32_e32 v14, 0, v14, vcc
	v_cmp_nlt_f32_e32 vcc, s95, v13
	s_nop 1
	v_cndmask_b32_e32 v13, v132, v14, vcc
	v_add_f32_e32 v13, 1.0, v13
	v_rcp_f32_e32 v13, v13
	s_nop 0
	v_fma_f32 v13, v13, -2.0, 1.0
.LBB32_102:                             ;   in Loop: Header=BB32_12 Depth=1
	s_andn2_saveexec_b64 s[14:15], s[14:15]
; %bb.103:                              ;   in Loop: Header=BB32_12 Depth=1
	v_mul_f32_e32 v13, v9, v9
	v_fmamk_f32 v14, v13, 0xbbbac73d, v227
	v_fmaak_f32 v14, v13, v14, 0xbd5c1c4e
	v_fmaak_f32 v14, v13, v14, 0x3e088382
	v_fmaak_f32 v14, v13, v14, 0xbeaaaa99
	v_mul_f32_e64 v14, |v9|, v14
	v_fma_f32 v13, v13, v14, |v9|
; %bb.104:                              ;   in Loop: Header=BB32_12 Depth=1
	s_or_b64 exec, exec, s[14:15]
	v_cmp_nlt_f32_e64 s[14:15], |v2|, s49
                                        ; implicit-def: $vgpr14
	s_and_saveexec_b64 s[76:77], s[14:15]
	s_xor_b64 s[14:15], exec, s[76:77]
	s_cbranch_execz .LBB32_106
; %bb.105:                              ;   in Loop: Header=BB32_12 Depth=1
	v_add_f32_e64 v14, |v2|, |v2|
	v_mul_f32_e32 v15, 0x3fb8aa3b, v14
	v_rndne_f32_e32 v16, v15
	v_sub_f32_e32 v17, v15, v16
	v_fma_f32 v15, v14, s71, -v15
	v_fmac_f32_e32 v15, 0x32a5705f, v14
	v_add_f32_e32 v15, v17, v15
	v_cvt_i32_f32_e32 v16, v16
	v_exp_f32_e32 v15, v15
	v_cmp_ngt_f32_e32 vcc, s94, v14
	v_ldexp_f32 v15, v15, v16
	s_nop 0
	v_cndmask_b32_e32 v15, 0, v15, vcc
	v_cmp_nlt_f32_e32 vcc, s95, v14
	s_nop 1
	v_cndmask_b32_e32 v14, v132, v15, vcc
	v_add_f32_e32 v14, 1.0, v14
	v_rcp_f32_e32 v14, v14
	s_nop 0
	v_fma_f32 v14, v14, -2.0, 1.0
.LBB32_106:                             ;   in Loop: Header=BB32_12 Depth=1
	s_andn2_saveexec_b64 s[14:15], s[14:15]
; %bb.107:                              ;   in Loop: Header=BB32_12 Depth=1
	v_mul_f32_e32 v14, v2, v2
	v_fmamk_f32 v15, v14, 0xbbbac73d, v227
	v_fmaak_f32 v15, v14, v15, 0xbd5c1c4e
	v_fmaak_f32 v15, v14, v15, 0x3e088382
	;; [unrolled: 1-line block ×3, first 2 shown]
	v_mul_f32_e64 v15, |v2|, v15
	v_fma_f32 v14, v14, v15, |v2|
; %bb.108:                              ;   in Loop: Header=BB32_12 Depth=1
	s_or_b64 exec, exec, s[14:15]
	v_cmp_nlt_f32_e64 s[14:15], |v3|, s49
                                        ; implicit-def: $vgpr15
	s_and_saveexec_b64 s[76:77], s[14:15]
	s_xor_b64 s[14:15], exec, s[76:77]
	s_cbranch_execz .LBB32_110
; %bb.109:                              ;   in Loop: Header=BB32_12 Depth=1
	v_add_f32_e64 v15, |v3|, |v3|
	v_mul_f32_e32 v16, 0x3fb8aa3b, v15
	v_rndne_f32_e32 v17, v16
	v_sub_f32_e32 v18, v16, v17
	v_fma_f32 v16, v15, s71, -v16
	v_fmac_f32_e32 v16, 0x32a5705f, v15
	v_add_f32_e32 v16, v18, v16
	v_cvt_i32_f32_e32 v17, v17
	v_exp_f32_e32 v16, v16
	v_cmp_ngt_f32_e32 vcc, s94, v15
	v_ldexp_f32 v16, v16, v17
	s_nop 0
	v_cndmask_b32_e32 v16, 0, v16, vcc
	v_cmp_nlt_f32_e32 vcc, s95, v15
	s_nop 1
	v_cndmask_b32_e32 v15, v132, v16, vcc
	v_add_f32_e32 v15, 1.0, v15
	v_rcp_f32_e32 v15, v15
	s_nop 0
	v_fma_f32 v15, v15, -2.0, 1.0
.LBB32_110:                             ;   in Loop: Header=BB32_12 Depth=1
	s_andn2_saveexec_b64 s[14:15], s[14:15]
; %bb.111:                              ;   in Loop: Header=BB32_12 Depth=1
	v_mul_f32_e32 v15, v3, v3
	v_fmamk_f32 v16, v15, 0xbbbac73d, v227
	v_fmaak_f32 v16, v15, v16, 0xbd5c1c4e
	v_fmaak_f32 v16, v15, v16, 0x3e088382
	;; [unrolled: 1-line block ×3, first 2 shown]
	v_mul_f32_e64 v16, |v3|, v16
	v_fma_f32 v15, v15, v16, |v3|
; %bb.112:                              ;   in Loop: Header=BB32_12 Depth=1
	s_or_b64 exec, exec, s[14:15]
	v_cmp_nlt_f32_e64 s[14:15], |v4|, s49
                                        ; implicit-def: $vgpr16
	s_and_saveexec_b64 s[76:77], s[14:15]
	s_xor_b64 s[14:15], exec, s[76:77]
	s_cbranch_execz .LBB32_114
; %bb.113:                              ;   in Loop: Header=BB32_12 Depth=1
	v_add_f32_e64 v16, |v4|, |v4|
	v_mul_f32_e32 v17, 0x3fb8aa3b, v16
	v_rndne_f32_e32 v18, v17
	v_sub_f32_e32 v19, v17, v18
	v_fma_f32 v17, v16, s71, -v17
	v_fmac_f32_e32 v17, 0x32a5705f, v16
	v_add_f32_e32 v17, v19, v17
	v_cvt_i32_f32_e32 v18, v18
	v_exp_f32_e32 v17, v17
	v_cmp_ngt_f32_e32 vcc, s94, v16
	v_ldexp_f32 v17, v17, v18
	s_nop 0
	v_cndmask_b32_e32 v17, 0, v17, vcc
	v_cmp_nlt_f32_e32 vcc, s95, v16
	s_nop 1
	v_cndmask_b32_e32 v16, v132, v17, vcc
	v_add_f32_e32 v16, 1.0, v16
	v_rcp_f32_e32 v16, v16
	s_nop 0
	v_fma_f32 v16, v16, -2.0, 1.0
.LBB32_114:                             ;   in Loop: Header=BB32_12 Depth=1
	s_andn2_saveexec_b64 s[14:15], s[14:15]
; %bb.115:                              ;   in Loop: Header=BB32_12 Depth=1
	v_mul_f32_e32 v16, v4, v4
	v_fmamk_f32 v17, v16, 0xbbbac73d, v227
	v_fmaak_f32 v17, v16, v17, 0xbd5c1c4e
	v_fmaak_f32 v17, v16, v17, 0x3e088382
	;; [unrolled: 1-line block ×3, first 2 shown]
	v_mul_f32_e64 v17, |v4|, v17
	v_fma_f32 v16, v16, v17, |v4|
; %bb.116:                              ;   in Loop: Header=BB32_12 Depth=1
	s_or_b64 exec, exec, s[14:15]
	v_cmp_nlt_f32_e64 s[14:15], |v5|, s49
                                        ; implicit-def: $vgpr17
	s_and_saveexec_b64 s[76:77], s[14:15]
	s_xor_b64 s[14:15], exec, s[76:77]
	s_cbranch_execz .LBB32_118
; %bb.117:                              ;   in Loop: Header=BB32_12 Depth=1
	v_add_f32_e64 v17, |v5|, |v5|
	v_mul_f32_e32 v18, 0x3fb8aa3b, v17
	v_rndne_f32_e32 v19, v18
	v_sub_f32_e32 v20, v18, v19
	v_fma_f32 v18, v17, s71, -v18
	v_fmac_f32_e32 v18, 0x32a5705f, v17
	v_add_f32_e32 v18, v20, v18
	v_cvt_i32_f32_e32 v19, v19
	v_exp_f32_e32 v18, v18
	v_cmp_ngt_f32_e32 vcc, s94, v17
	v_ldexp_f32 v18, v18, v19
	s_nop 0
	v_cndmask_b32_e32 v18, 0, v18, vcc
	v_cmp_nlt_f32_e32 vcc, s95, v17
	s_nop 1
	v_cndmask_b32_e32 v17, v132, v18, vcc
	v_add_f32_e32 v17, 1.0, v17
	v_rcp_f32_e32 v17, v17
	s_nop 0
	v_fma_f32 v17, v17, -2.0, 1.0
.LBB32_118:                             ;   in Loop: Header=BB32_12 Depth=1
	s_andn2_saveexec_b64 s[14:15], s[14:15]
; %bb.119:                              ;   in Loop: Header=BB32_12 Depth=1
	v_mul_f32_e32 v17, v5, v5
	v_fmamk_f32 v18, v17, 0xbbbac73d, v227
	v_fmaak_f32 v18, v17, v18, 0xbd5c1c4e
	v_fmaak_f32 v18, v17, v18, 0x3e088382
	;; [unrolled: 1-line block ×3, first 2 shown]
	v_mul_f32_e64 v18, |v5|, v18
	v_fma_f32 v17, v17, v18, |v5|
; %bb.120:                              ;   in Loop: Header=BB32_12 Depth=1
	s_or_b64 exec, exec, s[14:15]
	v_bfi_b32 v14, s96, v14, v2
	v_add_u32_e32 v2, 0x8400, v199
	v_bfi_b32 v15, s96, v15, v3
	ds_read2_b32 v[2:3], v2 offset1:1
	v_bfi_b32 v6, s96, v10, v6
	v_bfi_b32 v7, s96, v11, v7
	ds_read_b32 v10, v207 offset:33792
	v_bfi_b32 v4, s96, v16, v4
	s_waitcnt lgkmcnt(1)
	v_fma_mix_f32 v6, s3, v6, v2 op_sel_hi:[0,0,1]
	v_fma_mix_f32 v2, s3, v7, v2 op_sel:[0,0,1] op_sel_hi:[0,0,1]
	ds_read_b32 v7, v208 offset:33792
	v_bfi_b32 v9, s96, v13, v9
	v_bfi_b32 v8, s96, v12, v8
	;; [unrolled: 1-line block ×3, first 2 shown]
	v_fma_mix_f32 v8, s3, v8, v3 op_sel_hi:[0,0,1]
	v_fma_mix_f32 v3, s3, v9, v3 op_sel:[0,0,1] op_sel_hi:[0,0,1]
	s_waitcnt lgkmcnt(0)
	v_fma_mix_f32 v16, s3, v4, v7 op_sel_hi:[0,0,1]
	v_fma_mix_f32 v17, s3, v5, v7 op_sel:[0,0,1] op_sel_hi:[0,0,1]
	v_add_f32_e32 v4, 0x40051340, v6
	v_add_f32_e32 v5, 0x40051340, v2
	v_fma_mix_f32 v9, s3, v14, v10 op_sel_hi:[0,0,1]
	v_fma_mix_f32 v10, s3, v15, v10 op_sel:[0,0,1] op_sel_hi:[0,0,1]
	v_max3_f32 v4, v130, v4, v5
	v_add_f32_e32 v5, 0x40051340, v8
	v_add_f32_e32 v7, 0x40051340, v3
	v_max3_f32 v4, v4, v5, v7
	v_add_f32_e32 v5, 0x40051340, v9
	v_add_f32_e32 v7, 0x40051340, v10
	v_max3_f32 v4, v4, v5, v7
	v_add_f32_e32 v5, 0x40051340, v16
	v_add_f32_e32 v7, 0x40051340, v17
	v_max3_f32 v4, v4, v5, v7
	v_and_b32_e32 v5, 64, v234
	v_add_u32_e32 v5, 64, v5
	v_xor_b32_e32 v7, 32, v234
	v_cmp_lt_i32_e32 vcc, v7, v5
	s_mul_hi_i32 s11, s10, s38
	s_mul_i32 s10, s10, s38
	v_cndmask_b32_e32 v7, v234, v7, vcc
	v_lshlrev_b32_e32 v59, 2, v7
	ds_bpermute_b32 v7, v59, v4
	s_lshl_b64 s[10:11], s[10:11], 2
	s_waitcnt lgkmcnt(0)
	v_max_f32_e32 v7, v7, v7
	v_max_f32_e32 v4, v4, v7
	v_xor_b32_e32 v7, 16, v234
	v_cmp_lt_i32_e32 vcc, v7, v5
	s_nop 1
	v_cndmask_b32_e32 v5, v234, v7, vcc
	v_lshlrev_b32_e32 v62, 2, v5
	ds_bpermute_b32 v5, v62, v4
	s_waitcnt lgkmcnt(0)
	v_max_f32_e32 v5, v5, v5
	v_max_f32_e32 v58, v4, v5
	v_sub_f32_e32 v4, v6, v58
	v_mul_f32_e32 v5, 0x3fb8aa3b, v4
	v_fma_f32 v6, v4, s71, -v5
	v_rndne_f32_e32 v7, v5
	v_fmac_f32_e32 v6, 0x32a5705f, v4
	v_sub_f32_e32 v5, v5, v7
	v_add_f32_e32 v5, v5, v6
	v_exp_f32_e32 v5, v5
	v_cvt_i32_f32_e32 v6, v7
	v_cmp_ngt_f32_e32 vcc, s94, v4
	v_sub_f32_e32 v3, v3, v58
	v_sub_f32_e32 v18, v9, v58
	v_ldexp_f32 v5, v5, v6
	v_sub_f32_e32 v6, v2, v58
	v_mul_f32_e32 v2, 0x3fb8aa3b, v6
	v_fma_f32 v7, v6, s71, -v2
	v_rndne_f32_e32 v11, v2
	v_fmac_f32_e32 v7, 0x32a5705f, v6
	v_sub_f32_e32 v2, v2, v11
	v_add_f32_e32 v2, v2, v7
	v_exp_f32_e32 v7, v2
	v_cvt_i32_f32_e32 v11, v11
	v_cndmask_b32_e32 v2, 0, v5, vcc
	v_sub_f32_e32 v5, v8, v58
	v_cmp_nlt_f32_e32 vcc, s95, v4
	v_ldexp_f32 v4, v7, v11
	v_mul_f32_e32 v7, 0x3fb8aa3b, v5
	v_fma_f32 v8, v5, s71, -v7
	v_rndne_f32_e32 v11, v7
	v_fmac_f32_e32 v8, 0x32a5705f, v5
	v_sub_f32_e32 v7, v7, v11
	v_add_f32_e32 v7, v7, v8
	v_exp_f32_e32 v7, v7
	v_cvt_i32_f32_e32 v8, v11
	v_cndmask_b32_e32 v2, v132, v2, vcc
	v_cmp_ngt_f32_e32 vcc, s94, v6
	v_sub_f32_e32 v23, v10, v58
	v_sub_f32_e32 v17, v17, v58
	v_cndmask_b32_e32 v4, 0, v4, vcc
	v_cmp_nlt_f32_e32 vcc, s95, v6
	v_ldexp_f32 v6, v7, v8
	v_mul_f32_e32 v7, 0x3fb8aa3b, v3
	v_fma_f32 v8, v3, s71, -v7
	v_rndne_f32_e32 v11, v7
	v_fmac_f32_e32 v8, 0x32a5705f, v3
	v_sub_f32_e32 v7, v7, v11
	v_add_f32_e32 v7, v7, v8
	v_exp_f32_e32 v7, v7
	v_cvt_i32_f32_e32 v8, v11
	v_cndmask_b32_e32 v20, v132, v4, vcc
	v_cmp_ngt_f32_e32 vcc, s94, v5
	v_add_f32_e32 v4, v2, v20
	s_nop 0
	v_cndmask_b32_e32 v6, 0, v6, vcc
	v_cmp_nlt_f32_e32 vcc, s95, v5
	v_ldexp_f32 v5, v7, v8
	s_nop 0
	v_cndmask_b32_e32 v21, v132, v6, vcc
	v_mul_f32_e32 v6, 0x3fb8aa3b, v18
	v_fma_f32 v7, v18, s71, -v6
	v_rndne_f32_e32 v8, v6
	v_fmac_f32_e32 v7, 0x32a5705f, v18
	v_sub_f32_e32 v6, v6, v8
	v_add_f32_e32 v6, v6, v7
	v_exp_f32_e32 v6, v6
	v_cvt_i32_f32_e32 v7, v8
	v_cmp_ngt_f32_e32 vcc, s94, v3
	v_add_f32_e32 v4, v21, v4
	s_nop 0
	v_cndmask_b32_e32 v5, 0, v5, vcc
	v_cmp_nlt_f32_e32 vcc, s95, v3
	s_nop 1
	v_cndmask_b32_e32 v3, v132, v5, vcc
	v_add_f32_e32 v19, v3, v4
	v_ldexp_f32 v4, v6, v7
	v_cmp_ngt_f32_e32 vcc, s94, v18
	v_cvt_pk_f16_f32 v61, v21, v3
	s_nop 0
	v_cndmask_b32_e32 v22, 0, v4, vcc
	v_mul_f32_e32 v4, 0x3fb8aa3b, v23
	v_fma_f32 v5, v23, s71, -v4
	v_rndne_f32_e32 v24, v4
	v_fmac_f32_e32 v5, 0x32a5705f, v23
	v_sub_f32_e32 v4, v4, v24
	v_add_f32_e32 v4, v4, v5
	v_exp_f32_e32 v25, v4
	v_lshl_add_u64 v[4:5], v[166:167], 0, s[10:11]
	v_lshl_add_u64 v[6:7], v[110:111], 2, v[4:5]
	;; [unrolled: 1-line block ×9, first 2 shown]
	global_load_dwordx4 v[4:7], v[6:7], off
	s_nop 0
	global_load_dwordx4 v[8:11], v[8:9], off
	s_nop 0
	global_load_dwordx4 v[36:39], v[12:13], off
	global_load_dwordx4 v[218:221], v[14:15], off
	v_cmp_nlt_f32_e32 vcc, s95, v18
	v_sub_f32_e32 v15, v16, v58
	v_mul_f32_e32 v16, 0x3fb8aa3b, v15
	v_cndmask_b32_e32 v13, v132, v22, vcc
	v_add_f32_e32 v14, v13, v19
	v_fma_f32 v18, v15, s71, -v16
	v_rndne_f32_e32 v19, v16
	v_fmac_f32_e32 v18, 0x32a5705f, v15
	v_sub_f32_e32 v16, v16, v19
	v_add_f32_e32 v16, v16, v18
	v_exp_f32_e32 v16, v16
	v_cvt_i32_f32_e32 v18, v19
	v_cvt_i32_f32_e32 v12, v24
	v_cmp_ngt_f32_e32 vcc, s94, v23
	s_waitcnt vmcnt(3)
	ds_write_b128 v197, v[4:7]
	s_waitcnt vmcnt(2)
	ds_write_b128 v236, v[8:11]
	;; [unrolled: 2-line block ×4, first 2 shown]
	v_ldexp_f32 v16, v16, v18
	v_mul_f32_e32 v18, 0x3fb8aa3b, v17
	v_fma_f32 v19, v17, s71, -v18
	v_rndne_f32_e32 v22, v18
	v_fmac_f32_e32 v19, 0x32a5705f, v17
	v_sub_f32_e32 v18, v18, v22
	v_ldexp_f32 v12, v25, v12
	v_add_f32_e32 v18, v18, v19
	v_cndmask_b32_e32 v12, 0, v12, vcc
	v_cmp_nlt_f32_e32 vcc, s95, v23
	v_exp_f32_e32 v18, v18
	v_cvt_i32_f32_e32 v19, v22
	v_cndmask_b32_e32 v12, v132, v12, vcc
	v_cmp_ngt_f32_e32 vcc, s94, v15
	s_waitcnt lgkmcnt(0)
	s_barrier
	v_cndmask_b32_e32 v16, 0, v16, vcc
	v_cmp_nlt_f32_e32 vcc, s95, v15
	v_ldexp_f32 v15, v18, v19
	s_nop 0
	v_cndmask_b32_e32 v24, v132, v16, vcc
	v_sub_f32_e32 v16, v130, v58
	v_mul_f32_e32 v18, 0x3fb8aa3b, v16
	v_fma_f32 v19, v16, s71, -v18
	v_rndne_f32_e32 v22, v18
	v_fmac_f32_e32 v19, 0x32a5705f, v16
	v_sub_f32_e32 v18, v18, v22
	v_add_f32_e32 v18, v18, v19
	v_exp_f32_e32 v18, v18
	v_cvt_i32_f32_e32 v19, v22
	v_cmp_ngt_f32_e32 vcc, s94, v17
	v_cmp_ngt_f32_e64 s[10:11], s94, v16
	ds_read_u16 v7, v200 offset:528
	ds_read_u16 v8, v200 offset:1056
	ds_read_u16 v9, v201
	ds_read_u16 v10, v200
	v_cndmask_b32_e32 v15, 0, v15, vcc
	v_cmp_nlt_f32_e32 vcc, s95, v17
	v_ldexp_f32 v17, v18, v19
	v_cndmask_b32_e64 v17, 0, v17, s[10:11]
	v_cmp_nlt_f32_e64 s[10:11], s95, v16
	v_add_f32_e32 v14, v12, v14
	v_add_f32_e32 v14, v24, v14
	v_cndmask_b32_e64 v17, v132, v17, s[10:11]
	v_cmp_le_f32_e64 s[10:11], s97, v16
	v_cndmask_b32_e32 v25, v132, v15, vcc
	v_add_f32_e32 v63, v25, v14
	v_cndmask_b32_e64 v16, 0, v17, s[10:11]
	v_cvt_f16_f32_e32 v17, v16
	s_waitcnt lgkmcnt(1)
	v_perm_b32 v9, v9, v8, s98
	s_waitcnt lgkmcnt(0)
	v_perm_b32 v8, v7, v10, s98
	ds_read_u16 v10, v201 offset:32
	v_mul_u32_u24_e32 v14, 0x10001, v17
	v_pk_mul_f16 v17, v49, v14
	v_pk_mul_f16 v28, v48, v14
	v_cvt_f32_f16_e32 v4, v17
	v_cvt_f32_f16_sdwa v5, v17 dst_sel:DWORD dst_unused:UNUSED_PAD src0_sel:WORD_1
	v_cvt_f32_f16_e32 v6, v28
	v_cvt_f32_f16_sdwa v7, v28 dst_sel:DWORD dst_unused:UNUSED_PAD src0_sel:WORD_1
	v_pk_mul_f16 v26, v60, v14
	v_cvt_pk_f16_f32 v60, v2, v20
	v_cvt_pk_f16_f32 v56, v13, v12
	v_pk_mul_f16 v29, v45, v14
	v_mfma_f32_16x16x16_f16 v[2:5], v[8:9], v[60:61], v[4:7]
	s_nop 2
	ds_read_u16 v6, v200 offset:16896
	ds_read_u16 v7, v200 offset:17952
	;; [unrolled: 1-line block ×4, first 2 shown]
	v_pk_mul_f16 v32, v44, v14
	v_cvt_pk_f16_f32 v57, v24, v25
	v_cvt_f16_f32_e32 v2, v2
	v_cvt_f16_f32_e32 v3, v3
	;; [unrolled: 1-line block ×4, first 2 shown]
	s_waitcnt lgkmcnt(0)
	v_perm_b32 v6, v9, v6, s98
	ds_read_u16 v9, v200 offset:32
	ds_read_u16 v11, v200 offset:1088
	;; [unrolled: 1-line block ×3, first 2 shown]
	v_perm_b32 v7, v8, v7, s98
	v_cvt_f32_f16_e32 v2, v2
	v_cvt_f32_f16_e32 v3, v3
	;; [unrolled: 1-line block ×4, first 2 shown]
	s_waitcnt lgkmcnt(1)
	v_perm_b32 v11, v10, v11, s98
	s_waitcnt lgkmcnt(0)
	v_perm_b32 v10, v12, v9, s98
	v_mfma_f32_16x16x16_f16 v[2:5], v[6:7], v[56:57], v[2:5]
	v_cvt_f32_f16_e32 v6, v29
	v_cvt_f32_f16_sdwa v7, v29 dst_sel:DWORD dst_unused:UNUSED_PAD src0_sel:WORD_1
	v_cvt_f32_f16_e32 v8, v32
	v_cvt_f32_f16_sdwa v9, v32 dst_sel:DWORD dst_unused:UNUSED_PAD src0_sel:WORD_1
	v_pk_mul_f16 v33, v43, v14
	v_pk_mul_f16 v40, v42, v14
	v_mfma_f32_16x16x16_f16 v[6:9], v[10:11], v[60:61], v[6:9]
	ds_read_u16 v10, v200 offset:16928
	ds_read_u16 v11, v200 offset:17984
	;; [unrolled: 1-line block ×4, first 2 shown]
	v_fmac_f32_e32 v63, v225, v16
	v_pk_mul_f16 v16, v47, v14
	s_nop 1
	v_cvt_f16_f32_e32 v6, v6
	v_cvt_f16_f32_e32 v7, v7
	;; [unrolled: 1-line block ×4, first 2 shown]
	s_waitcnt lgkmcnt(0)
	v_perm_b32 v10, v13, v10, s98
	ds_read_u16 v13, v200 offset:64
	ds_read_u16 v17, v200 offset:1120
	ds_read_u16 v20, v201 offset:64
	ds_read_u16 v24, v200 offset:592
	v_perm_b32 v11, v12, v11, s98
	v_cvt_f32_f16_e32 v6, v6
	v_cvt_f32_f16_e32 v7, v7
	;; [unrolled: 1-line block ×4, first 2 shown]
	s_waitcnt lgkmcnt(1)
	v_perm_b32 v21, v20, v17, s98
	s_waitcnt lgkmcnt(0)
	v_perm_b32 v20, v24, v13, s98
	v_mfma_f32_16x16x16_f16 v[6:9], v[10:11], v[56:57], v[6:9]
	v_cvt_f32_f16_e32 v10, v33
	v_cvt_f32_f16_sdwa v11, v33 dst_sel:DWORD dst_unused:UNUSED_PAD src0_sel:WORD_1
	v_cvt_f32_f16_e32 v12, v40
	v_cvt_f32_f16_sdwa v13, v40 dst_sel:DWORD dst_unused:UNUSED_PAD src0_sel:WORD_1
	v_pk_mul_f16 v15, v46, v14
	v_pk_mul_f16 v27, v65, v14
	v_mfma_f32_16x16x16_f16 v[10:13], v[20:21], v[60:61], v[10:13]
	ds_read_u16 v17, v200 offset:16960
	ds_read_u16 v20, v200 offset:18016
	ds_read_u16 v21, v201 offset:16960
	ds_read_u16 v24, v200 offset:17488
	v_pk_mul_f16 v30, v64, v14
	v_cvt_f32_f16_e32 v64, v16
	s_nop 1
	v_cvt_f16_f32_e32 v10, v10
	v_cvt_f16_f32_e32 v11, v11
	;; [unrolled: 1-line block ×4, first 2 shown]
	s_waitcnt lgkmcnt(1)
	v_perm_b32 v21, v21, v20, s98
	s_waitcnt lgkmcnt(0)
	v_perm_b32 v20, v24, v17, s98
	v_cvt_f32_f16_e32 v10, v10
	v_cvt_f32_f16_e32 v11, v11
	;; [unrolled: 1-line block ×4, first 2 shown]
	v_cvt_f32_f16_sdwa v65, v16 dst_sel:DWORD dst_unused:UNUSED_PAD src0_sel:WORD_1
	v_pk_mul_f16 v34, v67, v14
	v_mfma_f32_16x16x16_f16 v[10:13], v[20:21], v[56:57], v[10:13]
	ds_read_u16 v20, v200 offset:96
	ds_read_u16 v17, v200 offset:1152
	;; [unrolled: 1-line block ×4, first 2 shown]
	v_pk_mul_f16 v35, v66, v14
	v_cvt_f32_f16_e32 v66, v15
	v_cvt_f32_f16_sdwa v67, v15 dst_sel:DWORD dst_unused:UNUSED_PAD src0_sel:WORD_1
	s_waitcnt lgkmcnt(1)
	v_perm_b32 v17, v21, v17, s98
	s_waitcnt lgkmcnt(0)
	v_perm_b32 v16, v24, v20, s98
	v_pk_mul_f16 v19, v51, v14
	v_pk_mul_f16 v18, v50, v14
	;; [unrolled: 1-line block ×19, first 2 shown]
	v_mfma_f32_16x16x16_f16 v[14:17], v[16:17], v[60:61], v[64:67]
	ds_read_u16 v20, v200 offset:16992
	ds_read_u16 v21, v200 offset:18048
	;; [unrolled: 1-line block ×4, first 2 shown]
	v_cvt_f32_f16_e32 v66, v19
	v_cvt_f32_f16_sdwa v67, v19 dst_sel:DWORD dst_unused:UNUSED_PAD src0_sel:WORD_1
	s_nop 1
	v_cvt_f16_f32_e32 v14, v14
	v_cvt_f16_f32_e32 v15, v15
	;; [unrolled: 1-line block ×4, first 2 shown]
	s_waitcnt lgkmcnt(1)
	v_perm_b32 v21, v24, v21, s98
	s_waitcnt lgkmcnt(0)
	v_perm_b32 v20, v25, v20, s98
	v_cvt_f32_f16_e32 v14, v14
	v_cvt_f32_f16_e32 v15, v15
	;; [unrolled: 1-line block ×4, first 2 shown]
	v_cvt_f16_f32_e32 v24, v4
	v_cvt_f32_f16_e32 v68, v18
	v_mfma_f32_16x16x16_f16 v[14:17], v[20:21], v[56:57], v[14:17]
	ds_read_u16 v4, v200 offset:128
	ds_read_u16 v20, v200 offset:1184
	;; [unrolled: 1-line block ×4, first 2 shown]
	v_cvt_f32_f16_sdwa v69, v18 dst_sel:DWORD dst_unused:UNUSED_PAD src0_sel:WORD_1
	v_cvt_f16_f32_e32 v5, v5
	v_cvt_f32_f16_e32 v70, v22
	s_waitcnt lgkmcnt(1)
	v_perm_b32 v21, v21, v20, s98
	s_waitcnt lgkmcnt(0)
	v_perm_b32 v20, v25, v4, s98
	v_perm_b32 v64, v5, v24, s98
	ds_read_u16 v24, v200 offset:17024
	ds_read_u16 v25, v200 offset:18080
	;; [unrolled: 1-line block ×4, first 2 shown]
	v_mfma_f32_16x16x16_f16 v[18:21], v[20:21], v[60:61], v[66:69]
	s_waitcnt lgkmcnt(1)
	v_perm_b32 v25, v28, v25, s98
	s_waitcnt lgkmcnt(0)
	v_perm_b32 v24, v29, v24, s98
	v_cvt_f32_f16_e32 v68, v23
	s_nop 2
	v_cvt_f16_f32_e32 v18, v18
	v_cvt_f16_f32_e32 v19, v19
	;; [unrolled: 1-line block ×4, first 2 shown]
	v_cvt_f32_f16_e32 v18, v18
	v_cvt_f32_f16_e32 v19, v19
	;; [unrolled: 1-line block ×4, first 2 shown]
	v_cvt_f32_f16_sdwa v69, v23 dst_sel:DWORD dst_unused:UNUSED_PAD src0_sel:WORD_1
	v_cvt_f32_f16_sdwa v71, v22 dst_sel:DWORD dst_unused:UNUSED_PAD src0_sel:WORD_1
	v_mfma_f32_16x16x16_f16 v[18:21], v[24:25], v[56:57], v[18:21]
	ds_read_u16 v24, v200 offset:160
	ds_read_u16 v25, v200 offset:1216
	;; [unrolled: 1-line block ×4, first 2 shown]
	v_cvt_f16_f32_e32 v8, v8
	v_cvt_f16_f32_e32 v9, v9
	v_cvt_f32_f16_e32 v74, v27
	s_waitcnt lgkmcnt(1)
	v_perm_b32 v25, v28, v25, s98
	s_waitcnt lgkmcnt(0)
	v_perm_b32 v24, v29, v24, s98
	ds_read_u16 v29, v200 offset:17056
	ds_read_u16 v32, v200 offset:18112
	;; [unrolled: 1-line block ×4, first 2 shown]
	v_mfma_f32_16x16x16_f16 v[22:25], v[24:25], v[60:61], v[68:71]
	v_perm_b32 v8, v9, v8, s98
	v_cvt_f16_f32_e32 v9, v12
	v_cvt_f16_f32_e32 v28, v13
	s_nop 4
	v_cvt_f16_f32_e32 v12, v22
	v_cvt_f16_f32_e32 v13, v23
	;; [unrolled: 1-line block ×4, first 2 shown]
	v_cvt_f32_f16_e32 v22, v12
	v_cvt_f32_f16_e32 v23, v13
	s_waitcnt lgkmcnt(1)
	v_perm_b32 v13, v33, v32, s98
	s_waitcnt lgkmcnt(0)
	v_perm_b32 v12, v36, v29, s98
	v_cvt_f32_f16_e32 v24, v24
	v_cvt_f32_f16_e32 v25, v25
	v_perm_b32 v9, v28, v9, s98
	v_cvt_f32_f16_sdwa v75, v27 dst_sel:DWORD dst_unused:UNUSED_PAD src0_sel:WORD_1
	v_mfma_f32_16x16x16_f16 v[22:25], v[12:13], v[56:57], v[22:25]
	ds_read_u16 v12, v200 offset:192
	ds_read_u16 v13, v200 offset:1248
	ds_read_u16 v28, v201 offset:192
	ds_read_u16 v29, v200 offset:720
	v_cvt_f32_f16_e32 v76, v26
	v_cvt_f32_f16_sdwa v77, v26 dst_sel:DWORD dst_unused:UNUSED_PAD src0_sel:WORD_1
	ds_read_u16 v32, v200 offset:17088
	ds_read_u16 v33, v200 offset:18144
	;; [unrolled: 1-line block ×4, first 2 shown]
	s_waitcnt lgkmcnt(5)
	v_perm_b32 v13, v28, v13, s98
	s_waitcnt lgkmcnt(4)
	v_perm_b32 v12, v29, v12, s98
	v_cvt_f16_f32_e32 v36, v17
	s_waitcnt lgkmcnt(1)
	v_perm_b32 v33, v37, v33, s98
	v_mfma_f32_16x16x16_f16 v[26:29], v[12:13], v[60:61], v[74:77]
	s_waitcnt lgkmcnt(0)
	v_perm_b32 v32, v40, v32, s98
	v_cvt_f16_f32_e32 v16, v16
	v_cvt_f32_f16_e32 v74, v31
	s_nop 3
	v_cvt_f16_f32_e32 v12, v26
	v_cvt_f16_f32_e32 v13, v27
	;; [unrolled: 1-line block ×4, first 2 shown]
	v_cvt_f32_f16_e32 v26, v12
	v_cvt_f32_f16_e32 v27, v13
	;; [unrolled: 1-line block ×4, first 2 shown]
	v_perm_b32 v12, v36, v16, s98
	v_cvt_f32_f16_sdwa v75, v31 dst_sel:DWORD dst_unused:UNUSED_PAD src0_sel:WORD_1
	v_mfma_f32_16x16x16_f16 v[26:29], v[32:33], v[56:57], v[26:29]
	ds_read_u16 v13, v200 offset:224
	ds_read_u16 v16, v200 offset:1280
	;; [unrolled: 1-line block ×4, first 2 shown]
	v_cvt_f32_f16_e32 v76, v30
	v_cvt_f32_f16_sdwa v77, v30 dst_sel:DWORD dst_unused:UNUSED_PAD src0_sel:WORD_1
	v_cvt_f32_f16_e32 v78, v34
	s_waitcnt lgkmcnt(1)
	v_perm_b32 v33, v32, v16, s98
	s_waitcnt lgkmcnt(0)
	v_perm_b32 v32, v36, v13, s98
	v_cvt_f16_f32_e32 v13, v20
	v_cvt_f16_f32_e32 v16, v21
	v_mfma_f32_16x16x16_f16 v[30:33], v[32:33], v[60:61], v[74:77]
	v_cvt_f32_f16_sdwa v79, v34 dst_sel:DWORD dst_unused:UNUSED_PAD src0_sel:WORD_1
	s_nop 1
	v_perm_b32 v74, v16, v13, s98
	v_cvt_f16_f32_e32 v13, v24
	s_nop 2
	v_cvt_f16_f32_e32 v20, v33
	ds_read_u16 v21, v200 offset:17120
	ds_read_u16 v33, v200 offset:18176
	;; [unrolled: 1-line block ×4, first 2 shown]
	v_cvt_f16_f32_e32 v16, v25
	v_cvt_f16_f32_e32 v30, v30
	;; [unrolled: 1-line block ×3, first 2 shown]
	s_waitcnt lgkmcnt(1)
	v_perm_b32 v41, v36, v33, s98
	s_waitcnt lgkmcnt(0)
	v_perm_b32 v40, v37, v21, s98
	v_cvt_f32_f16_e32 v33, v20
	ds_read_u16 v20, v200 offset:256
	ds_read_u16 v21, v200 offset:1312
	;; [unrolled: 1-line block ×4, first 2 shown]
	v_cvt_f16_f32_e32 v32, v32
	v_cvt_f32_f16_e32 v80, v35
	v_cvt_f32_f16_sdwa v81, v35 dst_sel:DWORD dst_unused:UNUSED_PAD src0_sel:WORD_1
	s_waitcnt lgkmcnt(1)
	v_perm_b32 v21, v24, v21, s98
	s_waitcnt lgkmcnt(0)
	v_perm_b32 v20, v25, v20, s98
	v_cvt_f32_f16_e32 v30, v30
	v_cvt_f32_f16_e32 v31, v31
	;; [unrolled: 1-line block ×3, first 2 shown]
	v_mfma_f32_16x16x16_f16 v[34:37], v[20:21], v[60:61], v[78:81]
	v_perm_b32 v75, v16, v13, s98
	v_cvt_f32_f16_e32 v82, v39
	v_cvt_f32_f16_sdwa v83, v39 dst_sel:DWORD dst_unused:UNUSED_PAD src0_sel:WORD_1
	v_mfma_f32_16x16x16_f16 v[30:33], v[40:41], v[56:57], v[30:33]
	s_nop 3
	v_cvt_f16_f32_e32 v24, v37
	ds_read_u16 v25, v200 offset:17152
	ds_read_u16 v21, v200 offset:18208
	;; [unrolled: 1-line block ×4, first 2 shown]
	v_cvt_f16_f32_e32 v20, v36
	v_cvt_f16_f32_e32 v13, v34
	;; [unrolled: 1-line block ×3, first 2 shown]
	s_waitcnt lgkmcnt(1)
	v_perm_b32 v21, v37, v21, s98
	v_cvt_f32_f16_e32 v36, v20
	s_waitcnt lgkmcnt(0)
	v_perm_b32 v20, v40, v25, s98
	v_cvt_f32_f16_e32 v34, v13
	v_cvt_f32_f16_e32 v35, v16
	;; [unrolled: 1-line block ×4, first 2 shown]
	v_cvt_f32_f16_sdwa v85, v38 dst_sel:DWORD dst_unused:UNUSED_PAD src0_sel:WORD_1
	v_mfma_f32_16x16x16_f16 v[34:37], v[20:21], v[56:57], v[34:37]
	ds_read_u16 v20, v200 offset:288
	ds_read_u16 v21, v200 offset:1344
	;; [unrolled: 1-line block ×4, first 2 shown]
	v_cvt_f16_f32_e32 v13, v28
	v_cvt_f16_f32_e32 v16, v29
	v_cvt_f32_f16_e32 v86, v47
	s_waitcnt lgkmcnt(1)
	v_perm_b32 v21, v24, v21, s98
	s_waitcnt lgkmcnt(0)
	v_perm_b32 v20, v25, v20, s98
	v_perm_b32 v28, v16, v13, s98
	v_cvt_f32_f16_sdwa v87, v47 dst_sel:DWORD dst_unused:UNUSED_PAD src0_sel:WORD_1
	v_mfma_f32_16x16x16_f16 v[38:41], v[20:21], v[60:61], v[82:85]
	v_cvt_f32_f16_e32 v88, v52
	s_nop 1
	v_cvt_f32_f16_e32 v82, v43
	v_cvt_f32_f16_sdwa v83, v43 dst_sel:DWORD dst_unused:UNUSED_PAD src0_sel:WORD_1
	s_nop 2
	v_cvt_f16_f32_e32 v24, v41
	ds_read_u16 v25, v200 offset:17184
	ds_read_u16 v21, v200 offset:18240
	;; [unrolled: 1-line block ×4, first 2 shown]
	v_cvt_f16_f32_e32 v20, v40
	v_cvt_f16_f32_e32 v13, v38
	;; [unrolled: 1-line block ×3, first 2 shown]
	s_waitcnt lgkmcnt(1)
	v_perm_b32 v21, v29, v21, s98
	v_cvt_f32_f16_e32 v40, v20
	s_waitcnt lgkmcnt(0)
	v_perm_b32 v20, v41, v25, s98
	v_cvt_f32_f16_e32 v38, v13
	v_cvt_f32_f16_e32 v39, v16
	;; [unrolled: 1-line block ×4, first 2 shown]
	v_cvt_f32_f16_sdwa v85, v42 dst_sel:DWORD dst_unused:UNUSED_PAD src0_sel:WORD_1
	v_mfma_f32_16x16x16_f16 v[38:41], v[20:21], v[56:57], v[38:41]
	ds_read_u16 v20, v200 offset:320
	ds_read_u16 v21, v200 offset:1376
	;; [unrolled: 1-line block ×4, first 2 shown]
	v_cvt_f16_f32_e32 v13, v32
	v_cvt_f16_f32_e32 v16, v33
	v_cvt_f32_f16_sdwa v89, v52 dst_sel:DWORD dst_unused:UNUSED_PAD src0_sel:WORD_1
	s_waitcnt lgkmcnt(1)
	v_perm_b32 v21, v24, v21, s98
	s_waitcnt lgkmcnt(0)
	v_perm_b32 v20, v25, v20, s98
	v_perm_b32 v29, v16, v13, s98
	v_cvt_f16_f32_e32 v13, v36
	v_mfma_f32_16x16x16_f16 v[42:45], v[20:21], v[60:61], v[82:85]
	v_cvt_f16_f32_e32 v16, v37
	ds_read_u16 v32, v200 offset:17216
	ds_read_u16 v33, v200 offset:18272
	ds_read_u16 v36, v201 offset:17216
	ds_read_u16 v37, v200 offset:17744
	v_cvt_f32_f16_e32 v84, v46
	s_nop 1
	v_cvt_f16_f32_e32 v20, v42
	v_cvt_f16_f32_e32 v21, v43
	;; [unrolled: 1-line block ×4, first 2 shown]
	v_cvt_f32_f16_e32 v42, v20
	v_cvt_f32_f16_e32 v43, v21
	s_waitcnt lgkmcnt(1)
	v_perm_b32 v21, v36, v33, s98
	s_waitcnt lgkmcnt(0)
	v_perm_b32 v20, v37, v32, s98
	v_cvt_f32_f16_e32 v44, v24
	v_cvt_f32_f16_e32 v45, v25
	v_perm_b32 v13, v16, v13, s98
	v_cvt_f32_f16_sdwa v85, v46 dst_sel:DWORD dst_unused:UNUSED_PAD src0_sel:WORD_1
	v_mfma_f32_16x16x16_f16 v[42:45], v[20:21], v[56:57], v[42:45]
	ds_read_u16 v16, v200 offset:352
	ds_read_u16 v20, v200 offset:1408
	;; [unrolled: 1-line block ×4, first 2 shown]
	v_cvt_f32_f16_e32 v92, v55
	v_cvt_f32_f16_sdwa v93, v55 dst_sel:DWORD dst_unused:UNUSED_PAD src0_sel:WORD_1
	v_cvt_f16_f32_e32 v65, v2
	s_waitcnt lgkmcnt(1)
	v_perm_b32 v21, v21, v20, s98
	s_waitcnt lgkmcnt(0)
	v_perm_b32 v20, v24, v16, s98
	v_cvt_f16_f32_e32 v16, v40
	v_cvt_f16_f32_e32 v24, v41
	v_mfma_f32_16x16x16_f16 v[46:49], v[20:21], v[60:61], v[84:87]
	v_perm_b32 v16, v24, v16, s98
	s_nop 1
	v_cvt_f32_f16_e32 v84, v51
	v_cvt_f32_f16_sdwa v85, v51 dst_sel:DWORD dst_unused:UNUSED_PAD src0_sel:WORD_1
	s_nop 2
	v_cvt_f16_f32_e32 v32, v49
	ds_read_u16 v33, v200 offset:17248
	ds_read_u16 v40, v200 offset:18304
	;; [unrolled: 1-line block ×4, first 2 shown]
	v_cvt_f16_f32_e32 v20, v46
	v_cvt_f16_f32_e32 v21, v47
	;; [unrolled: 1-line block ×3, first 2 shown]
	v_cvt_f32_f16_e32 v86, v50
	v_cvt_f32_f16_e32 v46, v20
	;; [unrolled: 1-line block ×3, first 2 shown]
	s_waitcnt lgkmcnt(1)
	v_perm_b32 v21, v41, v40, s98
	s_waitcnt lgkmcnt(0)
	v_perm_b32 v20, v49, v33, s98
	v_cvt_f32_f16_e32 v48, v25
	v_cvt_f32_f16_e32 v49, v32
	v_cvt_f32_f16_sdwa v87, v50 dst_sel:DWORD dst_unused:UNUSED_PAD src0_sel:WORD_1
	v_cvt_f16_f32_e32 v33, v45
	v_mfma_f32_16x16x16_f16 v[46:49], v[20:21], v[56:57], v[46:49]
	ds_read_u16 v20, v200 offset:384
	ds_read_u16 v21, v200 offset:1440
	;; [unrolled: 1-line block ×4, first 2 shown]
	v_cvt_f16_f32_e32 v32, v44
	v_cvt_f16_f32_e32 v4, v3
	v_cvt_f16_f32_e32 v5, v6
	s_waitcnt lgkmcnt(1)
	v_perm_b32 v21, v24, v21, s98
	s_waitcnt lgkmcnt(0)
	v_perm_b32 v20, v25, v20, s98
	ds_read_u16 v45, v200 offset:17280
	ds_read_u16 v25, v200 offset:18336
	;; [unrolled: 1-line block ×4, first 2 shown]
	v_mfma_f32_16x16x16_f16 v[84:87], v[20:21], v[60:61], v[84:87]
	s_waitcnt lgkmcnt(1)
	v_perm_b32 v25, v50, v25, s98
	v_cvt_f16_f32_e32 v66, v7
	v_cvt_f16_f32_e32 v67, v10
	s_nop 3
	v_cvt_f16_f32_e32 v24, v86
	v_cvt_f16_f32_e32 v20, v84
	v_cvt_f16_f32_e32 v21, v85
	v_cvt_f16_f32_e32 v44, v87
	v_cvt_f32_f16_e32 v86, v24
	s_waitcnt lgkmcnt(0)
	v_perm_b32 v24, v51, v45, s98
	v_cvt_f32_f16_e32 v84, v20
	v_cvt_f32_f16_e32 v85, v21
	;; [unrolled: 1-line block ×3, first 2 shown]
	v_perm_b32 v20, v33, v32, s98
	v_cvt_f16_f32_e32 v21, v48
	v_cvt_f16_f32_e32 v32, v49
	v_mfma_f32_16x16x16_f16 v[48:51], v[24:25], v[56:57], v[84:87]
	ds_read_u16 v24, v200 offset:416
	ds_read_u16 v25, v200 offset:1472
	;; [unrolled: 1-line block ×4, first 2 shown]
	v_cvt_f32_f16_e32 v86, v53
	v_cvt_f32_f16_sdwa v87, v53 dst_sel:DWORD dst_unused:UNUSED_PAD src0_sel:WORD_1
	v_perm_b32 v21, v32, v21, s98
	s_waitcnt lgkmcnt(1)
	v_perm_b32 v25, v33, v25, s98
	s_waitcnt lgkmcnt(0)
	v_perm_b32 v24, v44, v24, s98
	ds_read_u16 v44, v200 offset:17312
	ds_read_u16 v45, v200 offset:18368
	;; [unrolled: 1-line block ×4, first 2 shown]
	v_mfma_f32_16x16x16_f16 v[86:89], v[24:25], v[60:61], v[86:89]
	v_cvt_f16_f32_e32 v68, v11
	v_cvt_f16_f32_e32 v69, v14
	;; [unrolled: 1-line block ×3, first 2 shown]
	s_nop 4
	v_cvt_f16_f32_e32 v24, v86
	v_cvt_f16_f32_e32 v25, v87
	;; [unrolled: 1-line block ×4, first 2 shown]
	v_cvt_f32_f16_e32 v88, v24
	v_cvt_f32_f16_e32 v89, v25
	s_waitcnt lgkmcnt(1)
	v_perm_b32 v25, v52, v45, s98
	s_waitcnt lgkmcnt(0)
	v_perm_b32 v24, v53, v44, s98
	v_cvt_f32_f16_e32 v90, v32
	v_cvt_f32_f16_e32 v91, v33
	v_cvt_f16_f32_e32 v44, v50
	v_cvt_f16_f32_e32 v45, v51
	v_mfma_f32_16x16x16_f16 v[50:53], v[24:25], v[56:57], v[88:91]
	ds_read_u16 v24, v200 offset:448
	ds_read_u16 v25, v200 offset:1504
	;; [unrolled: 1-line block ×4, first 2 shown]
	v_cvt_f32_f16_e32 v90, v54
	v_cvt_f32_f16_sdwa v91, v54 dst_sel:DWORD dst_unused:UNUSED_PAD src0_sel:WORD_1
	s_nop 1
	v_cvt_f16_f32_e32 v98, v53
	s_waitcnt lgkmcnt(1)
	v_perm_b32 v33, v32, v25, s98
	s_waitcnt lgkmcnt(0)
	v_perm_b32 v32, v87, v24, s98
	v_perm_b32 v24, v45, v44, s98
	ds_read_u16 v45, v200 offset:17344
	ds_read_u16 v54, v200 offset:18400
	;; [unrolled: 1-line block ×4, first 2 shown]
	v_mfma_f32_16x16x16_f16 v[90:93], v[32:33], v[60:61], v[90:93]
	v_cvt_f16_f32_e32 v70, v18
	v_cvt_f16_f32_e32 v71, v19
	;; [unrolled: 1-line block ×3, first 2 shown]
	s_nop 4
	v_cvt_f16_f32_e32 v32, v91
	v_cvt_f16_f32_e32 v33, v92
	;; [unrolled: 1-line block ×4, first 2 shown]
	v_cvt_f32_f16_e32 v91, v32
	v_cvt_f32_f16_e32 v92, v33
	s_waitcnt lgkmcnt(1)
	v_perm_b32 v33, v55, v54, s98
	s_waitcnt lgkmcnt(0)
	v_perm_b32 v32, v89, v45, s98
	v_cvt_f32_f16_e32 v90, v25
	v_cvt_f32_f16_e32 v93, v44
	v_cvt_f16_f32_e32 v25, v52
	v_cvt_f16_f32_e32 v77, v23
	v_mfma_f32_16x16x16_f16 v[52:55], v[32:33], v[56:57], v[90:93]
	ds_read_u16 v32, v200 offset:480
	ds_read_u16 v33, v200 offset:1536
	ds_read_u16 v44, v201 offset:480
	ds_read_u16 v93, v200 offset:1008
	v_cvt_f32_f16_e32 v90, v73
	v_cvt_f32_f16_sdwa v91, v73 dst_sel:DWORD dst_unused:UNUSED_PAD src0_sel:WORD_1
	v_cvt_f32_f16_e32 v92, v72
	s_waitcnt lgkmcnt(1)
	v_perm_b32 v45, v44, v33, s98
	s_waitcnt lgkmcnt(0)
	v_perm_b32 v44, v93, v32, s98
	v_cvt_f32_f16_sdwa v93, v72 dst_sel:DWORD dst_unused:UNUSED_PAD src0_sel:WORD_1
	v_cvt_f16_f32_e32 v32, v54
	v_cvt_f16_f32_e32 v33, v55
	v_mfma_f32_16x16x16_f16 v[90:93], v[44:45], v[60:61], v[90:93]
	ds_read_u16 v45, v200 offset:17376
	ds_read_u16 v61, v200 offset:18432
	;; [unrolled: 1-line block ×4, first 2 shown]
	v_perm_b32 v32, v33, v32, s98
	ds_bpermute_b32 v33, v59, v63
	s_nop 1
	v_cvt_f16_f32_e32 v54, v90
	v_cvt_f16_f32_e32 v55, v91
	;; [unrolled: 1-line block ×4, first 2 shown]
	v_cvt_f32_f16_e32 v90, v54
	v_cvt_f32_f16_e32 v91, v55
	s_waitcnt lgkmcnt(2)
	v_perm_b32 v55, v72, v61, s98
	s_waitcnt lgkmcnt(1)
	v_perm_b32 v54, v73, v45, s98
	v_cvt_f32_f16_e32 v92, v60
	v_cvt_f32_f16_e32 v93, v44
	s_waitcnt lgkmcnt(0)
	v_add_f32_e32 v59, v63, v33
	ds_bpermute_b32 v63, v62, v59
	v_mfma_f32_16x16x16_f16 v[54:57], v[54:55], v[56:57], v[90:93]
	v_cvt_f16_f32_e32 v78, v26
	v_cvt_f16_f32_e32 v79, v27
	;; [unrolled: 1-line block ×22, first 2 shown]
	v_cmp_ne_u64_e32 vcc, 0, v[164:165]
	v_perm_b32 v25, v98, v25, s98
	v_perm_b32 v33, v57, v56, s98
	s_waitcnt lgkmcnt(0)
	v_add_f32_e32 v59, v59, v63
	s_and_b64 s[14:15], s[12:13], vcc
	v_perm_b32 v44, v61, v44, s98
	v_perm_b32 v45, v60, v45, s98
	;; [unrolled: 1-line block ×16, first 2 shown]
	s_barrier
	s_and_saveexec_b64 s[10:11], s[14:15]
	s_cbranch_execz .LBB32_122
; %bb.121:                              ;   in Loop: Header=BB32_12 Depth=1
	v_lshlrev_b32_e32 v4, 2, v136
	v_readfirstlane_b32 s14, v164
	v_readfirstlane_b32 s15, v165
	v_cvt_pk_f16_f32 v5, v2, v3
	v_max_f32_e32 v2, v58, v58
	v_cvt_pk_f16_f32 v6, v6, v7
	v_cvt_pk_f16_f32 v7, v10, v11
	;; [unrolled: 1-line block ×3, first 2 shown]
	global_load_dword v4, v4, s[14:15]
	v_cvt_pk_f16_f32 v18, v30, v31
	v_cvt_pk_f16_f32 v19, v34, v35
	;; [unrolled: 1-line block ×11, first 2 shown]
	s_waitcnt vmcnt(0)
	v_max_f32_e32 v3, v4, v4
	v_max_f32_e32 v2, v2, v3
	v_sub_f32_e32 v3, v58, v2
	v_sub_f32_e32 v4, v4, v2
	v_mul_f32_e32 v17, 0x3fb8aa3b, v3
	v_mul_f32_e32 v31, 0x3fb8aa3b, v4
	v_fma_f32 v34, v3, s71, -v17
	v_rndne_f32_e32 v35, v17
	v_fma_f32 v36, v4, s71, -v31
	v_rndne_f32_e32 v37, v31
	v_fmac_f32_e32 v34, 0x32a5705f, v3
	v_sub_f32_e32 v17, v17, v35
	v_fmac_f32_e32 v36, 0x32a5705f, v4
	v_sub_f32_e32 v31, v31, v37
	v_add_f32_e32 v17, v17, v34
	v_cvt_i32_f32_e32 v35, v35
	v_add_f32_e32 v31, v31, v36
	v_exp_f32_e32 v17, v17
	v_cvt_i32_f32_e32 v37, v37
	v_exp_f32_e32 v31, v31
	v_cmp_ngt_f32_e32 vcc, s94, v3
	v_ldexp_f32 v17, v17, v35
	v_cvt_pk_f16_f32 v34, v52, v53
	v_ldexp_f32 v31, v31, v37
	v_cndmask_b32_e32 v17, 0, v17, vcc
	v_cmp_ngt_f32_e32 vcc, s94, v4
	s_nop 1
	v_cndmask_b32_e32 v31, 0, v31, vcc
	v_cmp_nlt_f32_e32 vcc, s95, v3
	s_nop 1
	v_cndmask_b32_e32 v17, v132, v17, vcc
	v_cmp_le_f32_e32 vcc, s97, v3
	s_nop 1
	v_cndmask_b32_e32 v17, 0, v17, vcc
	v_cvt_f16_f32_e32 v35, v17
	v_cmp_nlt_f32_e32 vcc, s95, v4
	v_mul_u32_u24_e32 v4, 0x10001, v35
	s_nop 0
	v_cndmask_b32_e32 v3, v132, v31, vcc
	v_fmac_f32_e32 v3, v59, v17
	v_pk_mul_f16 v65, v5, v4
	v_pk_mul_f16 v64, v64, v4
	;; [unrolled: 1-line block ×32, first 2 shown]
	v_mov_b64_e32 v[58:59], v[2:3]
.LBB32_122:                             ;   in Loop: Header=BB32_12 Depth=1
	s_or_b64 exec, exec, s[10:11]
	s_and_saveexec_b64 s[10:11], s[6:7]
; %bb.123:                              ;   in Loop: Header=BB32_12 Depth=1
	v_add_u32_e32 v2, 0, v209
	ds_write2_b32 v2, v58, v59 offset0:64 offset1:65
; %bb.124:                              ;   in Loop: Header=BB32_12 Depth=1
	s_or_b64 exec, exec, s[10:11]
	s_waitcnt lgkmcnt(0)
	s_barrier
	s_and_saveexec_b64 s[10:11], s[4:5]
	s_xor_b64 s[10:11], exec, s[10:11]
	s_cbranch_execz .LBB32_126
; %bb.125:                              ;   in Loop: Header=BB32_12 Depth=1
	s_barrier
                                        ; implicit-def: $vgpr62
.LBB32_126:                             ;   in Loop: Header=BB32_12 Depth=1
	s_andn2_saveexec_b64 s[10:11], s[10:11]
	s_cbranch_execz .LBB32_132
; %bb.127:                              ;   in Loop: Header=BB32_12 Depth=1
	v_add_u32_e32 v3, 0, v210
	ds_read_b64 v[6:7], v3 offset:256
	s_waitcnt lgkmcnt(0)
	s_barrier
	ds_bpermute_b32 v2, v62, v6
	v_max_f32_e32 v4, v6, v6
	s_waitcnt lgkmcnt(0)
	v_max_f32_e32 v2, v2, v2
	v_max_f32_e32 v2, v4, v2
	v_sub_f32_e32 v4, v6, v2
	v_mul_f32_e32 v5, 0x3fb8aa3b, v4
	v_fma_f32 v6, v4, s71, -v5
	v_rndne_f32_e32 v10, v5
	v_fmac_f32_e32 v6, 0x32a5705f, v4
	v_sub_f32_e32 v5, v5, v10
	v_add_f32_e32 v5, v5, v6
	v_cvt_i32_f32_e32 v10, v10
	v_exp_f32_e32 v5, v5
	v_cmp_ngt_f32_e32 vcc, s94, v4
	v_ldexp_f32 v5, v5, v10
	s_nop 0
	v_cndmask_b32_e32 v5, 0, v5, vcc
	v_cmp_nlt_f32_e32 vcc, s95, v4
	s_nop 1
	v_cndmask_b32_e32 v4, v132, v5, vcc
	v_mul_f32_e32 v5, v7, v4
	ds_bpermute_b32 v5, v62, v5
	s_waitcnt lgkmcnt(0)
	v_fmac_f32_e32 v5, v7, v4
	s_and_saveexec_b64 s[14:15], s[8:9]
; %bb.128:                              ;   in Loop: Header=BB32_12 Depth=1
	ds_write_b64 v3, v[4:5] offset:256
; %bb.129:                              ;   in Loop: Header=BB32_12 Depth=1
	s_or_b64 exec, exec, s[14:15]
	s_and_saveexec_b64 s[14:15], s[6:7]
	s_cbranch_execz .LBB32_131
; %bb.130:                              ;   in Loop: Header=BB32_12 Depth=1
	v_mov_b32_e32 v3, v5
	global_store_dwordx2 v[138:139], v[2:3], off
.LBB32_131:                             ;   in Loop: Header=BB32_12 Depth=1
	s_or_b64 exec, exec, s[14:15]
.LBB32_132:                             ;   in Loop: Header=BB32_12 Depth=1
	s_or_b64 exec, exec, s[10:11]
	v_add_u32_e32 v2, v231, v143
	ds_write2_b32 v202, v65, v64 offset1:1
	ds_write2_b32 v202, v66, v8 offset0:8 offset1:9
	ds_write2_b32 v202, v67, v9 offset0:16 offset1:17
	;; [unrolled: 1-line block ×7, first 2 shown]
	s_waitcnt lgkmcnt(0)
	s_barrier
	s_and_saveexec_b64 s[76:77], s[12:13]
	s_cbranch_execz .LBB32_210
; %bb.133:                              ;   in Loop: Header=BB32_12 Depth=1
	v_or_b32_e32 v3, v140, v97
	v_cmp_gt_i32_e64 s[10:11], s36, v2
	v_cmp_gt_i32_e32 vcc, s80, v3
	s_and_b64 s[14:15], s[10:11], vcc
	v_mov_b32_e32 v3, 0x47
	s_and_saveexec_b64 s[10:11], s[14:15]
	s_cbranch_execz .LBB32_135
; %bb.134:                              ;   in Loop: Header=BB32_12 Depth=1
	v_add_u32_e32 v3, v194, v211
	ds_read2st64_b32 v[6:7], v3 offset1:17
	v_add_u32_e32 v3, 0, v211
	ds_read2st64_b32 v[8:9], v3 offset0:1 offset1:18
	v_mad_u64_u32 v[4:5], s[14:15], v2, s37, v[140:141]
	s_waitcnt lgkmcnt(1)
	v_cvt_f32_f16_e32 v10, v6
	v_cvt_f32_f16_sdwa v11, v6 dst_sel:DWORD dst_unused:UNUSED_PAD src0_sel:WORD_1
	v_cvt_f32_f16_e32 v6, v7
	v_cvt_f32_f16_sdwa v7, v7 dst_sel:DWORD dst_unused:UNUSED_PAD src0_sel:WORD_1
	v_lshl_add_u32 v4, v4, 7, v94
	v_ashrrev_i32_e32 v5, 31, v4
	s_waitcnt lgkmcnt(0)
	v_pk_fma_f32 v[10:11], v[8:9], v[10:11], 0 op_sel_hi:[0,1,0]
	v_mov_b32_e32 v8, v9
	v_lshl_add_u64 v[4:5], v[4:5], 3, v[162:163]
	v_pk_fma_f32 v[6:7], v[8:9], v[6:7], v[10:11] op_sel_hi:[0,1,1]
	v_mov_b32_e32 v3, 0
	global_store_dwordx2 v[4:5], v[6:7], off
.LBB32_135:                             ;   in Loop: Header=BB32_12 Depth=1
	s_or_b64 exec, exec, s[10:11]
	v_cmp_gt_i32_e64 s[10:11], s99, v3
	s_mov_b64 s[14:15], -1
	s_and_saveexec_b64 s[78:79], s[10:11]
; %bb.136:                              ;   in Loop: Header=BB32_12 Depth=1
	v_cmp_eq_u32_e64 s[10:11], 0, v3
	s_orn2_b64 s[14:15], s[10:11], exec
; %bb.137:                              ;   in Loop: Header=BB32_12 Depth=1
	s_or_b64 exec, exec, s[78:79]
	s_and_b64 exec, exec, s[14:15]
	s_cbranch_execz .LBB32_210
; %bb.138:                              ;   in Loop: Header=BB32_12 Depth=1
	v_add_u32_e32 v4, v232, v143
	v_or_b32_e32 v3, v120, v97
	v_cmp_gt_i32_e64 s[10:11], s36, v4
	v_cmp_gt_i32_e64 s[14:15], s80, v3
	s_and_b64 s[14:15], s[10:11], s[14:15]
	v_mov_b32_e32 v3, 0x47
	s_and_saveexec_b64 s[10:11], s[14:15]
	s_cbranch_execz .LBB32_140
; %bb.139:                              ;   in Loop: Header=BB32_12 Depth=1
	v_add_u32_e32 v3, v194, v212
	ds_read2st64_b32 v[6:7], v3 offset1:17
	v_add_u32_e32 v3, 0, v212
	ds_read2st64_b32 v[8:9], v3 offset0:1 offset1:18
	v_mad_u64_u32 v[4:5], s[14:15], v4, s37, v[120:121]
	s_waitcnt lgkmcnt(1)
	v_cvt_f32_f16_e32 v10, v6
	v_cvt_f32_f16_sdwa v11, v6 dst_sel:DWORD dst_unused:UNUSED_PAD src0_sel:WORD_1
	v_cvt_f32_f16_e32 v6, v7
	v_cvt_f32_f16_sdwa v7, v7 dst_sel:DWORD dst_unused:UNUSED_PAD src0_sel:WORD_1
	v_lshl_add_u32 v4, v4, 7, v94
	v_ashrrev_i32_e32 v5, 31, v4
	s_waitcnt lgkmcnt(0)
	v_pk_fma_f32 v[10:11], v[8:9], v[10:11], 0 op_sel_hi:[0,1,0]
	v_mov_b32_e32 v8, v9
	v_lshl_add_u64 v[4:5], v[4:5], 3, v[162:163]
	v_pk_fma_f32 v[6:7], v[8:9], v[6:7], v[10:11] op_sel_hi:[0,1,1]
	v_mov_b32_e32 v3, 0
	global_store_dwordx2 v[4:5], v[6:7], off
.LBB32_140:                             ;   in Loop: Header=BB32_12 Depth=1
	s_or_b64 exec, exec, s[10:11]
	v_cmp_gt_i32_e64 s[10:11], s99, v3
	s_mov_b64 s[14:15], -1
	s_and_saveexec_b64 s[78:79], s[10:11]
; %bb.141:                              ;   in Loop: Header=BB32_12 Depth=1
	v_cmp_eq_u32_e64 s[10:11], 0, v3
	s_orn2_b64 s[14:15], s[10:11], exec
; %bb.142:                              ;   in Loop: Header=BB32_12 Depth=1
	s_or_b64 exec, exec, s[78:79]
	s_and_b64 exec, exec, s[14:15]
	s_cbranch_execz .LBB32_210
; %bb.143:                              ;   in Loop: Header=BB32_12 Depth=1
	v_add_u32_e32 v4, v213, v143
	v_cmp_gt_i32_e64 s[10:11], s36, v4
	s_and_b64 s[14:15], s[10:11], vcc
	v_mov_b32_e32 v3, 0x47
	s_and_saveexec_b64 s[10:11], s[14:15]
	s_cbranch_execz .LBB32_145
; %bb.144:                              ;   in Loop: Header=BB32_12 Depth=1
	v_add_u32_e32 v3, v194, v214
	ds_read2st64_b32 v[6:7], v3 offset1:17
	v_add_u32_e32 v3, 0, v214
	ds_read2st64_b32 v[8:9], v3 offset0:1 offset1:18
	v_mad_u64_u32 v[4:5], s[14:15], v4, s37, v[140:141]
	s_waitcnt lgkmcnt(1)
	v_cvt_f32_f16_e32 v10, v6
	v_cvt_f32_f16_sdwa v11, v6 dst_sel:DWORD dst_unused:UNUSED_PAD src0_sel:WORD_1
	v_cvt_f32_f16_e32 v6, v7
	v_cvt_f32_f16_sdwa v7, v7 dst_sel:DWORD dst_unused:UNUSED_PAD src0_sel:WORD_1
	v_lshl_add_u32 v4, v4, 7, v94
	v_ashrrev_i32_e32 v5, 31, v4
	s_waitcnt lgkmcnt(0)
	v_pk_fma_f32 v[10:11], v[8:9], v[10:11], 0 op_sel_hi:[0,1,0]
	v_mov_b32_e32 v8, v9
	v_lshl_add_u64 v[4:5], v[4:5], 3, v[162:163]
	v_pk_fma_f32 v[6:7], v[8:9], v[6:7], v[10:11] op_sel_hi:[0,1,1]
	v_mov_b32_e32 v3, 0
	global_store_dwordx2 v[4:5], v[6:7], off
.LBB32_145:                             ;   in Loop: Header=BB32_12 Depth=1
	s_or_b64 exec, exec, s[10:11]
	v_cmp_gt_i32_e64 s[10:11], s99, v3
	s_mov_b64 s[14:15], -1
	s_and_saveexec_b64 s[78:79], s[10:11]
; %bb.146:                              ;   in Loop: Header=BB32_12 Depth=1
	v_cmp_eq_u32_e64 s[10:11], 0, v3
	s_orn2_b64 s[14:15], s[10:11], exec
; %bb.147:                              ;   in Loop: Header=BB32_12 Depth=1
	s_or_b64 exec, exec, s[78:79]
	s_and_b64 exec, exec, s[14:15]
	s_cbranch_execz .LBB32_210
; %bb.148:                              ;   in Loop: Header=BB32_12 Depth=1
	v_add_u32_e32 v4, v230, v143
	v_or_b32_e32 v3, v122, v97
	v_cmp_gt_i32_e64 s[10:11], s36, v4
	v_cmp_gt_i32_e64 s[14:15], s80, v3
	s_and_b64 s[14:15], s[10:11], s[14:15]
	v_mov_b32_e32 v3, 0x47
	s_and_saveexec_b64 s[10:11], s[14:15]
	s_cbranch_execz .LBB32_150
; %bb.149:                              ;   in Loop: Header=BB32_12 Depth=1
	v_add_u32_e32 v3, v194, v215
	ds_read2st64_b32 v[6:7], v3 offset1:17
	v_add_u32_e32 v3, 0, v215
	ds_read2st64_b32 v[8:9], v3 offset0:1 offset1:18
	v_mad_u64_u32 v[4:5], s[14:15], v4, s37, v[122:123]
	s_waitcnt lgkmcnt(1)
	v_cvt_f32_f16_e32 v10, v6
	v_cvt_f32_f16_sdwa v11, v6 dst_sel:DWORD dst_unused:UNUSED_PAD src0_sel:WORD_1
	v_cvt_f32_f16_e32 v6, v7
	v_cvt_f32_f16_sdwa v7, v7 dst_sel:DWORD dst_unused:UNUSED_PAD src0_sel:WORD_1
	v_lshl_add_u32 v4, v4, 7, v94
	v_ashrrev_i32_e32 v5, 31, v4
	s_waitcnt lgkmcnt(0)
	v_pk_fma_f32 v[10:11], v[8:9], v[10:11], 0 op_sel_hi:[0,1,0]
	v_mov_b32_e32 v8, v9
	v_lshl_add_u64 v[4:5], v[4:5], 3, v[162:163]
	v_pk_fma_f32 v[6:7], v[8:9], v[6:7], v[10:11] op_sel_hi:[0,1,1]
	v_mov_b32_e32 v3, 0
	global_store_dwordx2 v[4:5], v[6:7], off
.LBB32_150:                             ;   in Loop: Header=BB32_12 Depth=1
	s_or_b64 exec, exec, s[10:11]
	v_cmp_gt_i32_e64 s[10:11], s99, v3
	s_mov_b64 s[14:15], -1
	s_and_saveexec_b64 s[78:79], s[10:11]
; %bb.151:                              ;   in Loop: Header=BB32_12 Depth=1
	v_cmp_eq_u32_e64 s[10:11], 0, v3
	s_orn2_b64 s[14:15], s[10:11], exec
; %bb.152:                              ;   in Loop: Header=BB32_12 Depth=1
	s_or_b64 exec, exec, s[78:79]
	s_and_b64 exec, exec, s[14:15]
	s_cbranch_execz .LBB32_210
; %bb.153:                              ;   in Loop: Header=BB32_12 Depth=1
	v_add_u32_e32 v4, v216, v143
	v_cmp_gt_i32_e64 s[10:11], s36, v4
	s_and_b64 s[14:15], s[10:11], vcc
	v_mov_b32_e32 v3, 0x47
	s_and_saveexec_b64 s[10:11], s[14:15]
	s_cbranch_execz .LBB32_155
; %bb.154:                              ;   in Loop: Header=BB32_12 Depth=1
	v_add_u32_e32 v3, v194, v217
	ds_read2st64_b32 v[6:7], v3 offset1:17
	v_add_u32_e32 v3, 0, v217
	ds_read2st64_b32 v[8:9], v3 offset0:1 offset1:18
	v_mad_u64_u32 v[4:5], s[14:15], v4, s37, v[140:141]
	s_waitcnt lgkmcnt(1)
	v_cvt_f32_f16_e32 v10, v6
	v_cvt_f32_f16_sdwa v11, v6 dst_sel:DWORD dst_unused:UNUSED_PAD src0_sel:WORD_1
	v_cvt_f32_f16_e32 v6, v7
	v_cvt_f32_f16_sdwa v7, v7 dst_sel:DWORD dst_unused:UNUSED_PAD src0_sel:WORD_1
	v_lshl_add_u32 v4, v4, 7, v94
	v_ashrrev_i32_e32 v5, 31, v4
	s_waitcnt lgkmcnt(0)
	v_pk_fma_f32 v[10:11], v[8:9], v[10:11], 0 op_sel_hi:[0,1,0]
	v_mov_b32_e32 v8, v9
	v_lshl_add_u64 v[4:5], v[4:5], 3, v[162:163]
	v_pk_fma_f32 v[6:7], v[8:9], v[6:7], v[10:11] op_sel_hi:[0,1,1]
	v_mov_b32_e32 v3, 0
	global_store_dwordx2 v[4:5], v[6:7], off
.LBB32_155:                             ;   in Loop: Header=BB32_12 Depth=1
	s_or_b64 exec, exec, s[10:11]
	v_cmp_gt_i32_e64 s[10:11], s99, v3
	s_mov_b64 s[14:15], -1
	s_and_saveexec_b64 s[78:79], s[10:11]
; %bb.156:                              ;   in Loop: Header=BB32_12 Depth=1
	v_cmp_eq_u32_e64 s[10:11], 0, v3
	s_orn2_b64 s[14:15], s[10:11], exec
; %bb.157:                              ;   in Loop: Header=BB32_12 Depth=1
	s_or_b64 exec, exec, s[78:79]
	s_and_b64 exec, exec, s[14:15]
	s_cbranch_execz .LBB32_210
; %bb.158:                              ;   in Loop: Header=BB32_12 Depth=1
	v_add_u32_e32 v4, v134, v143
	v_or_b32_e32 v3, v124, v97
	v_cmp_gt_i32_e64 s[10:11], s36, v4
	v_cmp_gt_i32_e64 s[14:15], s80, v3
	s_and_b64 s[14:15], s[10:11], s[14:15]
	v_mov_b32_e32 v3, 0x47
	s_and_saveexec_b64 s[10:11], s[14:15]
	s_cbranch_execz .LBB32_160
; %bb.159:                              ;   in Loop: Header=BB32_12 Depth=1
	v_add_u32_e32 v3, v194, v126
	ds_read2st64_b32 v[6:7], v3 offset1:17
	v_add_u32_e32 v3, 0, v126
	ds_read2st64_b32 v[8:9], v3 offset0:1 offset1:18
	v_mad_u64_u32 v[4:5], s[14:15], v4, s37, v[124:125]
	s_waitcnt lgkmcnt(1)
	v_cvt_f32_f16_e32 v10, v6
	v_cvt_f32_f16_sdwa v11, v6 dst_sel:DWORD dst_unused:UNUSED_PAD src0_sel:WORD_1
	v_cvt_f32_f16_e32 v6, v7
	v_cvt_f32_f16_sdwa v7, v7 dst_sel:DWORD dst_unused:UNUSED_PAD src0_sel:WORD_1
	v_lshl_add_u32 v4, v4, 7, v94
	v_ashrrev_i32_e32 v5, 31, v4
	s_waitcnt lgkmcnt(0)
	v_pk_fma_f32 v[10:11], v[8:9], v[10:11], 0 op_sel_hi:[0,1,0]
	v_mov_b32_e32 v8, v9
	v_lshl_add_u64 v[4:5], v[4:5], 3, v[162:163]
	v_pk_fma_f32 v[6:7], v[8:9], v[6:7], v[10:11] op_sel_hi:[0,1,1]
	v_mov_b32_e32 v3, 0
	global_store_dwordx2 v[4:5], v[6:7], off
.LBB32_160:                             ;   in Loop: Header=BB32_12 Depth=1
	s_or_b64 exec, exec, s[10:11]
	v_cmp_gt_i32_e64 s[10:11], s99, v3
	s_mov_b64 s[14:15], -1
	s_and_saveexec_b64 s[78:79], s[10:11]
; %bb.161:                              ;   in Loop: Header=BB32_12 Depth=1
	v_cmp_eq_u32_e64 s[10:11], 0, v3
	s_orn2_b64 s[14:15], s[10:11], exec
; %bb.162:                              ;   in Loop: Header=BB32_12 Depth=1
	s_or_b64 exec, exec, s[78:79]
	s_and_b64 exec, exec, s[14:15]
	s_cbranch_execz .LBB32_210
; %bb.163:                              ;   in Loop: Header=BB32_12 Depth=1
	scratch_load_dword v3, off, off         ; 4-byte Folded Reload
	s_waitcnt vmcnt(0)
	v_add_u32_e32 v4, v3, v143
	v_cmp_gt_i32_e64 s[10:11], s36, v4
	s_and_b64 s[14:15], s[10:11], vcc
	v_mov_b32_e32 v3, 0x47
	s_and_saveexec_b64 s[10:11], s[14:15]
	s_cbranch_execz .LBB32_165
; %bb.164:                              ;   in Loop: Header=BB32_12 Depth=1
	v_mad_u64_u32 v[4:5], s[14:15], v4, s37, v[140:141]
	scratch_load_dword v5, off, off offset:12 ; 4-byte Folded Reload
	v_lshl_add_u32 v4, v4, 7, v94
	s_waitcnt vmcnt(0)
	v_add_u32_e32 v3, v194, v5
	ds_read2st64_b32 v[6:7], v3 offset1:17
	v_add_u32_e32 v3, 0, v5
	ds_read2st64_b32 v[8:9], v3 offset0:1 offset1:18
	v_ashrrev_i32_e32 v5, 31, v4
	v_lshl_add_u64 v[4:5], v[4:5], 3, v[162:163]
	s_waitcnt lgkmcnt(1)
	v_cvt_f32_f16_e32 v10, v6
	v_cvt_f32_f16_sdwa v11, v6 dst_sel:DWORD dst_unused:UNUSED_PAD src0_sel:WORD_1
	v_cvt_f32_f16_e32 v6, v7
	v_cvt_f32_f16_sdwa v7, v7 dst_sel:DWORD dst_unused:UNUSED_PAD src0_sel:WORD_1
	v_mov_b32_e32 v3, 0
	s_waitcnt lgkmcnt(0)
	v_pk_fma_f32 v[10:11], v[8:9], v[10:11], 0 op_sel_hi:[0,1,0]
	v_mov_b32_e32 v8, v9
	v_pk_fma_f32 v[6:7], v[8:9], v[6:7], v[10:11] op_sel_hi:[0,1,1]
	global_store_dwordx2 v[4:5], v[6:7], off
.LBB32_165:                             ;   in Loop: Header=BB32_12 Depth=1
	s_or_b64 exec, exec, s[10:11]
	v_cmp_gt_i32_e64 s[10:11], s99, v3
	s_mov_b64 s[14:15], -1
	s_and_saveexec_b64 s[78:79], s[10:11]
; %bb.166:                              ;   in Loop: Header=BB32_12 Depth=1
	v_cmp_eq_u32_e64 s[10:11], 0, v3
	s_orn2_b64 s[14:15], s[10:11], exec
; %bb.167:                              ;   in Loop: Header=BB32_12 Depth=1
	s_or_b64 exec, exec, s[78:79]
	s_and_b64 exec, exec, s[14:15]
	s_cbranch_execz .LBB32_210
; %bb.168:                              ;   in Loop: Header=BB32_12 Depth=1
	scratch_load_dword v3, off, off offset:16 ; 4-byte Folded Reload
	scratch_load_dwordx2 v[6:7], off, off offset:4 ; 8-byte Folded Reload
	s_waitcnt vmcnt(1)
	v_add_u32_e32 v4, v3, v143
	s_waitcnt vmcnt(0)
	v_or_b32_e32 v3, v6, v97
	v_cmp_gt_i32_e64 s[10:11], s36, v4
	v_cmp_gt_i32_e64 s[14:15], s80, v3
	s_and_b64 s[14:15], s[10:11], s[14:15]
	v_mov_b32_e32 v3, 0x47
	s_and_saveexec_b64 s[10:11], s[14:15]
	s_cbranch_execz .LBB32_170
; %bb.169:                              ;   in Loop: Header=BB32_12 Depth=1
	scratch_load_dwordx2 v[6:7], off, off offset:4 ; 8-byte Folded Reload
	s_waitcnt vmcnt(0)
	v_mad_u64_u32 v[4:5], s[14:15], v4, s37, v[6:7]
	scratch_load_dword v5, off, off offset:20 ; 4-byte Folded Reload
	v_lshl_add_u32 v4, v4, 7, v94
	s_waitcnt vmcnt(0)
	v_add_u32_e32 v3, v194, v5
	ds_read2st64_b32 v[6:7], v3 offset1:17
	v_add_u32_e32 v3, 0, v5
	ds_read2st64_b32 v[8:9], v3 offset0:1 offset1:18
	v_ashrrev_i32_e32 v5, 31, v4
	v_lshl_add_u64 v[4:5], v[4:5], 3, v[162:163]
	s_waitcnt lgkmcnt(1)
	v_cvt_f32_f16_e32 v10, v6
	v_cvt_f32_f16_sdwa v11, v6 dst_sel:DWORD dst_unused:UNUSED_PAD src0_sel:WORD_1
	v_cvt_f32_f16_e32 v6, v7
	v_cvt_f32_f16_sdwa v7, v7 dst_sel:DWORD dst_unused:UNUSED_PAD src0_sel:WORD_1
	v_mov_b32_e32 v3, 0
	s_waitcnt lgkmcnt(0)
	v_pk_fma_f32 v[10:11], v[8:9], v[10:11], 0 op_sel_hi:[0,1,0]
	v_mov_b32_e32 v8, v9
	v_pk_fma_f32 v[6:7], v[8:9], v[6:7], v[10:11] op_sel_hi:[0,1,1]
	global_store_dwordx2 v[4:5], v[6:7], off
.LBB32_170:                             ;   in Loop: Header=BB32_12 Depth=1
	s_or_b64 exec, exec, s[10:11]
	v_cmp_gt_i32_e64 s[10:11], s99, v3
	s_mov_b64 s[14:15], -1
	s_and_saveexec_b64 s[78:79], s[10:11]
; %bb.171:                              ;   in Loop: Header=BB32_12 Depth=1
	v_cmp_eq_u32_e64 s[10:11], 0, v3
	s_orn2_b64 s[14:15], s[10:11], exec
; %bb.172:                              ;   in Loop: Header=BB32_12 Depth=1
	s_or_b64 exec, exec, s[78:79]
	s_and_b64 exec, exec, s[14:15]
	s_cbranch_execz .LBB32_210
; %bb.173:                              ;   in Loop: Header=BB32_12 Depth=1
	scratch_load_dword v3, off, off offset:24 ; 4-byte Folded Reload
	s_waitcnt vmcnt(0)
	v_add_u32_e32 v4, v3, v143
	v_cmp_gt_i32_e64 s[10:11], s36, v4
	s_and_b64 s[14:15], s[10:11], vcc
	v_mov_b32_e32 v3, 0x47
	s_and_saveexec_b64 s[10:11], s[14:15]
	s_cbranch_execz .LBB32_175
; %bb.174:                              ;   in Loop: Header=BB32_12 Depth=1
	v_mad_u64_u32 v[4:5], s[14:15], v4, s37, v[140:141]
	scratch_load_dword v5, off, off offset:36 ; 4-byte Folded Reload
	v_lshl_add_u32 v4, v4, 7, v94
	s_waitcnt vmcnt(0)
	v_add_u32_e32 v3, v194, v5
	ds_read2st64_b32 v[6:7], v3 offset1:17
	v_add_u32_e32 v3, 0, v5
	ds_read2st64_b32 v[8:9], v3 offset0:1 offset1:18
	v_ashrrev_i32_e32 v5, 31, v4
	v_lshl_add_u64 v[4:5], v[4:5], 3, v[162:163]
	s_waitcnt lgkmcnt(1)
	v_cvt_f32_f16_e32 v10, v6
	v_cvt_f32_f16_sdwa v11, v6 dst_sel:DWORD dst_unused:UNUSED_PAD src0_sel:WORD_1
	v_cvt_f32_f16_e32 v6, v7
	v_cvt_f32_f16_sdwa v7, v7 dst_sel:DWORD dst_unused:UNUSED_PAD src0_sel:WORD_1
	v_mov_b32_e32 v3, 0
	s_waitcnt lgkmcnt(0)
	v_pk_fma_f32 v[10:11], v[8:9], v[10:11], 0 op_sel_hi:[0,1,0]
	v_mov_b32_e32 v8, v9
	v_pk_fma_f32 v[6:7], v[8:9], v[6:7], v[10:11] op_sel_hi:[0,1,1]
	global_store_dwordx2 v[4:5], v[6:7], off
.LBB32_175:                             ;   in Loop: Header=BB32_12 Depth=1
	s_or_b64 exec, exec, s[10:11]
	v_cmp_gt_i32_e64 s[10:11], s99, v3
	s_mov_b64 s[14:15], -1
	s_and_saveexec_b64 s[78:79], s[10:11]
; %bb.176:                              ;   in Loop: Header=BB32_12 Depth=1
	v_cmp_eq_u32_e64 s[10:11], 0, v3
	s_orn2_b64 s[14:15], s[10:11], exec
; %bb.177:                              ;   in Loop: Header=BB32_12 Depth=1
	s_or_b64 exec, exec, s[78:79]
	s_and_b64 exec, exec, s[14:15]
	s_cbranch_execz .LBB32_210
; %bb.178:                              ;   in Loop: Header=BB32_12 Depth=1
	scratch_load_dword v3, off, off offset:40 ; 4-byte Folded Reload
	scratch_load_dwordx2 v[6:7], off, off offset:28 ; 8-byte Folded Reload
	s_waitcnt vmcnt(1)
	v_add_u32_e32 v4, v3, v143
	s_waitcnt vmcnt(0)
	v_or_b32_e32 v3, v6, v97
	v_cmp_gt_i32_e64 s[10:11], s36, v4
	v_cmp_gt_i32_e64 s[14:15], s80, v3
	s_and_b64 s[14:15], s[10:11], s[14:15]
	v_mov_b32_e32 v3, 0x47
	s_and_saveexec_b64 s[10:11], s[14:15]
	s_cbranch_execz .LBB32_180
; %bb.179:                              ;   in Loop: Header=BB32_12 Depth=1
	scratch_load_dwordx2 v[6:7], off, off offset:28 ; 8-byte Folded Reload
	s_waitcnt vmcnt(0)
	v_mad_u64_u32 v[4:5], s[14:15], v4, s37, v[6:7]
	scratch_load_dword v5, off, off offset:44 ; 4-byte Folded Reload
	v_lshl_add_u32 v4, v4, 7, v94
	s_waitcnt vmcnt(0)
	v_add_u32_e32 v3, v194, v5
	ds_read2st64_b32 v[6:7], v3 offset1:17
	v_add_u32_e32 v3, 0, v5
	ds_read2st64_b32 v[8:9], v3 offset0:1 offset1:18
	v_ashrrev_i32_e32 v5, 31, v4
	v_lshl_add_u64 v[4:5], v[4:5], 3, v[162:163]
	s_waitcnt lgkmcnt(1)
	v_cvt_f32_f16_e32 v10, v6
	v_cvt_f32_f16_sdwa v11, v6 dst_sel:DWORD dst_unused:UNUSED_PAD src0_sel:WORD_1
	v_cvt_f32_f16_e32 v6, v7
	v_cvt_f32_f16_sdwa v7, v7 dst_sel:DWORD dst_unused:UNUSED_PAD src0_sel:WORD_1
	v_mov_b32_e32 v3, 0
	s_waitcnt lgkmcnt(0)
	v_pk_fma_f32 v[10:11], v[8:9], v[10:11], 0 op_sel_hi:[0,1,0]
	v_mov_b32_e32 v8, v9
	v_pk_fma_f32 v[6:7], v[8:9], v[6:7], v[10:11] op_sel_hi:[0,1,1]
	global_store_dwordx2 v[4:5], v[6:7], off
.LBB32_180:                             ;   in Loop: Header=BB32_12 Depth=1
	s_or_b64 exec, exec, s[10:11]
	v_cmp_gt_i32_e64 s[10:11], s99, v3
	s_mov_b64 s[14:15], -1
	s_and_saveexec_b64 s[78:79], s[10:11]
; %bb.181:                              ;   in Loop: Header=BB32_12 Depth=1
	v_cmp_eq_u32_e64 s[10:11], 0, v3
	s_orn2_b64 s[14:15], s[10:11], exec
; %bb.182:                              ;   in Loop: Header=BB32_12 Depth=1
	s_or_b64 exec, exec, s[78:79]
	s_and_b64 exec, exec, s[14:15]
	s_cbranch_execz .LBB32_210
; %bb.183:                              ;   in Loop: Header=BB32_12 Depth=1
	scratch_load_dword v3, off, off offset:48 ; 4-byte Folded Reload
	s_waitcnt vmcnt(0)
	v_add_u32_e32 v4, v3, v143
	v_cmp_gt_i32_e64 s[10:11], s36, v4
	s_and_b64 s[14:15], s[10:11], vcc
	v_mov_b32_e32 v3, 0x47
	s_and_saveexec_b64 s[10:11], s[14:15]
	s_cbranch_execz .LBB32_185
; %bb.184:                              ;   in Loop: Header=BB32_12 Depth=1
	v_mad_u64_u32 v[4:5], s[14:15], v4, s37, v[140:141]
	scratch_load_dword v5, off, off offset:60 ; 4-byte Folded Reload
	v_lshl_add_u32 v4, v4, 7, v94
	s_waitcnt vmcnt(0)
	v_add_u32_e32 v3, v194, v5
	ds_read2st64_b32 v[6:7], v3 offset1:17
	v_add_u32_e32 v3, 0, v5
	ds_read2st64_b32 v[8:9], v3 offset0:1 offset1:18
	v_ashrrev_i32_e32 v5, 31, v4
	v_lshl_add_u64 v[4:5], v[4:5], 3, v[162:163]
	s_waitcnt lgkmcnt(1)
	v_cvt_f32_f16_e32 v10, v6
	v_cvt_f32_f16_sdwa v11, v6 dst_sel:DWORD dst_unused:UNUSED_PAD src0_sel:WORD_1
	v_cvt_f32_f16_e32 v6, v7
	v_cvt_f32_f16_sdwa v7, v7 dst_sel:DWORD dst_unused:UNUSED_PAD src0_sel:WORD_1
	v_mov_b32_e32 v3, 0
	s_waitcnt lgkmcnt(0)
	v_pk_fma_f32 v[10:11], v[8:9], v[10:11], 0 op_sel_hi:[0,1,0]
	v_mov_b32_e32 v8, v9
	v_pk_fma_f32 v[6:7], v[8:9], v[6:7], v[10:11] op_sel_hi:[0,1,1]
	global_store_dwordx2 v[4:5], v[6:7], off
.LBB32_185:                             ;   in Loop: Header=BB32_12 Depth=1
	s_or_b64 exec, exec, s[10:11]
	v_cmp_gt_i32_e64 s[10:11], s99, v3
	s_mov_b64 s[14:15], -1
	s_and_saveexec_b64 s[78:79], s[10:11]
; %bb.186:                              ;   in Loop: Header=BB32_12 Depth=1
	v_cmp_eq_u32_e64 s[10:11], 0, v3
	s_orn2_b64 s[14:15], s[10:11], exec
; %bb.187:                              ;   in Loop: Header=BB32_12 Depth=1
	s_or_b64 exec, exec, s[78:79]
	s_and_b64 exec, exec, s[14:15]
	s_cbranch_execz .LBB32_210
; %bb.188:                              ;   in Loop: Header=BB32_12 Depth=1
	scratch_load_dword v3, off, off offset:64 ; 4-byte Folded Reload
	scratch_load_dwordx2 v[6:7], off, off offset:52 ; 8-byte Folded Reload
	s_waitcnt vmcnt(1)
	v_add_u32_e32 v4, v3, v143
	s_waitcnt vmcnt(0)
	v_or_b32_e32 v3, v6, v97
	v_cmp_gt_i32_e64 s[10:11], s36, v4
	v_cmp_gt_i32_e64 s[14:15], s80, v3
	s_and_b64 s[14:15], s[10:11], s[14:15]
	v_mov_b32_e32 v3, 0x47
	s_and_saveexec_b64 s[10:11], s[14:15]
	s_cbranch_execz .LBB32_190
; %bb.189:                              ;   in Loop: Header=BB32_12 Depth=1
	scratch_load_dwordx2 v[6:7], off, off offset:52 ; 8-byte Folded Reload
	s_waitcnt vmcnt(0)
	v_mad_u64_u32 v[4:5], s[14:15], v4, s37, v[6:7]
	scratch_load_dword v5, off, off offset:68 ; 4-byte Folded Reload
	v_lshl_add_u32 v4, v4, 7, v94
	s_waitcnt vmcnt(0)
	v_add_u32_e32 v3, v194, v5
	ds_read2st64_b32 v[6:7], v3 offset1:17
	v_add_u32_e32 v3, 0, v5
	ds_read2st64_b32 v[8:9], v3 offset0:1 offset1:18
	v_ashrrev_i32_e32 v5, 31, v4
	v_lshl_add_u64 v[4:5], v[4:5], 3, v[162:163]
	s_waitcnt lgkmcnt(1)
	v_cvt_f32_f16_e32 v10, v6
	v_cvt_f32_f16_sdwa v11, v6 dst_sel:DWORD dst_unused:UNUSED_PAD src0_sel:WORD_1
	v_cvt_f32_f16_e32 v6, v7
	v_cvt_f32_f16_sdwa v7, v7 dst_sel:DWORD dst_unused:UNUSED_PAD src0_sel:WORD_1
	v_mov_b32_e32 v3, 0
	s_waitcnt lgkmcnt(0)
	v_pk_fma_f32 v[10:11], v[8:9], v[10:11], 0 op_sel_hi:[0,1,0]
	v_mov_b32_e32 v8, v9
	v_pk_fma_f32 v[6:7], v[8:9], v[6:7], v[10:11] op_sel_hi:[0,1,1]
	global_store_dwordx2 v[4:5], v[6:7], off
.LBB32_190:                             ;   in Loop: Header=BB32_12 Depth=1
	s_or_b64 exec, exec, s[10:11]
	v_cmp_gt_i32_e64 s[10:11], s99, v3
	s_mov_b64 s[14:15], -1
	s_and_saveexec_b64 s[78:79], s[10:11]
; %bb.191:                              ;   in Loop: Header=BB32_12 Depth=1
	v_cmp_eq_u32_e64 s[10:11], 0, v3
	s_orn2_b64 s[14:15], s[10:11], exec
; %bb.192:                              ;   in Loop: Header=BB32_12 Depth=1
	s_or_b64 exec, exec, s[78:79]
	s_and_b64 exec, exec, s[14:15]
	s_cbranch_execz .LBB32_210
; %bb.193:                              ;   in Loop: Header=BB32_12 Depth=1
	scratch_load_dword v3, off, off offset:72 ; 4-byte Folded Reload
	s_waitcnt vmcnt(0)
	v_add_u32_e32 v4, v3, v143
	v_cmp_gt_i32_e64 s[10:11], s36, v4
	s_and_b64 s[14:15], s[10:11], vcc
	v_mov_b32_e32 v3, 0x47
	s_and_saveexec_b64 s[10:11], s[14:15]
	s_cbranch_execz .LBB32_195
; %bb.194:                              ;   in Loop: Header=BB32_12 Depth=1
	v_mad_u64_u32 v[4:5], s[14:15], v4, s37, v[140:141]
	scratch_load_dword v5, off, off offset:84 ; 4-byte Folded Reload
	v_lshl_add_u32 v4, v4, 7, v94
	s_waitcnt vmcnt(0)
	v_add_u32_e32 v3, v194, v5
	ds_read2st64_b32 v[6:7], v3 offset1:17
	v_add_u32_e32 v3, 0, v5
	ds_read2st64_b32 v[8:9], v3 offset0:1 offset1:18
	v_ashrrev_i32_e32 v5, 31, v4
	v_lshl_add_u64 v[4:5], v[4:5], 3, v[162:163]
	s_waitcnt lgkmcnt(1)
	v_cvt_f32_f16_e32 v10, v6
	v_cvt_f32_f16_sdwa v11, v6 dst_sel:DWORD dst_unused:UNUSED_PAD src0_sel:WORD_1
	v_cvt_f32_f16_e32 v6, v7
	v_cvt_f32_f16_sdwa v7, v7 dst_sel:DWORD dst_unused:UNUSED_PAD src0_sel:WORD_1
	v_mov_b32_e32 v3, 0
	s_waitcnt lgkmcnt(0)
	v_pk_fma_f32 v[10:11], v[8:9], v[10:11], 0 op_sel_hi:[0,1,0]
	v_mov_b32_e32 v8, v9
	v_pk_fma_f32 v[6:7], v[8:9], v[6:7], v[10:11] op_sel_hi:[0,1,1]
	global_store_dwordx2 v[4:5], v[6:7], off
.LBB32_195:                             ;   in Loop: Header=BB32_12 Depth=1
	s_or_b64 exec, exec, s[10:11]
	v_cmp_gt_i32_e64 s[10:11], s99, v3
	s_mov_b64 s[14:15], -1
	s_and_saveexec_b64 s[78:79], s[10:11]
; %bb.196:                              ;   in Loop: Header=BB32_12 Depth=1
	v_cmp_eq_u32_e64 s[10:11], 0, v3
	s_orn2_b64 s[14:15], s[10:11], exec
; %bb.197:                              ;   in Loop: Header=BB32_12 Depth=1
	s_or_b64 exec, exec, s[78:79]
	s_and_b64 exec, exec, s[14:15]
	s_cbranch_execz .LBB32_210
; %bb.198:                              ;   in Loop: Header=BB32_12 Depth=1
	scratch_load_dword v3, off, off offset:88 ; 4-byte Folded Reload
	scratch_load_dwordx2 v[6:7], off, off offset:76 ; 8-byte Folded Reload
	s_waitcnt vmcnt(1)
	v_add_u32_e32 v4, v3, v143
	s_waitcnt vmcnt(0)
	v_or_b32_e32 v3, v6, v97
	v_cmp_gt_i32_e64 s[10:11], s36, v4
	v_cmp_gt_i32_e64 s[14:15], s80, v3
	s_and_b64 s[14:15], s[10:11], s[14:15]
	v_mov_b32_e32 v3, 0x47
	s_and_saveexec_b64 s[10:11], s[14:15]
	s_cbranch_execz .LBB32_200
; %bb.199:                              ;   in Loop: Header=BB32_12 Depth=1
	scratch_load_dwordx2 v[6:7], off, off offset:76 ; 8-byte Folded Reload
	s_waitcnt vmcnt(0)
	v_mad_u64_u32 v[4:5], s[14:15], v4, s37, v[6:7]
	scratch_load_dword v5, off, off offset:92 ; 4-byte Folded Reload
	v_lshl_add_u32 v4, v4, 7, v94
	s_waitcnt vmcnt(0)
	v_add_u32_e32 v3, v194, v5
	ds_read2st64_b32 v[6:7], v3 offset1:17
	v_add_u32_e32 v3, 0, v5
	ds_read2st64_b32 v[8:9], v3 offset0:1 offset1:18
	v_ashrrev_i32_e32 v5, 31, v4
	v_lshl_add_u64 v[4:5], v[4:5], 3, v[162:163]
	s_waitcnt lgkmcnt(1)
	v_cvt_f32_f16_e32 v10, v6
	v_cvt_f32_f16_sdwa v11, v6 dst_sel:DWORD dst_unused:UNUSED_PAD src0_sel:WORD_1
	v_cvt_f32_f16_e32 v6, v7
	v_cvt_f32_f16_sdwa v7, v7 dst_sel:DWORD dst_unused:UNUSED_PAD src0_sel:WORD_1
	v_mov_b32_e32 v3, 0
	s_waitcnt lgkmcnt(0)
	v_pk_fma_f32 v[10:11], v[8:9], v[10:11], 0 op_sel_hi:[0,1,0]
	v_mov_b32_e32 v8, v9
	v_pk_fma_f32 v[6:7], v[8:9], v[6:7], v[10:11] op_sel_hi:[0,1,1]
	global_store_dwordx2 v[4:5], v[6:7], off
.LBB32_200:                             ;   in Loop: Header=BB32_12 Depth=1
	s_or_b64 exec, exec, s[10:11]
	v_cmp_gt_i32_e64 s[10:11], s99, v3
	s_mov_b64 s[14:15], -1
	s_and_saveexec_b64 s[78:79], s[10:11]
; %bb.201:                              ;   in Loop: Header=BB32_12 Depth=1
	v_cmp_eq_u32_e64 s[10:11], 0, v3
	s_orn2_b64 s[14:15], s[10:11], exec
; %bb.202:                              ;   in Loop: Header=BB32_12 Depth=1
	s_or_b64 exec, exec, s[78:79]
	s_and_b64 exec, exec, s[14:15]
	s_cbranch_execz .LBB32_210
; %bb.203:                              ;   in Loop: Header=BB32_12 Depth=1
	scratch_load_dword v3, off, off offset:96 ; 4-byte Folded Reload
	s_waitcnt vmcnt(0)
	v_add_u32_e32 v4, v3, v143
	v_cmp_gt_i32_e64 s[10:11], s36, v4
	s_and_b64 s[14:15], s[10:11], vcc
	v_mov_b32_e32 v3, 0x47
	s_and_saveexec_b64 s[10:11], s[14:15]
	s_cbranch_execz .LBB32_205
; %bb.204:                              ;   in Loop: Header=BB32_12 Depth=1
	v_mad_u64_u32 v[4:5], s[14:15], v4, s37, v[140:141]
	scratch_load_dword v5, off, off offset:108 ; 4-byte Folded Reload
	v_lshl_add_u32 v4, v4, 7, v94
	s_waitcnt vmcnt(0)
	v_add_u32_e32 v3, v194, v5
	ds_read2st64_b32 v[6:7], v3 offset1:17
	v_add_u32_e32 v3, 0, v5
	ds_read2st64_b32 v[8:9], v3 offset0:1 offset1:18
	v_ashrrev_i32_e32 v5, 31, v4
	v_lshl_add_u64 v[4:5], v[4:5], 3, v[162:163]
	s_waitcnt lgkmcnt(1)
	v_cvt_f32_f16_e32 v10, v6
	v_cvt_f32_f16_sdwa v11, v6 dst_sel:DWORD dst_unused:UNUSED_PAD src0_sel:WORD_1
	v_cvt_f32_f16_e32 v6, v7
	v_cvt_f32_f16_sdwa v7, v7 dst_sel:DWORD dst_unused:UNUSED_PAD src0_sel:WORD_1
	v_mov_b32_e32 v3, 0
	s_waitcnt lgkmcnt(0)
	v_pk_fma_f32 v[10:11], v[8:9], v[10:11], 0 op_sel_hi:[0,1,0]
	v_mov_b32_e32 v8, v9
	v_pk_fma_f32 v[6:7], v[8:9], v[6:7], v[10:11] op_sel_hi:[0,1,1]
	global_store_dwordx2 v[4:5], v[6:7], off
.LBB32_205:                             ;   in Loop: Header=BB32_12 Depth=1
	s_or_b64 exec, exec, s[10:11]
	v_cmp_gt_i32_e32 vcc, s99, v3
	s_mov_b64 s[10:11], -1
	s_and_saveexec_b64 s[14:15], vcc
; %bb.206:                              ;   in Loop: Header=BB32_12 Depth=1
	v_cmp_eq_u32_e32 vcc, 0, v3
	s_orn2_b64 s[10:11], vcc, exec
; %bb.207:                              ;   in Loop: Header=BB32_12 Depth=1
	s_or_b64 exec, exec, s[14:15]
	s_and_b64 exec, exec, s[10:11]
	s_cbranch_execz .LBB32_210
; %bb.208:                              ;   in Loop: Header=BB32_12 Depth=1
	scratch_load_dword v3, off, off offset:112 ; 4-byte Folded Reload
	scratch_load_dwordx2 v[4:5], off, off offset:100 ; 8-byte Folded Reload
	s_waitcnt vmcnt(1)
	v_add_u32_e32 v3, v3, v143
	s_waitcnt vmcnt(0)
	v_or_b32_e32 v4, v4, v97
	v_cmp_gt_i32_e32 vcc, s36, v3
	v_cmp_gt_i32_e64 s[10:11], s80, v4
	s_and_b64 s[10:11], vcc, s[10:11]
	s_and_b64 exec, exec, s[10:11]
	s_cbranch_execz .LBB32_210
; %bb.209:                              ;   in Loop: Header=BB32_12 Depth=1
	scratch_load_dwordx2 v[4:5], off, off offset:100 ; 8-byte Folded Reload
	s_waitcnt vmcnt(0)
	v_mad_u64_u32 v[4:5], s[10:11], v3, s37, v[4:5]
	scratch_load_dword v5, off, off offset:116 ; 4-byte Folded Reload
	v_lshl_add_u32 v4, v4, 7, v94
	s_waitcnt vmcnt(0)
	v_add_u32_e32 v3, v194, v5
	ds_read2st64_b32 v[6:7], v3 offset1:17
	v_add_u32_e32 v3, 0, v5
	ds_read2st64_b32 v[8:9], v3 offset0:1 offset1:18
	v_ashrrev_i32_e32 v5, 31, v4
	v_lshl_add_u64 v[4:5], v[4:5], 3, v[162:163]
	s_waitcnt lgkmcnt(1)
	v_cvt_f32_f16_e32 v10, v6
	v_cvt_f32_f16_sdwa v11, v6 dst_sel:DWORD dst_unused:UNUSED_PAD src0_sel:WORD_1
	v_cvt_f32_f16_e32 v6, v7
	v_cvt_f32_f16_sdwa v7, v7 dst_sel:DWORD dst_unused:UNUSED_PAD src0_sel:WORD_1
	s_waitcnt lgkmcnt(0)
	v_pk_fma_f32 v[10:11], v[8:9], v[10:11], 0 op_sel_hi:[0,1,0]
	v_mov_b32_e32 v8, v9
	v_pk_fma_f32 v[6:7], v[8:9], v[6:7], v[10:11] op_sel_hi:[0,1,1]
	global_store_dwordx2 v[4:5], v[6:7], off
.LBB32_210:                             ;   in Loop: Header=BB32_12 Depth=1
	s_or_b64 exec, exec, s[76:77]
	s_barrier
	ds_write2_b32 v202, v36, v13 offset1:1
	ds_write2_b32 v202, v40, v16 offset0:8 offset1:9
	ds_write2_b32 v202, v41, v20 offset0:16 offset1:17
	;; [unrolled: 1-line block ×7, first 2 shown]
	s_waitcnt lgkmcnt(0)
	s_barrier
	s_and_saveexec_b64 s[76:77], s[12:13]
	s_cbranch_execz .LBB32_288
; %bb.211:                              ;   in Loop: Header=BB32_12 Depth=1
	v_or_b32_e32 v3, v140, v97
	v_cmp_gt_i32_e64 s[10:11], s36, v2
	v_cmp_gt_i32_e32 vcc, s80, v3
	s_and_b64 s[14:15], s[10:11], vcc
	v_mov_b32_e32 v3, 0x47
	s_and_saveexec_b64 s[10:11], s[14:15]
	s_cbranch_execz .LBB32_213
; %bb.212:                              ;   in Loop: Header=BB32_12 Depth=1
	v_mad_u64_u32 v[2:3], s[14:15], v2, s37, v[140:141]
	v_add_u32_e32 v3, v194, v211
	ds_read2st64_b32 v[4:5], v3 offset1:17
	v_add_u32_e32 v3, 0, v211
	ds_read2st64_b32 v[6:7], v3 offset0:1 offset1:18
	v_lshl_add_u32 v2, v2, 7, v239
	v_ashrrev_i32_e32 v3, 31, v2
	s_waitcnt lgkmcnt(1)
	v_cvt_f32_f16_e32 v8, v4
	v_cvt_f32_f16_sdwa v9, v4 dst_sel:DWORD dst_unused:UNUSED_PAD src0_sel:WORD_1
	v_cvt_f32_f16_e32 v4, v5
	v_cvt_f32_f16_sdwa v5, v5 dst_sel:DWORD dst_unused:UNUSED_PAD src0_sel:WORD_1
	v_lshl_add_u64 v[2:3], v[2:3], 3, v[162:163]
	s_waitcnt lgkmcnt(0)
	v_pk_fma_f32 v[8:9], v[6:7], v[8:9], 0 op_sel_hi:[0,1,0]
	v_mov_b32_e32 v6, v7
	v_pk_fma_f32 v[4:5], v[6:7], v[4:5], v[8:9] op_sel_hi:[0,1,1]
	global_store_dwordx2 v[2:3], v[4:5], off
	v_mov_b32_e32 v3, 0
.LBB32_213:                             ;   in Loop: Header=BB32_12 Depth=1
	s_or_b64 exec, exec, s[10:11]
	v_cmp_gt_i32_e64 s[10:11], s99, v3
	s_mov_b64 s[14:15], -1
	s_and_saveexec_b64 s[78:79], s[10:11]
; %bb.214:                              ;   in Loop: Header=BB32_12 Depth=1
	v_cmp_eq_u32_e64 s[10:11], 0, v3
	s_orn2_b64 s[14:15], s[10:11], exec
; %bb.215:                              ;   in Loop: Header=BB32_12 Depth=1
	s_or_b64 exec, exec, s[78:79]
	s_and_b64 exec, exec, s[14:15]
	s_cbranch_execz .LBB32_288
; %bb.216:                              ;   in Loop: Header=BB32_12 Depth=1
	v_add_u32_e32 v3, v232, v143
	v_or_b32_e32 v2, v120, v97
	v_cmp_gt_i32_e64 s[10:11], s36, v3
	v_cmp_gt_i32_e64 s[14:15], s80, v2
	s_and_b64 s[14:15], s[10:11], s[14:15]
	v_mov_b32_e32 v2, 0x47
	s_and_saveexec_b64 s[10:11], s[14:15]
	s_cbranch_execz .LBB32_218
; %bb.217:                              ;   in Loop: Header=BB32_12 Depth=1
	v_mad_u64_u32 v[2:3], s[14:15], v3, s37, v[120:121]
	v_add_u32_e32 v3, v194, v212
	ds_read2st64_b32 v[4:5], v3 offset1:17
	v_add_u32_e32 v3, 0, v212
	ds_read2st64_b32 v[6:7], v3 offset0:1 offset1:18
	v_lshl_add_u32 v2, v2, 7, v239
	v_ashrrev_i32_e32 v3, 31, v2
	s_waitcnt lgkmcnt(1)
	v_cvt_f32_f16_e32 v8, v4
	v_cvt_f32_f16_sdwa v9, v4 dst_sel:DWORD dst_unused:UNUSED_PAD src0_sel:WORD_1
	v_cvt_f32_f16_e32 v4, v5
	v_cvt_f32_f16_sdwa v5, v5 dst_sel:DWORD dst_unused:UNUSED_PAD src0_sel:WORD_1
	v_lshl_add_u64 v[2:3], v[2:3], 3, v[162:163]
	s_waitcnt lgkmcnt(0)
	v_pk_fma_f32 v[8:9], v[6:7], v[8:9], 0 op_sel_hi:[0,1,0]
	v_mov_b32_e32 v6, v7
	v_pk_fma_f32 v[4:5], v[6:7], v[4:5], v[8:9] op_sel_hi:[0,1,1]
	global_store_dwordx2 v[2:3], v[4:5], off
	v_mov_b32_e32 v2, 0
.LBB32_218:                             ;   in Loop: Header=BB32_12 Depth=1
	s_or_b64 exec, exec, s[10:11]
	v_cmp_gt_i32_e64 s[10:11], s99, v2
	s_mov_b64 s[14:15], -1
	s_and_saveexec_b64 s[78:79], s[10:11]
; %bb.219:                              ;   in Loop: Header=BB32_12 Depth=1
	v_cmp_eq_u32_e64 s[10:11], 0, v2
	s_orn2_b64 s[14:15], s[10:11], exec
; %bb.220:                              ;   in Loop: Header=BB32_12 Depth=1
	s_or_b64 exec, exec, s[78:79]
	s_and_b64 exec, exec, s[14:15]
	s_cbranch_execz .LBB32_288
; %bb.221:                              ;   in Loop: Header=BB32_12 Depth=1
	v_add_u32_e32 v3, v213, v143
	v_cmp_gt_i32_e64 s[10:11], s36, v3
	s_and_b64 s[14:15], s[10:11], vcc
	v_mov_b32_e32 v2, 0x47
	s_and_saveexec_b64 s[10:11], s[14:15]
	s_cbranch_execz .LBB32_223
; %bb.222:                              ;   in Loop: Header=BB32_12 Depth=1
	v_mad_u64_u32 v[2:3], s[14:15], v3, s37, v[140:141]
	v_add_u32_e32 v3, v194, v214
	ds_read2st64_b32 v[4:5], v3 offset1:17
	v_add_u32_e32 v3, 0, v214
	ds_read2st64_b32 v[6:7], v3 offset0:1 offset1:18
	v_lshl_add_u32 v2, v2, 7, v239
	v_ashrrev_i32_e32 v3, 31, v2
	s_waitcnt lgkmcnt(1)
	v_cvt_f32_f16_e32 v8, v4
	v_cvt_f32_f16_sdwa v9, v4 dst_sel:DWORD dst_unused:UNUSED_PAD src0_sel:WORD_1
	v_cvt_f32_f16_e32 v4, v5
	v_cvt_f32_f16_sdwa v5, v5 dst_sel:DWORD dst_unused:UNUSED_PAD src0_sel:WORD_1
	v_lshl_add_u64 v[2:3], v[2:3], 3, v[162:163]
	s_waitcnt lgkmcnt(0)
	v_pk_fma_f32 v[8:9], v[6:7], v[8:9], 0 op_sel_hi:[0,1,0]
	v_mov_b32_e32 v6, v7
	v_pk_fma_f32 v[4:5], v[6:7], v[4:5], v[8:9] op_sel_hi:[0,1,1]
	global_store_dwordx2 v[2:3], v[4:5], off
	v_mov_b32_e32 v2, 0
.LBB32_223:                             ;   in Loop: Header=BB32_12 Depth=1
	s_or_b64 exec, exec, s[10:11]
	v_cmp_gt_i32_e64 s[10:11], s99, v2
	s_mov_b64 s[14:15], -1
	s_and_saveexec_b64 s[78:79], s[10:11]
; %bb.224:                              ;   in Loop: Header=BB32_12 Depth=1
	v_cmp_eq_u32_e64 s[10:11], 0, v2
	s_orn2_b64 s[14:15], s[10:11], exec
; %bb.225:                              ;   in Loop: Header=BB32_12 Depth=1
	s_or_b64 exec, exec, s[78:79]
	s_and_b64 exec, exec, s[14:15]
	s_cbranch_execz .LBB32_288
; %bb.226:                              ;   in Loop: Header=BB32_12 Depth=1
	v_add_u32_e32 v3, v230, v143
	v_or_b32_e32 v2, v122, v97
	v_cmp_gt_i32_e64 s[10:11], s36, v3
	v_cmp_gt_i32_e64 s[14:15], s80, v2
	s_and_b64 s[14:15], s[10:11], s[14:15]
	v_mov_b32_e32 v2, 0x47
	s_and_saveexec_b64 s[10:11], s[14:15]
	s_cbranch_execz .LBB32_228
; %bb.227:                              ;   in Loop: Header=BB32_12 Depth=1
	v_mad_u64_u32 v[2:3], s[14:15], v3, s37, v[122:123]
	v_add_u32_e32 v3, v194, v215
	ds_read2st64_b32 v[4:5], v3 offset1:17
	v_add_u32_e32 v3, 0, v215
	ds_read2st64_b32 v[6:7], v3 offset0:1 offset1:18
	v_lshl_add_u32 v2, v2, 7, v239
	v_ashrrev_i32_e32 v3, 31, v2
	s_waitcnt lgkmcnt(1)
	v_cvt_f32_f16_e32 v8, v4
	v_cvt_f32_f16_sdwa v9, v4 dst_sel:DWORD dst_unused:UNUSED_PAD src0_sel:WORD_1
	v_cvt_f32_f16_e32 v4, v5
	v_cvt_f32_f16_sdwa v5, v5 dst_sel:DWORD dst_unused:UNUSED_PAD src0_sel:WORD_1
	v_lshl_add_u64 v[2:3], v[2:3], 3, v[162:163]
	s_waitcnt lgkmcnt(0)
	v_pk_fma_f32 v[8:9], v[6:7], v[8:9], 0 op_sel_hi:[0,1,0]
	v_mov_b32_e32 v6, v7
	v_pk_fma_f32 v[4:5], v[6:7], v[4:5], v[8:9] op_sel_hi:[0,1,1]
	global_store_dwordx2 v[2:3], v[4:5], off
	v_mov_b32_e32 v2, 0
.LBB32_228:                             ;   in Loop: Header=BB32_12 Depth=1
	s_or_b64 exec, exec, s[10:11]
	v_cmp_gt_i32_e64 s[10:11], s99, v2
	s_mov_b64 s[14:15], -1
	s_and_saveexec_b64 s[78:79], s[10:11]
; %bb.229:                              ;   in Loop: Header=BB32_12 Depth=1
	v_cmp_eq_u32_e64 s[10:11], 0, v2
	s_orn2_b64 s[14:15], s[10:11], exec
; %bb.230:                              ;   in Loop: Header=BB32_12 Depth=1
	s_or_b64 exec, exec, s[78:79]
	s_and_b64 exec, exec, s[14:15]
	s_cbranch_execz .LBB32_288
; %bb.231:                              ;   in Loop: Header=BB32_12 Depth=1
	v_add_u32_e32 v3, v216, v143
	v_cmp_gt_i32_e64 s[10:11], s36, v3
	s_and_b64 s[14:15], s[10:11], vcc
	v_mov_b32_e32 v2, 0x47
	s_and_saveexec_b64 s[10:11], s[14:15]
	s_cbranch_execz .LBB32_233
; %bb.232:                              ;   in Loop: Header=BB32_12 Depth=1
	v_mad_u64_u32 v[2:3], s[14:15], v3, s37, v[140:141]
	v_add_u32_e32 v3, v194, v217
	ds_read2st64_b32 v[4:5], v3 offset1:17
	v_add_u32_e32 v3, 0, v217
	ds_read2st64_b32 v[6:7], v3 offset0:1 offset1:18
	v_lshl_add_u32 v2, v2, 7, v239
	v_ashrrev_i32_e32 v3, 31, v2
	s_waitcnt lgkmcnt(1)
	v_cvt_f32_f16_e32 v8, v4
	v_cvt_f32_f16_sdwa v9, v4 dst_sel:DWORD dst_unused:UNUSED_PAD src0_sel:WORD_1
	v_cvt_f32_f16_e32 v4, v5
	v_cvt_f32_f16_sdwa v5, v5 dst_sel:DWORD dst_unused:UNUSED_PAD src0_sel:WORD_1
	v_lshl_add_u64 v[2:3], v[2:3], 3, v[162:163]
	s_waitcnt lgkmcnt(0)
	v_pk_fma_f32 v[8:9], v[6:7], v[8:9], 0 op_sel_hi:[0,1,0]
	v_mov_b32_e32 v6, v7
	v_pk_fma_f32 v[4:5], v[6:7], v[4:5], v[8:9] op_sel_hi:[0,1,1]
	global_store_dwordx2 v[2:3], v[4:5], off
	v_mov_b32_e32 v2, 0
.LBB32_233:                             ;   in Loop: Header=BB32_12 Depth=1
	s_or_b64 exec, exec, s[10:11]
	v_cmp_gt_i32_e64 s[10:11], s99, v2
	s_mov_b64 s[14:15], -1
	s_and_saveexec_b64 s[78:79], s[10:11]
; %bb.234:                              ;   in Loop: Header=BB32_12 Depth=1
	v_cmp_eq_u32_e64 s[10:11], 0, v2
	s_orn2_b64 s[14:15], s[10:11], exec
; %bb.235:                              ;   in Loop: Header=BB32_12 Depth=1
	s_or_b64 exec, exec, s[78:79]
	s_and_b64 exec, exec, s[14:15]
	s_cbranch_execz .LBB32_288
; %bb.236:                              ;   in Loop: Header=BB32_12 Depth=1
	v_add_u32_e32 v3, v134, v143
	v_or_b32_e32 v2, v124, v97
	v_cmp_gt_i32_e64 s[10:11], s36, v3
	v_cmp_gt_i32_e64 s[14:15], s80, v2
	s_and_b64 s[14:15], s[10:11], s[14:15]
	v_mov_b32_e32 v2, 0x47
	s_and_saveexec_b64 s[10:11], s[14:15]
	s_cbranch_execz .LBB32_238
; %bb.237:                              ;   in Loop: Header=BB32_12 Depth=1
	v_mad_u64_u32 v[2:3], s[14:15], v3, s37, v[124:125]
	v_add_u32_e32 v3, v194, v126
	ds_read2st64_b32 v[4:5], v3 offset1:17
	v_add_u32_e32 v3, 0, v126
	ds_read2st64_b32 v[6:7], v3 offset0:1 offset1:18
	v_lshl_add_u32 v2, v2, 7, v239
	v_ashrrev_i32_e32 v3, 31, v2
	s_waitcnt lgkmcnt(1)
	v_cvt_f32_f16_e32 v8, v4
	v_cvt_f32_f16_sdwa v9, v4 dst_sel:DWORD dst_unused:UNUSED_PAD src0_sel:WORD_1
	v_cvt_f32_f16_e32 v4, v5
	v_cvt_f32_f16_sdwa v5, v5 dst_sel:DWORD dst_unused:UNUSED_PAD src0_sel:WORD_1
	v_lshl_add_u64 v[2:3], v[2:3], 3, v[162:163]
	s_waitcnt lgkmcnt(0)
	v_pk_fma_f32 v[8:9], v[6:7], v[8:9], 0 op_sel_hi:[0,1,0]
	v_mov_b32_e32 v6, v7
	v_pk_fma_f32 v[4:5], v[6:7], v[4:5], v[8:9] op_sel_hi:[0,1,1]
	global_store_dwordx2 v[2:3], v[4:5], off
	v_mov_b32_e32 v2, 0
.LBB32_238:                             ;   in Loop: Header=BB32_12 Depth=1
	s_or_b64 exec, exec, s[10:11]
	v_cmp_gt_i32_e64 s[10:11], s99, v2
	s_mov_b64 s[14:15], -1
	s_and_saveexec_b64 s[78:79], s[10:11]
; %bb.239:                              ;   in Loop: Header=BB32_12 Depth=1
	v_cmp_eq_u32_e64 s[10:11], 0, v2
	s_orn2_b64 s[14:15], s[10:11], exec
; %bb.240:                              ;   in Loop: Header=BB32_12 Depth=1
	s_or_b64 exec, exec, s[78:79]
	s_and_b64 exec, exec, s[14:15]
	s_cbranch_execz .LBB32_288
; %bb.241:                              ;   in Loop: Header=BB32_12 Depth=1
	scratch_load_dword v2, off, off         ; 4-byte Folded Reload
	s_waitcnt vmcnt(0)
	v_add_u32_e32 v3, v2, v143
	v_cmp_gt_i32_e64 s[10:11], s36, v3
	s_and_b64 s[14:15], s[10:11], vcc
	v_mov_b32_e32 v2, 0x47
	s_and_saveexec_b64 s[10:11], s[14:15]
	s_cbranch_execz .LBB32_243
; %bb.242:                              ;   in Loop: Header=BB32_12 Depth=1
	scratch_load_dword v6, off, off offset:12 ; 4-byte Folded Reload
	v_mad_u64_u32 v[2:3], s[14:15], v3, s37, v[140:141]
	v_lshl_add_u32 v2, v2, 7, v239
	s_waitcnt vmcnt(0)
	v_add_u32_e32 v3, v194, v6
	ds_read2st64_b32 v[4:5], v3 offset1:17
	v_add_u32_e32 v3, 0, v6
	ds_read2st64_b32 v[6:7], v3 offset0:1 offset1:18
	v_ashrrev_i32_e32 v3, 31, v2
	v_lshl_add_u64 v[2:3], v[2:3], 3, v[162:163]
	s_waitcnt lgkmcnt(1)
	v_cvt_f32_f16_e32 v8, v4
	v_cvt_f32_f16_sdwa v9, v4 dst_sel:DWORD dst_unused:UNUSED_PAD src0_sel:WORD_1
	v_cvt_f32_f16_e32 v4, v5
	v_cvt_f32_f16_sdwa v5, v5 dst_sel:DWORD dst_unused:UNUSED_PAD src0_sel:WORD_1
	s_waitcnt lgkmcnt(0)
	v_pk_fma_f32 v[8:9], v[6:7], v[8:9], 0 op_sel_hi:[0,1,0]
	v_mov_b32_e32 v6, v7
	v_pk_fma_f32 v[4:5], v[6:7], v[4:5], v[8:9] op_sel_hi:[0,1,1]
	global_store_dwordx2 v[2:3], v[4:5], off
	v_mov_b32_e32 v2, 0
.LBB32_243:                             ;   in Loop: Header=BB32_12 Depth=1
	s_or_b64 exec, exec, s[10:11]
	v_cmp_gt_i32_e64 s[10:11], s99, v2
	s_mov_b64 s[14:15], -1
	s_and_saveexec_b64 s[78:79], s[10:11]
; %bb.244:                              ;   in Loop: Header=BB32_12 Depth=1
	v_cmp_eq_u32_e64 s[10:11], 0, v2
	s_orn2_b64 s[14:15], s[10:11], exec
; %bb.245:                              ;   in Loop: Header=BB32_12 Depth=1
	s_or_b64 exec, exec, s[78:79]
	s_and_b64 exec, exec, s[14:15]
	s_cbranch_execz .LBB32_288
; %bb.246:                              ;   in Loop: Header=BB32_12 Depth=1
	scratch_load_dword v2, off, off offset:16 ; 4-byte Folded Reload
	scratch_load_dwordx2 v[4:5], off, off offset:4 ; 8-byte Folded Reload
	s_waitcnt vmcnt(1)
	v_add_u32_e32 v3, v2, v143
	s_waitcnt vmcnt(0)
	v_or_b32_e32 v2, v4, v97
	v_cmp_gt_i32_e64 s[10:11], s36, v3
	v_cmp_gt_i32_e64 s[14:15], s80, v2
	s_and_b64 s[14:15], s[10:11], s[14:15]
	v_mov_b32_e32 v2, 0x47
	s_and_saveexec_b64 s[10:11], s[14:15]
	s_cbranch_execz .LBB32_248
; %bb.247:                              ;   in Loop: Header=BB32_12 Depth=1
	scratch_load_dwordx2 v[4:5], off, off offset:4 ; 8-byte Folded Reload
	scratch_load_dword v6, off, off offset:20 ; 4-byte Folded Reload
	s_waitcnt vmcnt(1)
	v_mad_u64_u32 v[2:3], s[14:15], v3, s37, v[4:5]
	s_waitcnt vmcnt(0)
	v_add_u32_e32 v3, v194, v6
	ds_read2st64_b32 v[4:5], v3 offset1:17
	v_add_u32_e32 v3, 0, v6
	ds_read2st64_b32 v[6:7], v3 offset0:1 offset1:18
	v_lshl_add_u32 v2, v2, 7, v239
	v_ashrrev_i32_e32 v3, 31, v2
	s_waitcnt lgkmcnt(1)
	v_cvt_f32_f16_e32 v8, v4
	v_cvt_f32_f16_sdwa v9, v4 dst_sel:DWORD dst_unused:UNUSED_PAD src0_sel:WORD_1
	v_cvt_f32_f16_e32 v4, v5
	v_cvt_f32_f16_sdwa v5, v5 dst_sel:DWORD dst_unused:UNUSED_PAD src0_sel:WORD_1
	v_lshl_add_u64 v[2:3], v[2:3], 3, v[162:163]
	s_waitcnt lgkmcnt(0)
	v_pk_fma_f32 v[8:9], v[6:7], v[8:9], 0 op_sel_hi:[0,1,0]
	v_mov_b32_e32 v6, v7
	v_pk_fma_f32 v[4:5], v[6:7], v[4:5], v[8:9] op_sel_hi:[0,1,1]
	global_store_dwordx2 v[2:3], v[4:5], off
	v_mov_b32_e32 v2, 0
.LBB32_248:                             ;   in Loop: Header=BB32_12 Depth=1
	s_or_b64 exec, exec, s[10:11]
	v_cmp_gt_i32_e64 s[10:11], s99, v2
	s_mov_b64 s[14:15], -1
	s_and_saveexec_b64 s[78:79], s[10:11]
; %bb.249:                              ;   in Loop: Header=BB32_12 Depth=1
	v_cmp_eq_u32_e64 s[10:11], 0, v2
	s_orn2_b64 s[14:15], s[10:11], exec
; %bb.250:                              ;   in Loop: Header=BB32_12 Depth=1
	s_or_b64 exec, exec, s[78:79]
	s_and_b64 exec, exec, s[14:15]
	s_cbranch_execz .LBB32_288
; %bb.251:                              ;   in Loop: Header=BB32_12 Depth=1
	scratch_load_dword v2, off, off offset:24 ; 4-byte Folded Reload
	s_waitcnt vmcnt(0)
	v_add_u32_e32 v3, v2, v143
	v_cmp_gt_i32_e64 s[10:11], s36, v3
	s_and_b64 s[14:15], s[10:11], vcc
	v_mov_b32_e32 v2, 0x47
	s_and_saveexec_b64 s[10:11], s[14:15]
	s_cbranch_execz .LBB32_253
; %bb.252:                              ;   in Loop: Header=BB32_12 Depth=1
	scratch_load_dword v6, off, off offset:36 ; 4-byte Folded Reload
	v_mad_u64_u32 v[2:3], s[14:15], v3, s37, v[140:141]
	v_lshl_add_u32 v2, v2, 7, v239
	s_waitcnt vmcnt(0)
	v_add_u32_e32 v3, v194, v6
	ds_read2st64_b32 v[4:5], v3 offset1:17
	v_add_u32_e32 v3, 0, v6
	ds_read2st64_b32 v[6:7], v3 offset0:1 offset1:18
	v_ashrrev_i32_e32 v3, 31, v2
	v_lshl_add_u64 v[2:3], v[2:3], 3, v[162:163]
	s_waitcnt lgkmcnt(1)
	v_cvt_f32_f16_e32 v8, v4
	v_cvt_f32_f16_sdwa v9, v4 dst_sel:DWORD dst_unused:UNUSED_PAD src0_sel:WORD_1
	v_cvt_f32_f16_e32 v4, v5
	v_cvt_f32_f16_sdwa v5, v5 dst_sel:DWORD dst_unused:UNUSED_PAD src0_sel:WORD_1
	s_waitcnt lgkmcnt(0)
	v_pk_fma_f32 v[8:9], v[6:7], v[8:9], 0 op_sel_hi:[0,1,0]
	v_mov_b32_e32 v6, v7
	v_pk_fma_f32 v[4:5], v[6:7], v[4:5], v[8:9] op_sel_hi:[0,1,1]
	global_store_dwordx2 v[2:3], v[4:5], off
	v_mov_b32_e32 v2, 0
.LBB32_253:                             ;   in Loop: Header=BB32_12 Depth=1
	s_or_b64 exec, exec, s[10:11]
	v_cmp_gt_i32_e64 s[10:11], s99, v2
	s_mov_b64 s[14:15], -1
	s_and_saveexec_b64 s[78:79], s[10:11]
; %bb.254:                              ;   in Loop: Header=BB32_12 Depth=1
	v_cmp_eq_u32_e64 s[10:11], 0, v2
	s_orn2_b64 s[14:15], s[10:11], exec
; %bb.255:                              ;   in Loop: Header=BB32_12 Depth=1
	s_or_b64 exec, exec, s[78:79]
	s_and_b64 exec, exec, s[14:15]
	s_cbranch_execz .LBB32_288
; %bb.256:                              ;   in Loop: Header=BB32_12 Depth=1
	scratch_load_dword v2, off, off offset:40 ; 4-byte Folded Reload
	scratch_load_dwordx2 v[4:5], off, off offset:28 ; 8-byte Folded Reload
	s_waitcnt vmcnt(1)
	v_add_u32_e32 v3, v2, v143
	s_waitcnt vmcnt(0)
	v_or_b32_e32 v2, v4, v97
	v_cmp_gt_i32_e64 s[10:11], s36, v3
	v_cmp_gt_i32_e64 s[14:15], s80, v2
	s_and_b64 s[14:15], s[10:11], s[14:15]
	v_mov_b32_e32 v2, 0x47
	s_and_saveexec_b64 s[10:11], s[14:15]
	s_cbranch_execz .LBB32_258
; %bb.257:                              ;   in Loop: Header=BB32_12 Depth=1
	scratch_load_dwordx2 v[4:5], off, off offset:28 ; 8-byte Folded Reload
	scratch_load_dword v6, off, off offset:44 ; 4-byte Folded Reload
	s_waitcnt vmcnt(1)
	v_mad_u64_u32 v[2:3], s[14:15], v3, s37, v[4:5]
	s_waitcnt vmcnt(0)
	v_add_u32_e32 v3, v194, v6
	ds_read2st64_b32 v[4:5], v3 offset1:17
	v_add_u32_e32 v3, 0, v6
	ds_read2st64_b32 v[6:7], v3 offset0:1 offset1:18
	v_lshl_add_u32 v2, v2, 7, v239
	v_ashrrev_i32_e32 v3, 31, v2
	s_waitcnt lgkmcnt(1)
	v_cvt_f32_f16_e32 v8, v4
	v_cvt_f32_f16_sdwa v9, v4 dst_sel:DWORD dst_unused:UNUSED_PAD src0_sel:WORD_1
	v_cvt_f32_f16_e32 v4, v5
	v_cvt_f32_f16_sdwa v5, v5 dst_sel:DWORD dst_unused:UNUSED_PAD src0_sel:WORD_1
	v_lshl_add_u64 v[2:3], v[2:3], 3, v[162:163]
	s_waitcnt lgkmcnt(0)
	v_pk_fma_f32 v[8:9], v[6:7], v[8:9], 0 op_sel_hi:[0,1,0]
	v_mov_b32_e32 v6, v7
	v_pk_fma_f32 v[4:5], v[6:7], v[4:5], v[8:9] op_sel_hi:[0,1,1]
	global_store_dwordx2 v[2:3], v[4:5], off
	v_mov_b32_e32 v2, 0
.LBB32_258:                             ;   in Loop: Header=BB32_12 Depth=1
	s_or_b64 exec, exec, s[10:11]
	v_cmp_gt_i32_e64 s[10:11], s99, v2
	s_mov_b64 s[14:15], -1
	s_and_saveexec_b64 s[78:79], s[10:11]
; %bb.259:                              ;   in Loop: Header=BB32_12 Depth=1
	v_cmp_eq_u32_e64 s[10:11], 0, v2
	s_orn2_b64 s[14:15], s[10:11], exec
; %bb.260:                              ;   in Loop: Header=BB32_12 Depth=1
	s_or_b64 exec, exec, s[78:79]
	s_and_b64 exec, exec, s[14:15]
	s_cbranch_execz .LBB32_288
; %bb.261:                              ;   in Loop: Header=BB32_12 Depth=1
	scratch_load_dword v2, off, off offset:48 ; 4-byte Folded Reload
	s_waitcnt vmcnt(0)
	v_add_u32_e32 v3, v2, v143
	v_cmp_gt_i32_e64 s[10:11], s36, v3
	s_and_b64 s[14:15], s[10:11], vcc
	v_mov_b32_e32 v2, 0x47
	s_and_saveexec_b64 s[10:11], s[14:15]
	s_cbranch_execz .LBB32_263
; %bb.262:                              ;   in Loop: Header=BB32_12 Depth=1
	scratch_load_dword v6, off, off offset:60 ; 4-byte Folded Reload
	v_mad_u64_u32 v[2:3], s[14:15], v3, s37, v[140:141]
	v_lshl_add_u32 v2, v2, 7, v239
	s_waitcnt vmcnt(0)
	v_add_u32_e32 v3, v194, v6
	ds_read2st64_b32 v[4:5], v3 offset1:17
	v_add_u32_e32 v3, 0, v6
	ds_read2st64_b32 v[6:7], v3 offset0:1 offset1:18
	v_ashrrev_i32_e32 v3, 31, v2
	v_lshl_add_u64 v[2:3], v[2:3], 3, v[162:163]
	s_waitcnt lgkmcnt(1)
	v_cvt_f32_f16_e32 v8, v4
	v_cvt_f32_f16_sdwa v9, v4 dst_sel:DWORD dst_unused:UNUSED_PAD src0_sel:WORD_1
	v_cvt_f32_f16_e32 v4, v5
	v_cvt_f32_f16_sdwa v5, v5 dst_sel:DWORD dst_unused:UNUSED_PAD src0_sel:WORD_1
	s_waitcnt lgkmcnt(0)
	v_pk_fma_f32 v[8:9], v[6:7], v[8:9], 0 op_sel_hi:[0,1,0]
	v_mov_b32_e32 v6, v7
	v_pk_fma_f32 v[4:5], v[6:7], v[4:5], v[8:9] op_sel_hi:[0,1,1]
	global_store_dwordx2 v[2:3], v[4:5], off
	v_mov_b32_e32 v2, 0
.LBB32_263:                             ;   in Loop: Header=BB32_12 Depth=1
	s_or_b64 exec, exec, s[10:11]
	v_cmp_gt_i32_e64 s[10:11], s99, v2
	s_mov_b64 s[14:15], -1
	s_and_saveexec_b64 s[78:79], s[10:11]
; %bb.264:                              ;   in Loop: Header=BB32_12 Depth=1
	v_cmp_eq_u32_e64 s[10:11], 0, v2
	s_orn2_b64 s[14:15], s[10:11], exec
; %bb.265:                              ;   in Loop: Header=BB32_12 Depth=1
	s_or_b64 exec, exec, s[78:79]
	s_and_b64 exec, exec, s[14:15]
	s_cbranch_execz .LBB32_288
; %bb.266:                              ;   in Loop: Header=BB32_12 Depth=1
	scratch_load_dword v2, off, off offset:64 ; 4-byte Folded Reload
	scratch_load_dwordx2 v[4:5], off, off offset:52 ; 8-byte Folded Reload
	s_waitcnt vmcnt(1)
	v_add_u32_e32 v3, v2, v143
	s_waitcnt vmcnt(0)
	v_or_b32_e32 v2, v4, v97
	v_cmp_gt_i32_e64 s[10:11], s36, v3
	v_cmp_gt_i32_e64 s[14:15], s80, v2
	s_and_b64 s[14:15], s[10:11], s[14:15]
	v_mov_b32_e32 v2, 0x47
	s_and_saveexec_b64 s[10:11], s[14:15]
	s_cbranch_execz .LBB32_268
; %bb.267:                              ;   in Loop: Header=BB32_12 Depth=1
	scratch_load_dwordx2 v[4:5], off, off offset:52 ; 8-byte Folded Reload
	scratch_load_dword v6, off, off offset:68 ; 4-byte Folded Reload
	s_waitcnt vmcnt(1)
	v_mad_u64_u32 v[2:3], s[14:15], v3, s37, v[4:5]
	s_waitcnt vmcnt(0)
	v_add_u32_e32 v3, v194, v6
	ds_read2st64_b32 v[4:5], v3 offset1:17
	v_add_u32_e32 v3, 0, v6
	ds_read2st64_b32 v[6:7], v3 offset0:1 offset1:18
	v_lshl_add_u32 v2, v2, 7, v239
	v_ashrrev_i32_e32 v3, 31, v2
	s_waitcnt lgkmcnt(1)
	v_cvt_f32_f16_e32 v8, v4
	v_cvt_f32_f16_sdwa v9, v4 dst_sel:DWORD dst_unused:UNUSED_PAD src0_sel:WORD_1
	v_cvt_f32_f16_e32 v4, v5
	v_cvt_f32_f16_sdwa v5, v5 dst_sel:DWORD dst_unused:UNUSED_PAD src0_sel:WORD_1
	v_lshl_add_u64 v[2:3], v[2:3], 3, v[162:163]
	s_waitcnt lgkmcnt(0)
	v_pk_fma_f32 v[8:9], v[6:7], v[8:9], 0 op_sel_hi:[0,1,0]
	v_mov_b32_e32 v6, v7
	v_pk_fma_f32 v[4:5], v[6:7], v[4:5], v[8:9] op_sel_hi:[0,1,1]
	global_store_dwordx2 v[2:3], v[4:5], off
	v_mov_b32_e32 v2, 0
.LBB32_268:                             ;   in Loop: Header=BB32_12 Depth=1
	s_or_b64 exec, exec, s[10:11]
	v_cmp_gt_i32_e64 s[10:11], s99, v2
	s_mov_b64 s[14:15], -1
	s_and_saveexec_b64 s[78:79], s[10:11]
; %bb.269:                              ;   in Loop: Header=BB32_12 Depth=1
	v_cmp_eq_u32_e64 s[10:11], 0, v2
	s_orn2_b64 s[14:15], s[10:11], exec
; %bb.270:                              ;   in Loop: Header=BB32_12 Depth=1
	s_or_b64 exec, exec, s[78:79]
	s_and_b64 exec, exec, s[14:15]
	s_cbranch_execz .LBB32_288
; %bb.271:                              ;   in Loop: Header=BB32_12 Depth=1
	scratch_load_dword v2, off, off offset:72 ; 4-byte Folded Reload
	s_waitcnt vmcnt(0)
	v_add_u32_e32 v3, v2, v143
	v_cmp_gt_i32_e64 s[10:11], s36, v3
	s_and_b64 s[14:15], s[10:11], vcc
	v_mov_b32_e32 v2, 0x47
	s_and_saveexec_b64 s[10:11], s[14:15]
	s_cbranch_execz .LBB32_273
; %bb.272:                              ;   in Loop: Header=BB32_12 Depth=1
	scratch_load_dword v6, off, off offset:84 ; 4-byte Folded Reload
	v_mad_u64_u32 v[2:3], s[14:15], v3, s37, v[140:141]
	v_lshl_add_u32 v2, v2, 7, v239
	s_waitcnt vmcnt(0)
	v_add_u32_e32 v3, v194, v6
	ds_read2st64_b32 v[4:5], v3 offset1:17
	v_add_u32_e32 v3, 0, v6
	ds_read2st64_b32 v[6:7], v3 offset0:1 offset1:18
	v_ashrrev_i32_e32 v3, 31, v2
	v_lshl_add_u64 v[2:3], v[2:3], 3, v[162:163]
	s_waitcnt lgkmcnt(1)
	v_cvt_f32_f16_e32 v8, v4
	v_cvt_f32_f16_sdwa v9, v4 dst_sel:DWORD dst_unused:UNUSED_PAD src0_sel:WORD_1
	v_cvt_f32_f16_e32 v4, v5
	v_cvt_f32_f16_sdwa v5, v5 dst_sel:DWORD dst_unused:UNUSED_PAD src0_sel:WORD_1
	s_waitcnt lgkmcnt(0)
	v_pk_fma_f32 v[8:9], v[6:7], v[8:9], 0 op_sel_hi:[0,1,0]
	v_mov_b32_e32 v6, v7
	v_pk_fma_f32 v[4:5], v[6:7], v[4:5], v[8:9] op_sel_hi:[0,1,1]
	global_store_dwordx2 v[2:3], v[4:5], off
	v_mov_b32_e32 v2, 0
.LBB32_273:                             ;   in Loop: Header=BB32_12 Depth=1
	s_or_b64 exec, exec, s[10:11]
	v_cmp_gt_i32_e64 s[10:11], s99, v2
	s_mov_b64 s[14:15], -1
	s_and_saveexec_b64 s[78:79], s[10:11]
; %bb.274:                              ;   in Loop: Header=BB32_12 Depth=1
	v_cmp_eq_u32_e64 s[10:11], 0, v2
	s_orn2_b64 s[14:15], s[10:11], exec
; %bb.275:                              ;   in Loop: Header=BB32_12 Depth=1
	s_or_b64 exec, exec, s[78:79]
	s_and_b64 exec, exec, s[14:15]
	s_cbranch_execz .LBB32_288
; %bb.276:                              ;   in Loop: Header=BB32_12 Depth=1
	scratch_load_dword v2, off, off offset:88 ; 4-byte Folded Reload
	scratch_load_dwordx2 v[4:5], off, off offset:76 ; 8-byte Folded Reload
	s_waitcnt vmcnt(1)
	v_add_u32_e32 v3, v2, v143
	s_waitcnt vmcnt(0)
	v_or_b32_e32 v2, v4, v97
	v_cmp_gt_i32_e64 s[10:11], s36, v3
	v_cmp_gt_i32_e64 s[14:15], s80, v2
	s_and_b64 s[14:15], s[10:11], s[14:15]
	v_mov_b32_e32 v2, 0x47
	s_and_saveexec_b64 s[10:11], s[14:15]
	s_cbranch_execz .LBB32_278
; %bb.277:                              ;   in Loop: Header=BB32_12 Depth=1
	scratch_load_dwordx2 v[4:5], off, off offset:76 ; 8-byte Folded Reload
	scratch_load_dword v6, off, off offset:92 ; 4-byte Folded Reload
	s_waitcnt vmcnt(1)
	v_mad_u64_u32 v[2:3], s[14:15], v3, s37, v[4:5]
	s_waitcnt vmcnt(0)
	v_add_u32_e32 v3, v194, v6
	ds_read2st64_b32 v[4:5], v3 offset1:17
	v_add_u32_e32 v3, 0, v6
	ds_read2st64_b32 v[6:7], v3 offset0:1 offset1:18
	v_lshl_add_u32 v2, v2, 7, v239
	v_ashrrev_i32_e32 v3, 31, v2
	s_waitcnt lgkmcnt(1)
	v_cvt_f32_f16_e32 v8, v4
	v_cvt_f32_f16_sdwa v9, v4 dst_sel:DWORD dst_unused:UNUSED_PAD src0_sel:WORD_1
	v_cvt_f32_f16_e32 v4, v5
	v_cvt_f32_f16_sdwa v5, v5 dst_sel:DWORD dst_unused:UNUSED_PAD src0_sel:WORD_1
	v_lshl_add_u64 v[2:3], v[2:3], 3, v[162:163]
	s_waitcnt lgkmcnt(0)
	v_pk_fma_f32 v[8:9], v[6:7], v[8:9], 0 op_sel_hi:[0,1,0]
	v_mov_b32_e32 v6, v7
	v_pk_fma_f32 v[4:5], v[6:7], v[4:5], v[8:9] op_sel_hi:[0,1,1]
	global_store_dwordx2 v[2:3], v[4:5], off
	v_mov_b32_e32 v2, 0
.LBB32_278:                             ;   in Loop: Header=BB32_12 Depth=1
	s_or_b64 exec, exec, s[10:11]
	v_cmp_gt_i32_e64 s[10:11], s99, v2
	s_mov_b64 s[14:15], -1
	s_and_saveexec_b64 s[78:79], s[10:11]
; %bb.279:                              ;   in Loop: Header=BB32_12 Depth=1
	v_cmp_eq_u32_e64 s[10:11], 0, v2
	s_orn2_b64 s[14:15], s[10:11], exec
; %bb.280:                              ;   in Loop: Header=BB32_12 Depth=1
	s_or_b64 exec, exec, s[78:79]
	s_and_b64 exec, exec, s[14:15]
	s_cbranch_execz .LBB32_288
; %bb.281:                              ;   in Loop: Header=BB32_12 Depth=1
	scratch_load_dword v2, off, off offset:96 ; 4-byte Folded Reload
	s_waitcnt vmcnt(0)
	v_add_u32_e32 v3, v2, v143
	v_cmp_gt_i32_e64 s[10:11], s36, v3
	s_and_b64 s[14:15], s[10:11], vcc
	v_mov_b32_e32 v2, 0x47
	s_and_saveexec_b64 s[10:11], s[14:15]
	s_cbranch_execz .LBB32_283
; %bb.282:                              ;   in Loop: Header=BB32_12 Depth=1
	scratch_load_dword v6, off, off offset:108 ; 4-byte Folded Reload
	v_mad_u64_u32 v[2:3], s[14:15], v3, s37, v[140:141]
	v_lshl_add_u32 v2, v2, 7, v239
	s_waitcnt vmcnt(0)
	v_add_u32_e32 v3, v194, v6
	ds_read2st64_b32 v[4:5], v3 offset1:17
	v_add_u32_e32 v3, 0, v6
	ds_read2st64_b32 v[6:7], v3 offset0:1 offset1:18
	v_ashrrev_i32_e32 v3, 31, v2
	v_lshl_add_u64 v[2:3], v[2:3], 3, v[162:163]
	s_waitcnt lgkmcnt(1)
	v_cvt_f32_f16_e32 v8, v4
	v_cvt_f32_f16_sdwa v9, v4 dst_sel:DWORD dst_unused:UNUSED_PAD src0_sel:WORD_1
	v_cvt_f32_f16_e32 v4, v5
	v_cvt_f32_f16_sdwa v5, v5 dst_sel:DWORD dst_unused:UNUSED_PAD src0_sel:WORD_1
	s_waitcnt lgkmcnt(0)
	v_pk_fma_f32 v[8:9], v[6:7], v[8:9], 0 op_sel_hi:[0,1,0]
	v_mov_b32_e32 v6, v7
	v_pk_fma_f32 v[4:5], v[6:7], v[4:5], v[8:9] op_sel_hi:[0,1,1]
	global_store_dwordx2 v[2:3], v[4:5], off
	v_mov_b32_e32 v2, 0
.LBB32_283:                             ;   in Loop: Header=BB32_12 Depth=1
	s_or_b64 exec, exec, s[10:11]
	v_cmp_gt_i32_e32 vcc, s99, v2
	s_mov_b64 s[10:11], -1
	s_and_saveexec_b64 s[14:15], vcc
; %bb.284:                              ;   in Loop: Header=BB32_12 Depth=1
	v_cmp_eq_u32_e32 vcc, 0, v2
	s_orn2_b64 s[10:11], vcc, exec
; %bb.285:                              ;   in Loop: Header=BB32_12 Depth=1
	s_or_b64 exec, exec, s[14:15]
	s_and_b64 exec, exec, s[10:11]
	s_cbranch_execz .LBB32_288
; %bb.286:                              ;   in Loop: Header=BB32_12 Depth=1
	scratch_load_dword v2, off, off offset:112 ; 4-byte Folded Reload
	scratch_load_dwordx2 v[4:5], off, off offset:100 ; 8-byte Folded Reload
	s_waitcnt vmcnt(1)
	v_add_u32_e32 v2, v2, v143
	s_waitcnt vmcnt(0)
	v_or_b32_e32 v3, v4, v97
	v_cmp_gt_i32_e32 vcc, s36, v2
	v_cmp_gt_i32_e64 s[10:11], s80, v3
	s_and_b64 s[10:11], vcc, s[10:11]
	s_and_b64 exec, exec, s[10:11]
	s_cbranch_execz .LBB32_288
; %bb.287:                              ;   in Loop: Header=BB32_12 Depth=1
	scratch_load_dwordx2 v[4:5], off, off offset:100 ; 8-byte Folded Reload
	scratch_load_dword v6, off, off offset:116 ; 4-byte Folded Reload
	s_waitcnt vmcnt(1)
	v_mad_u64_u32 v[2:3], s[10:11], v2, s37, v[4:5]
	s_waitcnt vmcnt(0)
	v_add_u32_e32 v3, v194, v6
	ds_read2st64_b32 v[4:5], v3 offset1:17
	v_add_u32_e32 v3, 0, v6
	ds_read2st64_b32 v[6:7], v3 offset0:1 offset1:18
	v_lshl_add_u32 v2, v2, 7, v239
	v_ashrrev_i32_e32 v3, 31, v2
	s_waitcnt lgkmcnt(1)
	v_cvt_f32_f16_e32 v8, v4
	v_cvt_f32_f16_sdwa v9, v4 dst_sel:DWORD dst_unused:UNUSED_PAD src0_sel:WORD_1
	v_cvt_f32_f16_e32 v4, v5
	v_cvt_f32_f16_sdwa v5, v5 dst_sel:DWORD dst_unused:UNUSED_PAD src0_sel:WORD_1
	v_lshl_add_u64 v[2:3], v[2:3], 3, v[162:163]
	s_waitcnt lgkmcnt(0)
	v_pk_fma_f32 v[8:9], v[6:7], v[8:9], 0 op_sel_hi:[0,1,0]
	v_mov_b32_e32 v6, v7
	v_pk_fma_f32 v[4:5], v[6:7], v[4:5], v[8:9] op_sel_hi:[0,1,1]
	global_store_dwordx2 v[2:3], v[4:5], off
.LBB32_288:                             ;   in Loop: Header=BB32_12 Depth=1
	s_or_b64 exec, exec, s[76:77]
	s_barrier
	s_branch .LBB32_11
.LBB32_289:                             ;   in Loop: Header=BB32_12 Depth=1
	v_cmp_le_i32_e64 s[10:11], s36, v190
	v_cmp_le_i32_e64 s[14:15], s80, v191
	v_cmp_gt_i32_e32 vcc, s80, v191
	s_or_b64 s[10:11], s[10:11], s[14:15]
	s_and_saveexec_b64 s[14:15], s[10:11]
	s_xor_b64 s[10:11], exec, s[14:15]
; %bb.290:                              ;   in Loop: Header=BB32_12 Depth=1
	v_add_u32_e32 v2, v194, v240
	ds_write2st64_b32 v2, v99, v99 offset1:1
                                        ; implicit-def: $vgpr190
; %bb.291:                              ;   in Loop: Header=BB32_12 Depth=1
	s_andn2_saveexec_b64 s[10:11], s[10:11]
	s_cbranch_execz .LBB32_293
; %bb.292:                              ;   in Loop: Header=BB32_12 Depth=1
	v_mad_u64_u32 v[2:3], s[14:15], v190, s59, v[142:143]
	v_ashrrev_i32_e32 v3, 31, v2
	v_lshl_add_u64 v[2:3], v[2:3], 3, v[180:181]
	global_load_dwordx2 v[4:5], v[2:3], off
	s_nop 0
	global_load_dwordx2 v[2:3], v[2:3], off offset:512
	s_waitcnt vmcnt(1)
	v_cvt_pk_f16_f32 v4, v4, v5
	s_waitcnt vmcnt(0)
	v_cvt_pk_f16_f32 v2, v2, v3
	v_pk_mul_f16 v3, v4, v235
	v_pk_mul_f16 v2, v2, v235
	ds_write2st64_b32 v241, v3, v2 offset1:1
.LBB32_293:                             ;   in Loop: Header=BB32_12 Depth=1
	s_or_b64 exec, exec, s[10:11]
	v_add_u32_e32 v2, v242, v143
	v_cmp_le_i32_e64 s[10:11], s36, v2
	s_xor_b64 s[14:15], vcc, -1
	s_or_b64 s[10:11], s[10:11], s[14:15]
	s_and_saveexec_b64 s[76:77], s[10:11]
	s_xor_b64 s[10:11], exec, s[76:77]
; %bb.294:                              ;   in Loop: Header=BB32_12 Depth=1
	v_add_u32_e32 v2, v194, v240
	v_add_u32_e32 v2, 0x80, v2
	ds_write2st64_b32 v2, v99, v99 offset0:16 offset1:17
                                        ; implicit-def: $vgpr2
; %bb.295:                              ;   in Loop: Header=BB32_12 Depth=1
	s_andn2_saveexec_b64 s[10:11], s[10:11]
	s_cbranch_execz .LBB32_297
; %bb.296:                              ;   in Loop: Header=BB32_12 Depth=1
	v_mad_u64_u32 v[2:3], s[76:77], v2, s59, v[142:143]
	v_ashrrev_i32_e32 v3, 31, v2
	v_lshl_add_u64 v[2:3], v[2:3], 3, v[180:181]
	global_load_dwordx2 v[4:5], v[2:3], off
	s_nop 0
	global_load_dwordx2 v[2:3], v[2:3], off offset:512
	s_waitcnt vmcnt(1)
	v_cvt_pk_f16_f32 v4, v4, v5
	s_waitcnt vmcnt(0)
	v_cvt_pk_f16_f32 v2, v2, v3
	v_pk_mul_f16 v3, v4, v235
	v_pk_mul_f16 v2, v2, v235
	ds_write2st64_b32 v243, v3, v2 offset1:1
.LBB32_297:                             ;   in Loop: Header=BB32_12 Depth=1
	s_or_b64 exec, exec, s[10:11]
	v_add_u32_e32 v2, v244, v143
	v_cmp_le_i32_e32 vcc, s36, v2
	s_or_b64 s[10:11], vcc, s[14:15]
	s_and_saveexec_b64 s[76:77], s[10:11]
	s_xor_b64 s[10:11], exec, s[76:77]
; %bb.298:                              ;   in Loop: Header=BB32_12 Depth=1
	v_add_u32_e32 v2, v194, v240
	ds_write2st64_b32 v2, v99, v99 offset0:33 offset1:34
                                        ; implicit-def: $vgpr2
; %bb.299:                              ;   in Loop: Header=BB32_12 Depth=1
	s_andn2_saveexec_b64 s[10:11], s[10:11]
	s_cbranch_execz .LBB32_301
; %bb.300:                              ;   in Loop: Header=BB32_12 Depth=1
	v_mad_u64_u32 v[2:3], s[76:77], v2, s59, v[142:143]
	v_ashrrev_i32_e32 v3, 31, v2
	v_lshl_add_u64 v[2:3], v[2:3], 3, v[180:181]
	global_load_dwordx2 v[4:5], v[2:3], off
	s_nop 0
	global_load_dwordx2 v[2:3], v[2:3], off offset:512
	s_waitcnt vmcnt(1)
	v_cvt_pk_f16_f32 v4, v4, v5
	s_waitcnt vmcnt(0)
	v_cvt_pk_f16_f32 v2, v2, v3
	v_pk_mul_f16 v3, v4, v235
	v_pk_mul_f16 v2, v2, v235
	ds_write2st64_b32 v245, v3, v2 offset1:1
.LBB32_301:                             ;   in Loop: Header=BB32_12 Depth=1
	s_or_b64 exec, exec, s[10:11]
	v_add_u32_e32 v2, v246, v143
	v_cmp_le_i32_e32 vcc, s36, v2
	s_or_b64 s[10:11], vcc, s[14:15]
	s_and_saveexec_b64 s[76:77], s[10:11]
	s_xor_b64 s[10:11], exec, s[76:77]
; %bb.302:                              ;   in Loop: Header=BB32_12 Depth=1
	v_add_u32_e32 v2, v194, v240
	v_add_u32_e32 v2, 0x80, v2
	ds_write2st64_b32 v2, v99, v99 offset0:49 offset1:50
                                        ; implicit-def: $vgpr2
; %bb.303:                              ;   in Loop: Header=BB32_12 Depth=1
	s_andn2_saveexec_b64 s[10:11], s[10:11]
	s_cbranch_execz .LBB32_305
; %bb.304:                              ;   in Loop: Header=BB32_12 Depth=1
	v_mad_u64_u32 v[2:3], s[76:77], v2, s59, v[142:143]
	v_ashrrev_i32_e32 v3, 31, v2
	v_lshl_add_u64 v[2:3], v[2:3], 3, v[180:181]
	global_load_dwordx2 v[4:5], v[2:3], off
	s_nop 0
	global_load_dwordx2 v[2:3], v[2:3], off offset:512
	s_waitcnt vmcnt(1)
	v_cvt_pk_f16_f32 v4, v4, v5
	s_waitcnt vmcnt(0)
	v_cvt_pk_f16_f32 v2, v2, v3
	v_pk_mul_f16 v3, v4, v235
	v_pk_mul_f16 v2, v2, v235
	ds_write2st64_b32 v247, v3, v2 offset1:1
.LBB32_305:                             ;   in Loop: Header=BB32_12 Depth=1
	s_or_b64 exec, exec, s[10:11]
	v_add_u32_e32 v2, v248, v143
	v_cmp_le_i32_e32 vcc, s36, v2
	s_or_b64 s[10:11], vcc, s[14:15]
	s_and_saveexec_b64 s[76:77], s[10:11]
	s_xor_b64 s[10:11], exec, s[76:77]
; %bb.306:                              ;   in Loop: Header=BB32_12 Depth=1
	v_add_u32_e32 v2, v194, v240
	ds_write2st64_b32 v2, v99, v99 offset0:66 offset1:67
                                        ; implicit-def: $vgpr2
; %bb.307:                              ;   in Loop: Header=BB32_12 Depth=1
	s_andn2_saveexec_b64 s[10:11], s[10:11]
	s_cbranch_execz .LBB32_309
; %bb.308:                              ;   in Loop: Header=BB32_12 Depth=1
	v_mad_u64_u32 v[2:3], s[76:77], v2, s59, v[142:143]
	v_ashrrev_i32_e32 v3, 31, v2
	v_lshl_add_u64 v[2:3], v[2:3], 3, v[180:181]
	global_load_dwordx2 v[4:5], v[2:3], off
	s_nop 0
	global_load_dwordx2 v[2:3], v[2:3], off offset:512
	s_waitcnt vmcnt(1)
	v_cvt_pk_f16_f32 v4, v4, v5
	s_waitcnt vmcnt(0)
	v_cvt_pk_f16_f32 v2, v2, v3
	v_pk_mul_f16 v3, v4, v235
	v_pk_mul_f16 v2, v2, v235
	ds_write2st64_b32 v249, v3, v2 offset1:1
.LBB32_309:                             ;   in Loop: Header=BB32_12 Depth=1
	s_or_b64 exec, exec, s[10:11]
	v_add_u32_e32 v2, v250, v143
	v_cmp_le_i32_e32 vcc, s36, v2
	s_or_b64 s[10:11], vcc, s[14:15]
	;; [unrolled: 57-line block ×3, first 2 shown]
	s_and_saveexec_b64 s[14:15], s[10:11]
	s_xor_b64 s[10:11], exec, s[14:15]
; %bb.318:                              ;   in Loop: Header=BB32_12 Depth=1
	v_add_u32_e32 v2, v194, v240
	v_add_u32_e32 v2, 0x80, v2
	ds_write2st64_b32 v2, v99, v99 offset0:115 offset1:116
                                        ; implicit-def: $vgpr2
                                        ; implicit-def: $vgpr180_vgpr181
; %bb.319:                              ;   in Loop: Header=BB32_12 Depth=1
	s_andn2_saveexec_b64 s[10:11], s[10:11]
	s_cbranch_execz .LBB32_321
; %bb.320:                              ;   in Loop: Header=BB32_12 Depth=1
	v_mad_u64_u32 v[2:3], s[14:15], v2, s59, v[142:143]
	v_ashrrev_i32_e32 v3, 31, v2
	v_lshl_add_u64 v[2:3], v[2:3], 3, v[180:181]
	global_load_dwordx2 v[4:5], v[2:3], off
	s_nop 0
	global_load_dwordx2 v[2:3], v[2:3], off offset:512
	s_waitcnt vmcnt(1)
	v_cvt_pk_f16_f32 v4, v4, v5
	s_waitcnt vmcnt(0)
	v_cvt_pk_f16_f32 v2, v2, v3
	v_pk_mul_f16 v3, v4, v235
	v_pk_mul_f16 v2, v2, v235
	ds_write2st64_b32 v233, v3, v2 offset1:1
.LBB32_321:                             ;   in Loop: Header=BB32_12 Depth=1
	s_or_b64 exec, exec, s[10:11]
	s_waitcnt lgkmcnt(0)
	s_barrier
	ds_read2_b64 v[30:33], v195 offset1:4
	ds_read2_b64 v[26:29], v195 offset0:8 offset1:12
	ds_read2_b64 v[22:25], v195 offset0:16 offset1:20
	;; [unrolled: 1-line block ×7, first 2 shown]
	s_cmp_lt_i32 s34, 2
	s_waitcnt lgkmcnt(0)
	s_barrier
	s_cbranch_scc1 .LBB32_358
; %bb.322:                              ;   in Loop: Header=BB32_12 Depth=1
	v_add_u32_e32 v34, v143, v196
	v_mul_hi_u32 v35, s44, v34
	v_add_u32_e32 v35, v34, v35
	v_lshrrev_b32_e32 v35, s45, v35
	v_mul_lo_u32 v35, v35, s36
	v_sub_u32_e32 v34, v34, v35
	v_and_b32_e32 v35, 64, v234
	v_add_u32_e32 v35, 64, v35
	v_xor_b32_e32 v36, 32, v234
	v_cmp_lt_i32_e32 vcc, v36, v35
	s_add_i32 s14, s34, -1
	v_mov_b32_e32 v190, 0
	v_cndmask_b32_e32 v36, v234, v36, vcc
	v_lshlrev_b32_e32 v98, 2, v36
	v_xor_b32_e32 v36, 16, v234
	v_cmp_lt_i32_e32 vcc, v36, v35
	v_mov_b32_e32 v53, 0xfeffffff
	v_mov_b32_e32 v52, 0
	v_cndmask_b32_e32 v35, v234, v36, vcc
	v_lshlrev_b32_e32 v225, 2, v35
	v_mad_i64_i32 v[34:35], s[10:11], s70, v34, v[176:177]
	v_lshl_add_u64 v[176:177], v[144:145], 0, v[34:35]
	v_lshl_add_u64 v[34:35], v[178:179], 0, v[182:183]
	;; [unrolled: 1-line block ×11, first 2 shown]
	s_mov_b32 s15, s14
	v_mov_b32_e32 v191, 0
	v_mov_b32_e32 v91, 0
	;; [unrolled: 1-line block ×31, first 2 shown]
	s_and_saveexec_b64 s[10:11], s[0:1]
	s_cbranch_execz .LBB32_324
.LBB32_323:                             ;   in Loop: Header=BB32_12 Depth=1
	global_load_dword v34, v[176:177], off
	s_waitcnt vmcnt(0)
	ds_write_b32 v206, v34 offset:33792
.LBB32_324:                             ;   Parent Loop BB32_12 Depth=1
                                        ; =>  This Inner Loop Header: Depth=2
	s_or_b64 exec, exec, s[10:11]
	v_lshl_add_u64 v[34:35], v[172:173], 0, v[118:119]
	global_load_dwordx4 v[34:37], v[34:35], off
	v_lshl_add_u64 v[38:39], v[174:175], 0, v[118:119]
	v_lshl_add_u64 v[40:41], v[186:187], 0, v[118:119]
	;; [unrolled: 1-line block ×3, first 2 shown]
	v_add_u32_e32 v61, 0x4000, v198
	s_waitcnt vmcnt(0)
	ds_write_b128 v197, v[34:37]
	global_load_dwordx4 v[34:37], v[38:39], off
	s_waitcnt vmcnt(0)
	ds_write_b128 v236, v[34:37]
	global_load_dwordx4 v[34:37], v[40:41], off
	;; [unrolled: 3-line block ×3, first 2 shown]
	s_waitcnt vmcnt(0)
	ds_write_b128 v238, v[34:37]
	s_waitcnt lgkmcnt(0)
	s_barrier
	ds_read2_b64 v[34:37], v198 offset1:4
	s_waitcnt lgkmcnt(0)
	v_mfma_f32_16x16x16_f16 v[38:41], v[34:35], v[30:31], 0
	v_mfma_f32_16x16x16_f16 v[34:37], v[36:37], v[32:33], v[38:41]
	s_nop 6
	ds_read2_b64 v[38:41], v198 offset0:8 offset1:12
	s_waitcnt lgkmcnt(0)
	v_mfma_f32_16x16x16_f16 v[34:37], v[38:39], v[26:27], v[34:37]
	v_mfma_f32_16x16x16_f16 v[34:37], v[40:41], v[28:29], v[34:37]
	ds_read2_b64 v[38:41], v198 offset0:16 offset1:20
	s_waitcnt lgkmcnt(0)
	v_mfma_f32_16x16x16_f16 v[34:37], v[38:39], v[22:23], v[34:37]
	v_mfma_f32_16x16x16_f16 v[34:37], v[40:41], v[24:25], v[34:37]
	;; [unrolled: 4-line block ×7, first 2 shown]
	ds_read2_b64 v[38:41], v61 offset0:64 offset1:68
	s_waitcnt lgkmcnt(0)
	v_mfma_f32_16x16x16_f16 v[56:59], v[38:39], v[30:31], 0
	s_nop 4
	v_cmp_nlt_f32_e64 s[10:11], |v34|, s49
	v_mfma_f32_16x16x16_f16 v[38:41], v[40:41], v[32:33], v[56:59]
	s_nop 2
	ds_read2_b64 v[56:59], v61 offset0:72 offset1:76
	s_waitcnt lgkmcnt(0)
	v_mfma_f32_16x16x16_f16 v[38:41], v[56:57], v[26:27], v[38:41]
	v_mfma_f32_16x16x16_f16 v[38:41], v[58:59], v[28:29], v[38:41]
	ds_read2_b64 v[56:59], v61 offset0:80 offset1:84
	s_waitcnt lgkmcnt(0)
	v_mfma_f32_16x16x16_f16 v[38:41], v[56:57], v[22:23], v[38:41]
	v_mfma_f32_16x16x16_f16 v[38:41], v[58:59], v[24:25], v[38:41]
	;; [unrolled: 4-line block ×6, first 2 shown]
	ds_read2_b64 v[56:59], v61 offset0:120 offset1:124
	s_waitcnt lgkmcnt(0)
	s_barrier
	v_mfma_f32_16x16x16_f16 v[38:41], v[56:57], v[2:3], v[38:41]
                                        ; implicit-def: $vgpr56
	v_mfma_f32_16x16x16_f16 v[38:41], v[58:59], v[4:5], v[38:41]
	s_and_saveexec_b64 s[34:35], s[10:11]
	s_xor_b64 s[10:11], exec, s[34:35]
	s_cbranch_execz .LBB32_326
; %bb.325:                              ;   in Loop: Header=BB32_324 Depth=2
	v_add_f32_e64 v56, |v34|, |v34|
	v_mul_f32_e32 v57, 0x3fb8aa3b, v56
	v_rndne_f32_e32 v58, v57
	v_sub_f32_e32 v59, v57, v58
	v_fma_f32 v57, v56, s71, -v57
	v_fmac_f32_e32 v57, 0x32a5705f, v56
	v_add_f32_e32 v57, v59, v57
	v_cvt_i32_f32_e32 v58, v58
	v_exp_f32_e32 v57, v57
	v_cmp_ngt_f32_e32 vcc, s94, v56
	v_ldexp_f32 v57, v57, v58
	s_nop 0
	v_cndmask_b32_e32 v57, 0, v57, vcc
	v_cmp_nlt_f32_e32 vcc, s95, v56
	s_nop 1
	v_cndmask_b32_e32 v56, v132, v57, vcc
	v_add_f32_e32 v56, 1.0, v56
	v_rcp_f32_e32 v56, v56
	s_nop 0
	v_fma_f32 v56, v56, -2.0, 1.0
.LBB32_326:                             ;   in Loop: Header=BB32_324 Depth=2
	s_andn2_saveexec_b64 s[10:11], s[10:11]
; %bb.327:                              ;   in Loop: Header=BB32_324 Depth=2
	v_mul_f32_e32 v56, v34, v34
	v_fmamk_f32 v57, v56, 0xbbbac73d, v227
	v_fmaak_f32 v57, v56, v57, 0xbd5c1c4e
	v_fmaak_f32 v57, v56, v57, 0x3e088382
	;; [unrolled: 1-line block ×3, first 2 shown]
	v_mul_f32_e64 v57, |v34|, v57
	v_fma_f32 v56, v56, v57, |v34|
; %bb.328:                              ;   in Loop: Header=BB32_324 Depth=2
	s_or_b64 exec, exec, s[10:11]
	v_cmp_nlt_f32_e64 s[10:11], |v35|, s49
                                        ; implicit-def: $vgpr57
	s_and_saveexec_b64 s[34:35], s[10:11]
	s_xor_b64 s[10:11], exec, s[34:35]
	s_cbranch_execz .LBB32_330
; %bb.329:                              ;   in Loop: Header=BB32_324 Depth=2
	v_add_f32_e64 v57, |v35|, |v35|
	v_mul_f32_e32 v58, 0x3fb8aa3b, v57
	v_rndne_f32_e32 v59, v58
	v_sub_f32_e32 v61, v58, v59
	v_fma_f32 v58, v57, s71, -v58
	v_fmac_f32_e32 v58, 0x32a5705f, v57
	v_add_f32_e32 v58, v61, v58
	v_cvt_i32_f32_e32 v59, v59
	v_exp_f32_e32 v58, v58
	v_cmp_ngt_f32_e32 vcc, s94, v57
	v_ldexp_f32 v58, v58, v59
	s_nop 0
	v_cndmask_b32_e32 v58, 0, v58, vcc
	v_cmp_nlt_f32_e32 vcc, s95, v57
	s_nop 1
	v_cndmask_b32_e32 v57, v132, v58, vcc
	v_add_f32_e32 v57, 1.0, v57
	v_rcp_f32_e32 v57, v57
	s_nop 0
	v_fma_f32 v57, v57, -2.0, 1.0
.LBB32_330:                             ;   in Loop: Header=BB32_324 Depth=2
	s_andn2_saveexec_b64 s[10:11], s[10:11]
; %bb.331:                              ;   in Loop: Header=BB32_324 Depth=2
	v_mul_f32_e32 v57, v35, v35
	v_fmamk_f32 v58, v57, 0xbbbac73d, v227
	v_fmaak_f32 v58, v57, v58, 0xbd5c1c4e
	v_fmaak_f32 v58, v57, v58, 0x3e088382
	;; [unrolled: 1-line block ×3, first 2 shown]
	v_mul_f32_e64 v58, |v35|, v58
	v_fma_f32 v57, v57, v58, |v35|
; %bb.332:                              ;   in Loop: Header=BB32_324 Depth=2
	s_or_b64 exec, exec, s[10:11]
	v_cmp_nlt_f32_e64 s[10:11], |v36|, s49
                                        ; implicit-def: $vgpr58
	s_and_saveexec_b64 s[34:35], s[10:11]
	s_xor_b64 s[10:11], exec, s[34:35]
	s_cbranch_execz .LBB32_334
; %bb.333:                              ;   in Loop: Header=BB32_324 Depth=2
	v_add_f32_e64 v58, |v36|, |v36|
	v_mul_f32_e32 v59, 0x3fb8aa3b, v58
	v_rndne_f32_e32 v61, v59
	v_sub_f32_e32 v62, v59, v61
	v_fma_f32 v59, v58, s71, -v59
	v_fmac_f32_e32 v59, 0x32a5705f, v58
	v_add_f32_e32 v59, v62, v59
	v_cvt_i32_f32_e32 v61, v61
	v_exp_f32_e32 v59, v59
	v_cmp_ngt_f32_e32 vcc, s94, v58
	v_ldexp_f32 v59, v59, v61
	s_nop 0
	v_cndmask_b32_e32 v59, 0, v59, vcc
	v_cmp_nlt_f32_e32 vcc, s95, v58
	s_nop 1
	v_cndmask_b32_e32 v58, v132, v59, vcc
	v_add_f32_e32 v58, 1.0, v58
	v_rcp_f32_e32 v58, v58
	s_nop 0
	v_fma_f32 v58, v58, -2.0, 1.0
.LBB32_334:                             ;   in Loop: Header=BB32_324 Depth=2
	s_andn2_saveexec_b64 s[10:11], s[10:11]
; %bb.335:                              ;   in Loop: Header=BB32_324 Depth=2
	v_mul_f32_e32 v58, v36, v36
	v_fmamk_f32 v59, v58, 0xbbbac73d, v227
	v_fmaak_f32 v59, v58, v59, 0xbd5c1c4e
	v_fmaak_f32 v59, v58, v59, 0x3e088382
	;; [unrolled: 1-line block ×3, first 2 shown]
	v_mul_f32_e64 v59, |v36|, v59
	v_fma_f32 v58, v58, v59, |v36|
; %bb.336:                              ;   in Loop: Header=BB32_324 Depth=2
	s_or_b64 exec, exec, s[10:11]
	v_cmp_nlt_f32_e64 s[10:11], |v37|, s49
                                        ; implicit-def: $vgpr59
	s_and_saveexec_b64 s[34:35], s[10:11]
	s_xor_b64 s[10:11], exec, s[34:35]
	s_cbranch_execz .LBB32_338
; %bb.337:                              ;   in Loop: Header=BB32_324 Depth=2
	v_add_f32_e64 v59, |v37|, |v37|
	v_mul_f32_e32 v61, 0x3fb8aa3b, v59
	v_rndne_f32_e32 v62, v61
	v_sub_f32_e32 v63, v61, v62
	v_fma_f32 v61, v59, s71, -v61
	v_fmac_f32_e32 v61, 0x32a5705f, v59
	v_add_f32_e32 v61, v63, v61
	v_cvt_i32_f32_e32 v62, v62
	v_exp_f32_e32 v61, v61
	v_cmp_ngt_f32_e32 vcc, s94, v59
	v_ldexp_f32 v61, v61, v62
	s_nop 0
	v_cndmask_b32_e32 v61, 0, v61, vcc
	v_cmp_nlt_f32_e32 vcc, s95, v59
	s_nop 1
	v_cndmask_b32_e32 v59, v132, v61, vcc
	v_add_f32_e32 v59, 1.0, v59
	v_rcp_f32_e32 v59, v59
	s_nop 0
	v_fma_f32 v59, v59, -2.0, 1.0
.LBB32_338:                             ;   in Loop: Header=BB32_324 Depth=2
	s_andn2_saveexec_b64 s[10:11], s[10:11]
; %bb.339:                              ;   in Loop: Header=BB32_324 Depth=2
	v_mul_f32_e32 v59, v37, v37
	v_fmamk_f32 v61, v59, 0xbbbac73d, v227
	v_fmaak_f32 v61, v59, v61, 0xbd5c1c4e
	v_fmaak_f32 v61, v59, v61, 0x3e088382
	;; [unrolled: 1-line block ×3, first 2 shown]
	v_mul_f32_e64 v61, |v37|, v61
	v_fma_f32 v59, v59, v61, |v37|
; %bb.340:                              ;   in Loop: Header=BB32_324 Depth=2
	s_or_b64 exec, exec, s[10:11]
	v_cmp_nlt_f32_e64 s[10:11], |v38|, s49
                                        ; implicit-def: $vgpr61
	s_and_saveexec_b64 s[34:35], s[10:11]
	s_xor_b64 s[10:11], exec, s[34:35]
	s_cbranch_execz .LBB32_342
; %bb.341:                              ;   in Loop: Header=BB32_324 Depth=2
	v_add_f32_e64 v61, |v38|, |v38|
	v_mul_f32_e32 v62, 0x3fb8aa3b, v61
	v_rndne_f32_e32 v63, v62
	v_sub_f32_e32 v69, v62, v63
	v_fma_f32 v62, v61, s71, -v62
	v_fmac_f32_e32 v62, 0x32a5705f, v61
	v_add_f32_e32 v62, v69, v62
	v_cvt_i32_f32_e32 v63, v63
	v_exp_f32_e32 v62, v62
	v_cmp_ngt_f32_e32 vcc, s94, v61
	v_ldexp_f32 v62, v62, v63
	s_nop 0
	v_cndmask_b32_e32 v62, 0, v62, vcc
	v_cmp_nlt_f32_e32 vcc, s95, v61
	s_nop 1
	v_cndmask_b32_e32 v61, v132, v62, vcc
	v_add_f32_e32 v61, 1.0, v61
	v_rcp_f32_e32 v61, v61
	s_nop 0
	v_fma_f32 v61, v61, -2.0, 1.0
.LBB32_342:                             ;   in Loop: Header=BB32_324 Depth=2
	s_andn2_saveexec_b64 s[10:11], s[10:11]
; %bb.343:                              ;   in Loop: Header=BB32_324 Depth=2
	v_mul_f32_e32 v61, v38, v38
	v_fmamk_f32 v62, v61, 0xbbbac73d, v227
	v_fmaak_f32 v62, v61, v62, 0xbd5c1c4e
	v_fmaak_f32 v62, v61, v62, 0x3e088382
	;; [unrolled: 1-line block ×3, first 2 shown]
	v_mul_f32_e64 v62, |v38|, v62
	v_fma_f32 v61, v61, v62, |v38|
; %bb.344:                              ;   in Loop: Header=BB32_324 Depth=2
	s_or_b64 exec, exec, s[10:11]
	v_cmp_nlt_f32_e64 s[10:11], |v39|, s49
                                        ; implicit-def: $vgpr62
	s_and_saveexec_b64 s[34:35], s[10:11]
	s_xor_b64 s[10:11], exec, s[34:35]
	s_cbranch_execz .LBB32_346
; %bb.345:                              ;   in Loop: Header=BB32_324 Depth=2
	v_add_f32_e64 v62, |v39|, |v39|
	v_mul_f32_e32 v63, 0x3fb8aa3b, v62
	v_rndne_f32_e32 v69, v63
	v_sub_f32_e32 v72, v63, v69
	v_fma_f32 v63, v62, s71, -v63
	v_fmac_f32_e32 v63, 0x32a5705f, v62
	v_add_f32_e32 v63, v72, v63
	v_cvt_i32_f32_e32 v69, v69
	v_exp_f32_e32 v63, v63
	v_cmp_ngt_f32_e32 vcc, s94, v62
	v_ldexp_f32 v63, v63, v69
	s_nop 0
	v_cndmask_b32_e32 v63, 0, v63, vcc
	v_cmp_nlt_f32_e32 vcc, s95, v62
	s_nop 1
	v_cndmask_b32_e32 v62, v132, v63, vcc
	v_add_f32_e32 v62, 1.0, v62
	v_rcp_f32_e32 v62, v62
	s_nop 0
	v_fma_f32 v62, v62, -2.0, 1.0
.LBB32_346:                             ;   in Loop: Header=BB32_324 Depth=2
	s_andn2_saveexec_b64 s[10:11], s[10:11]
; %bb.347:                              ;   in Loop: Header=BB32_324 Depth=2
	v_mul_f32_e32 v62, v39, v39
	v_fmamk_f32 v63, v62, 0xbbbac73d, v227
	v_fmaak_f32 v63, v62, v63, 0xbd5c1c4e
	v_fmaak_f32 v63, v62, v63, 0x3e088382
	;; [unrolled: 1-line block ×3, first 2 shown]
	v_mul_f32_e64 v63, |v39|, v63
	v_fma_f32 v62, v62, v63, |v39|
; %bb.348:                              ;   in Loop: Header=BB32_324 Depth=2
	s_or_b64 exec, exec, s[10:11]
	v_cmp_nlt_f32_e64 s[10:11], |v40|, s49
                                        ; implicit-def: $vgpr63
	s_and_saveexec_b64 s[34:35], s[10:11]
	s_xor_b64 s[10:11], exec, s[34:35]
	s_cbranch_execz .LBB32_350
; %bb.349:                              ;   in Loop: Header=BB32_324 Depth=2
	v_add_f32_e64 v63, |v40|, |v40|
	v_mul_f32_e32 v69, 0x3fb8aa3b, v63
	v_rndne_f32_e32 v72, v69
	v_sub_f32_e32 v73, v69, v72
	v_fma_f32 v69, v63, s71, -v69
	v_fmac_f32_e32 v69, 0x32a5705f, v63
	v_add_f32_e32 v69, v73, v69
	v_cvt_i32_f32_e32 v72, v72
	v_exp_f32_e32 v69, v69
	v_cmp_ngt_f32_e32 vcc, s94, v63
	v_ldexp_f32 v69, v69, v72
	s_nop 0
	v_cndmask_b32_e32 v69, 0, v69, vcc
	v_cmp_nlt_f32_e32 vcc, s95, v63
	s_nop 1
	v_cndmask_b32_e32 v63, v132, v69, vcc
	v_add_f32_e32 v63, 1.0, v63
	v_rcp_f32_e32 v63, v63
	s_nop 0
	v_fma_f32 v63, v63, -2.0, 1.0
.LBB32_350:                             ;   in Loop: Header=BB32_324 Depth=2
	s_andn2_saveexec_b64 s[10:11], s[10:11]
; %bb.351:                              ;   in Loop: Header=BB32_324 Depth=2
	v_mul_f32_e32 v63, v40, v40
	v_fmamk_f32 v69, v63, 0xbbbac73d, v227
	v_fmaak_f32 v69, v63, v69, 0xbd5c1c4e
	v_fmaak_f32 v69, v63, v69, 0x3e088382
	;; [unrolled: 1-line block ×3, first 2 shown]
	v_mul_f32_e64 v69, |v40|, v69
	v_fma_f32 v63, v63, v69, |v40|
; %bb.352:                              ;   in Loop: Header=BB32_324 Depth=2
	s_or_b64 exec, exec, s[10:11]
	v_cmp_nlt_f32_e64 s[10:11], |v41|, s49
                                        ; implicit-def: $vgpr69
	s_and_saveexec_b64 s[34:35], s[10:11]
	s_xor_b64 s[10:11], exec, s[34:35]
	s_cbranch_execz .LBB32_354
; %bb.353:                              ;   in Loop: Header=BB32_324 Depth=2
	v_add_f32_e64 v69, |v41|, |v41|
	v_mul_f32_e32 v72, 0x3fb8aa3b, v69
	v_rndne_f32_e32 v73, v72
	v_sub_f32_e32 v76, v72, v73
	v_fma_f32 v72, v69, s71, -v72
	v_fmac_f32_e32 v72, 0x32a5705f, v69
	v_add_f32_e32 v72, v76, v72
	v_cvt_i32_f32_e32 v73, v73
	v_exp_f32_e32 v72, v72
	v_cmp_ngt_f32_e32 vcc, s94, v69
	v_ldexp_f32 v72, v72, v73
	s_nop 0
	v_cndmask_b32_e32 v72, 0, v72, vcc
	v_cmp_nlt_f32_e32 vcc, s95, v69
	s_nop 1
	v_cndmask_b32_e32 v69, v132, v72, vcc
	v_add_f32_e32 v69, 1.0, v69
	v_rcp_f32_e32 v69, v69
	s_nop 0
	v_fma_f32 v69, v69, -2.0, 1.0
.LBB32_354:                             ;   in Loop: Header=BB32_324 Depth=2
	s_andn2_saveexec_b64 s[10:11], s[10:11]
; %bb.355:                              ;   in Loop: Header=BB32_324 Depth=2
	v_mul_f32_e32 v69, v41, v41
	v_fmamk_f32 v72, v69, 0xbbbac73d, v227
	v_fmaak_f32 v72, v69, v72, 0xbd5c1c4e
	v_fmaak_f32 v72, v69, v72, 0x3e088382
	;; [unrolled: 1-line block ×3, first 2 shown]
	v_mul_f32_e64 v72, |v41|, v72
	v_fma_f32 v69, v69, v72, |v41|
; %bb.356:                              ;   in Loop: Header=BB32_324 Depth=2
	s_or_b64 exec, exec, s[10:11]
	v_bfi_b32 v56, s96, v56, v34
	v_add_u32_e32 v34, 0x8400, v199
	v_bfi_b32 v57, s96, v57, v35
	ds_read2_b32 v[34:35], v34 offset1:1
	v_bfi_b32 v37, s96, v59, v37
	v_bfi_b32 v36, s96, v58, v36
	v_bfi_b32 v38, s96, v61, v38
	v_bfi_b32 v39, s96, v62, v39
	s_waitcnt lgkmcnt(0)
	v_fma_mix_f32 v36, s3, v36, v35 op_sel_hi:[0,0,1]
	v_fma_mix_f32 v35, s3, v37, v35 op_sel:[0,0,1] op_sel_hi:[0,0,1]
	ds_read_b32 v37, v207 offset:33792
	v_fma_mix_f32 v56, s3, v56, v34 op_sel_hi:[0,0,1]
	v_fma_mix_f32 v34, s3, v57, v34 op_sel:[0,0,1] op_sel_hi:[0,0,1]
	v_bfi_b32 v40, s96, v63, v40
	v_bfi_b32 v41, s96, v69, v41
	s_waitcnt lgkmcnt(0)
	v_fma_mix_f32 v57, s3, v38, v37 op_sel_hi:[0,0,1]
	ds_read_b32 v38, v208 offset:33792
	v_fma_mix_f32 v37, s3, v39, v37 op_sel:[0,0,1] op_sel_hi:[0,0,1]
	v_add_f32_e32 v39, 0x40051340, v34
	v_lshl_add_u64 v[76:77], v[184:185], 0, v[118:119]
	s_add_i32 s15, s15, -1
	s_waitcnt lgkmcnt(0)
	v_fma_mix_f32 v58, s3, v40, v38 op_sel_hi:[0,0,1]
	v_fma_mix_f32 v41, s3, v41, v38 op_sel:[0,0,1] op_sel_hi:[0,0,1]
	v_add_f32_e32 v38, 0x40051340, v56
	v_max3_f32 v38, v53, v38, v39
	v_add_f32_e32 v39, 0x40051340, v36
	v_add_f32_e32 v40, 0x40051340, v35
	v_max3_f32 v38, v38, v39, v40
	v_add_f32_e32 v39, 0x40051340, v57
	;; [unrolled: 3-line block ×3, first 2 shown]
	v_add_f32_e32 v40, 0x40051340, v41
	v_max3_f32 v38, v38, v39, v40
	ds_bpermute_b32 v39, v98, v38
	s_mov_b64 s[10:11], 0x80
	v_lshl_add_u64 v[176:177], v[176:177], 0, s[10:11]
	v_lshl_add_u64 v[184:185], v[184:185], 0, s[72:73]
	v_lshl_add_u64 v[172:173], v[172:173], 0, s[74:75]
	s_waitcnt lgkmcnt(0)
	v_max_f32_e32 v39, v39, v39
	v_max_f32_e32 v38, v38, v39
	ds_bpermute_b32 v39, v225, v38
	v_lshl_add_u64 v[174:175], v[174:175], 0, s[74:75]
	v_lshl_add_u64 v[186:187], v[186:187], 0, s[74:75]
	v_lshl_add_u64 v[188:189], v[188:189], 0, s[74:75]
	s_cmp_lg_u32 s15, 0
	s_waitcnt lgkmcnt(0)
	v_max_f32_e32 v39, v39, v39
	v_max_f32_e32 v130, v38, v39
	v_sub_f32_e32 v38, v56, v130
	v_mul_f32_e32 v39, 0x3fb8aa3b, v38
	v_fma_f32 v40, v38, s71, -v39
	v_rndne_f32_e32 v56, v39
	v_fmac_f32_e32 v40, 0x32a5705f, v38
	v_sub_f32_e32 v39, v39, v56
	v_add_f32_e32 v39, v39, v40
	v_exp_f32_e32 v39, v39
	v_cvt_i32_f32_e32 v40, v56
	v_cmp_ngt_f32_e32 vcc, s94, v38
	v_sub_f32_e32 v34, v34, v130
	v_sub_f32_e32 v36, v36, v130
	v_ldexp_f32 v39, v39, v40
	v_cndmask_b32_e32 v39, 0, v39, vcc
	v_cmp_nlt_f32_e32 vcc, s95, v38
	v_sub_f32_e32 v35, v35, v130
	s_nop 0
	v_cndmask_b32_e32 v38, v132, v39, vcc
	v_mul_f32_e32 v39, 0x3fb8aa3b, v34
	v_fma_f32 v40, v34, s71, -v39
	v_rndne_f32_e32 v56, v39
	v_fmac_f32_e32 v40, 0x32a5705f, v34
	v_sub_f32_e32 v39, v39, v56
	v_add_f32_e32 v39, v39, v40
	v_exp_f32_e32 v39, v39
	v_cvt_i32_f32_e32 v40, v56
	v_cmp_ngt_f32_e32 vcc, s94, v34
	v_ldexp_f32 v39, v39, v40
	v_mul_f32_e32 v40, 0x3fb8aa3b, v36
	v_fma_f32 v56, v36, s71, -v40
	v_rndne_f32_e32 v59, v40
	v_fmac_f32_e32 v56, 0x32a5705f, v36
	v_sub_f32_e32 v40, v40, v59
	v_add_f32_e32 v40, v40, v56
	v_exp_f32_e32 v40, v40
	v_cvt_i32_f32_e32 v56, v59
	v_cndmask_b32_e32 v39, 0, v39, vcc
	v_cmp_nlt_f32_e32 vcc, s95, v34
	v_ldexp_f32 v40, v40, v56
	s_nop 0
	v_cndmask_b32_e32 v39, v132, v39, vcc
	v_cmp_ngt_f32_e32 vcc, s94, v36
	v_add_f32_e32 v34, v38, v39
	v_cvt_pk_f16_f32 v192, v38, v39
	v_cndmask_b32_e32 v40, 0, v40, vcc
	v_cmp_nlt_f32_e32 vcc, s95, v36
	v_mul_f32_e32 v36, 0x3fb8aa3b, v35
	v_fma_f32 v56, v35, s71, -v36
	v_rndne_f32_e32 v59, v36
	v_fmac_f32_e32 v56, 0x32a5705f, v35
	v_sub_f32_e32 v36, v36, v59
	v_add_f32_e32 v36, v36, v56
	v_exp_f32_e32 v36, v36
	v_cvt_i32_f32_e32 v56, v59
	v_cndmask_b32_e32 v40, v132, v40, vcc
	v_cmp_ngt_f32_e32 vcc, s94, v35
	v_add_f32_e32 v34, v40, v34
	v_ldexp_f32 v36, v36, v56
	v_cndmask_b32_e32 v36, 0, v36, vcc
	v_cmp_nlt_f32_e32 vcc, s95, v35
	v_sub_f32_e32 v35, v57, v130
	s_nop 0
	v_cndmask_b32_e32 v56, v132, v36, vcc
	v_mul_f32_e32 v36, 0x3fb8aa3b, v35
	v_fma_f32 v57, v35, s71, -v36
	v_rndne_f32_e32 v59, v36
	v_fmac_f32_e32 v57, 0x32a5705f, v35
	v_sub_f32_e32 v36, v36, v59
	v_add_f32_e32 v36, v36, v57
	v_exp_f32_e32 v36, v36
	v_cvt_i32_f32_e32 v57, v59
	v_cmp_ngt_f32_e32 vcc, s94, v35
	v_add_f32_e32 v34, v56, v34
	v_cvt_pk_f16_f32 v193, v40, v56
	v_ldexp_f32 v36, v36, v57
	v_cndmask_b32_e32 v36, 0, v36, vcc
	v_cmp_nlt_f32_e32 vcc, s95, v35
	v_sub_f32_e32 v35, v37, v130
	s_nop 0
	v_cndmask_b32_e32 v57, v132, v36, vcc
	v_mul_f32_e32 v36, 0x3fb8aa3b, v35
	v_fma_f32 v37, v35, s71, -v36
	v_rndne_f32_e32 v59, v36
	v_fmac_f32_e32 v37, 0x32a5705f, v35
	v_sub_f32_e32 v36, v36, v59
	v_add_f32_e32 v36, v36, v37
	v_exp_f32_e32 v36, v36
	v_cvt_i32_f32_e32 v37, v59
	v_cmp_ngt_f32_e32 vcc, s94, v35
	v_add_f32_e32 v34, v57, v34
	v_ldexp_f32 v36, v36, v37
	v_cndmask_b32_e32 v36, 0, v36, vcc
	v_cmp_nlt_f32_e32 vcc, s95, v35
	v_sub_f32_e32 v35, v58, v130
	s_nop 0
	v_cndmask_b32_e32 v61, v132, v36, vcc
	v_mul_f32_e32 v36, 0x3fb8aa3b, v35
	v_fma_f32 v37, v35, s71, -v36
	v_rndne_f32_e32 v58, v36
	v_fmac_f32_e32 v37, 0x32a5705f, v35
	v_sub_f32_e32 v36, v36, v58
	v_add_f32_e32 v36, v36, v37
	v_exp_f32_e32 v36, v36
	v_cvt_i32_f32_e32 v37, v58
	v_cmp_ngt_f32_e32 vcc, s94, v35
	v_add_f32_e32 v34, v61, v34
	;; [unrolled: 16-line block ×3, first 2 shown]
	v_ldexp_f32 v36, v36, v37
	v_cndmask_b32_e32 v36, 0, v36, vcc
	v_cmp_nlt_f32_e32 vcc, s95, v35
	s_nop 1
	v_cndmask_b32_e32 v72, v132, v36, vcc
	v_add_f32_e32 v226, v72, v34
	v_sub_f32_e32 v34, v53, v130
	v_mul_f32_e32 v35, 0x3fb8aa3b, v34
	v_fma_f32 v36, v34, s71, -v35
	v_rndne_f32_e32 v37, v35
	v_fmac_f32_e32 v36, 0x32a5705f, v34
	v_sub_f32_e32 v35, v35, v37
	v_add_f32_e32 v35, v35, v36
	v_exp_f32_e32 v35, v35
	v_cvt_i32_f32_e32 v36, v37
	v_cmp_ngt_f32_e32 vcc, s94, v34
	v_ldexp_f32 v35, v35, v36
	s_nop 0
	v_cndmask_b32_e32 v35, 0, v35, vcc
	v_cmp_nlt_f32_e32 vcc, s95, v34
	s_nop 1
	v_cndmask_b32_e32 v35, v132, v35, vcc
	v_cmp_le_f32_e32 vcc, s97, v34
	s_nop 1
	v_cndmask_b32_e32 v34, 0, v35, vcc
	v_fmac_f32_e32 v226, v52, v34
	v_cvt_f16_f32_e32 v34, v34
	v_lshl_add_u64 v[52:53], v[180:181], 0, v[118:119]
	v_lshl_add_u64 v[180:181], v[180:181], 0, s[72:73]
	v_mul_u32_u24_e32 v34, 0x10001, v34
	v_pk_mul_f16 v49, v49, v34
	v_pk_mul_f16 v48, v48, v34
	v_pk_mul_f16 v45, v45, v34
	v_pk_mul_f16 v41, v44, v34
	v_pk_mul_f16 v43, v43, v34
	v_pk_mul_f16 v42, v42, v34
	v_pk_mul_f16 v47, v47, v34
	v_pk_mul_f16 v46, v46, v34
	v_pk_mul_f16 v51, v51, v34
	v_pk_mul_f16 v50, v50, v34
	v_pk_mul_f16 v55, v55, v34
	v_pk_mul_f16 v54, v54, v34
	v_pk_mul_f16 v59, v65, v34
	v_pk_mul_f16 v58, v60, v34
	v_pk_mul_f16 v63, v68, v34
	v_pk_mul_f16 v62, v64, v34
	v_pk_mul_f16 v67, v67, v34
	v_pk_mul_f16 v66, v66, v34
	v_pk_mul_f16 v71, v71, v34
	v_pk_mul_f16 v70, v70, v34
	v_pk_mul_f16 v75, v75, v34
	v_pk_mul_f16 v74, v74, v34
	v_pk_mul_f16 v79, v79, v34
	v_pk_mul_f16 v78, v78, v34
	v_pk_mul_f16 v83, v83, v34
	v_pk_mul_f16 v82, v82, v34
	v_pk_mul_f16 v87, v87, v34
	v_pk_mul_f16 v86, v86, v34
	v_pk_mul_f16 v91, v91, v34
	v_pk_mul_f16 v90, v90, v34
	v_pk_mul_f16 v229, v190, v34
	v_pk_mul_f16 v224, v191, v34
	v_lshl_add_u64 v[34:35], v[178:179], 0, v[118:119]
	global_load_dwordx4 v[34:37], v[34:35], off
	v_lshl_add_u64 v[64:65], v[182:183], 0, v[118:119]
	v_cvt_pk_f16_f32 v191, v69, v72
	v_cvt_pk_f16_f32 v190, v57, v61
	v_cvt_f32_f16_e32 v220, v43
	v_cvt_f32_f16_sdwa v221, v43 dst_sel:DWORD dst_unused:UNUSED_PAD src0_sel:WORD_1
	v_cvt_f32_f16_e32 v222, v42
	v_cvt_f32_f16_sdwa v223, v42 dst_sel:DWORD dst_unused:UNUSED_PAD src0_sel:WORD_1
	v_lshl_add_u64 v[178:179], v[178:179], 0, s[72:73]
	v_lshl_add_u64 v[182:183], v[182:183], 0, s[72:73]
	s_waitcnt vmcnt(0)
	ds_write_b128 v197, v[34:37]
	global_load_dwordx4 v[34:37], v[52:53], off
	s_waitcnt vmcnt(0)
	ds_write_b128 v236, v[34:37]
	global_load_dwordx4 v[34:37], v[64:65], off
	;; [unrolled: 3-line block ×3, first 2 shown]
	s_waitcnt vmcnt(0)
	ds_write_b128 v238, v[34:37]
	s_waitcnt lgkmcnt(0)
	s_barrier
	ds_read_u16 v44, v200 offset:528
	ds_read_u16 v52, v200 offset:1056
	v_cvt_f32_f16_e32 v36, v48
	v_cvt_f32_f16_sdwa v37, v48 dst_sel:DWORD dst_unused:UNUSED_PAD src0_sel:WORD_1
	ds_read_u16 v48, v201
	ds_read_u16 v53, v201 offset:32
	v_cvt_f32_f16_e32 v34, v49
	v_cvt_f32_f16_sdwa v35, v49 dst_sel:DWORD dst_unused:UNUSED_PAD src0_sel:WORD_1
	s_waitcnt lgkmcnt(1)
	v_perm_b32 v49, v48, v52, s98
	ds_read_u16 v48, v200
	ds_read_u16 v52, v200 offset:32
	s_waitcnt lgkmcnt(1)
	v_perm_b32 v48, v44, v48, s98
	s_nop 1
	v_mfma_f32_16x16x16_f16 v[34:37], v[48:49], v[192:193], v[34:37]
	ds_read_u16 v38, v200 offset:16896
	ds_read_u16 v40, v200 offset:17424
	;; [unrolled: 1-line block ×4, first 2 shown]
	s_nop 3
	v_cvt_f16_f32_e32 v34, v34
	v_cvt_f16_f32_e32 v35, v35
	;; [unrolled: 1-line block ×4, first 2 shown]
	s_waitcnt lgkmcnt(0)
	v_perm_b32 v39, v44, v39, s98
	v_perm_b32 v38, v40, v38, s98
	ds_read_u16 v44, v200 offset:560
	ds_read_u16 v48, v200 offset:1088
	v_cvt_f32_f16_e32 v34, v34
	v_cvt_f32_f16_e32 v35, v35
	;; [unrolled: 1-line block ×4, first 2 shown]
	s_waitcnt lgkmcnt(1)
	v_perm_b32 v44, v44, v52, s98
	v_cvt_f32_f16_e32 v40, v41
	v_mfma_f32_16x16x16_f16 v[34:37], v[38:39], v[190:191], v[34:37]
	v_cvt_f32_f16_e32 v38, v45
	v_cvt_f32_f16_sdwa v39, v45 dst_sel:DWORD dst_unused:UNUSED_PAD src0_sel:WORD_1
	s_waitcnt lgkmcnt(0)
	v_perm_b32 v45, v53, v48, s98
	v_cvt_f32_f16_sdwa v41, v41 dst_sel:DWORD dst_unused:UNUSED_PAD src0_sel:WORD_1
	s_nop 1
	v_mfma_f32_16x16x16_f16 v[38:41], v[44:45], v[192:193], v[38:41]
	ds_read_u16 v44, v200 offset:16928
	ds_read_u16 v48, v200 offset:17456
	;; [unrolled: 1-line block ×4, first 2 shown]
	s_nop 3
	v_cvt_f16_f32_e32 v38, v38
	v_cvt_f16_f32_e32 v39, v39
	;; [unrolled: 1-line block ×4, first 2 shown]
	s_waitcnt lgkmcnt(0)
	v_perm_b32 v45, v49, v45, s98
	v_perm_b32 v44, v48, v44, s98
	v_cvt_f32_f16_e32 v38, v38
	v_cvt_f32_f16_e32 v39, v39
	;; [unrolled: 1-line block ×4, first 2 shown]
	s_nop 1
	v_mfma_f32_16x16x16_f16 v[38:41], v[44:45], v[190:191], v[38:41]
	ds_read_u16 v44, v200 offset:64
	ds_read_u16 v45, v200 offset:592
	;; [unrolled: 1-line block ×4, first 2 shown]
	s_waitcnt lgkmcnt(2)
	v_perm_b32 v42, v45, v44, s98
	s_waitcnt lgkmcnt(0)
	v_perm_b32 v43, v49, v48, s98
	ds_read_u16 v48, v200 offset:16960
	ds_read_u16 v52, v200 offset:17488
	;; [unrolled: 1-line block ×4, first 2 shown]
	v_mfma_f32_16x16x16_f16 v[42:45], v[42:43], v[192:193], v[220:223]
	s_waitcnt lgkmcnt(0)
	v_perm_b32 v49, v53, v49, s98
	v_perm_b32 v48, v52, v48, s98
	v_cvt_f32_f16_e32 v220, v47
	s_nop 3
	v_cvt_f16_f32_e32 v42, v42
	v_cvt_f16_f32_e32 v43, v43
	;; [unrolled: 1-line block ×4, first 2 shown]
	v_cvt_f32_f16_e32 v42, v42
	v_cvt_f32_f16_e32 v43, v43
	;; [unrolled: 1-line block ×4, first 2 shown]
	v_cvt_f32_f16_sdwa v221, v47 dst_sel:DWORD dst_unused:UNUSED_PAD src0_sel:WORD_1
	v_cvt_f32_f16_e32 v222, v46
	v_mfma_f32_16x16x16_f16 v[42:45], v[48:49], v[190:191], v[42:45]
	ds_read_u16 v48, v200 offset:96
	ds_read_u16 v49, v200 offset:624
	;; [unrolled: 1-line block ×4, first 2 shown]
	v_cvt_f32_f16_sdwa v223, v46 dst_sel:DWORD dst_unused:UNUSED_PAD src0_sel:WORD_1
	s_waitcnt lgkmcnt(2)
	v_perm_b32 v46, v49, v48, s98
	s_nop 0
	v_cvt_pk_f16_f32 v43, v42, v43
	s_waitcnt lgkmcnt(0)
	v_perm_b32 v47, v53, v52, s98
	ds_read_u16 v52, v200 offset:16992
	ds_read_u16 v56, v200 offset:17520
	ds_read_u16 v53, v200 offset:18048
	ds_read_u16 v57, v201 offset:16992
	v_mfma_f32_16x16x16_f16 v[46:49], v[46:47], v[192:193], v[220:223]
	s_waitcnt lgkmcnt(0)
	v_perm_b32 v53, v57, v53, s98
	v_perm_b32 v52, v56, v52, s98
	v_cvt_f32_f16_e32 v220, v51
	s_nop 3
	v_cvt_f16_f32_e32 v46, v46
	v_cvt_f16_f32_e32 v47, v47
	v_cvt_f16_f32_e32 v48, v48
	v_cvt_f16_f32_e32 v49, v49
	v_cvt_f32_f16_e32 v46, v46
	v_cvt_f32_f16_e32 v47, v47
	v_cvt_f32_f16_e32 v48, v48
	v_cvt_f32_f16_e32 v49, v49
	v_cvt_f32_f16_sdwa v221, v51 dst_sel:DWORD dst_unused:UNUSED_PAD src0_sel:WORD_1
	v_cvt_f32_f16_e32 v222, v50
	v_mfma_f32_16x16x16_f16 v[46:49], v[52:53], v[190:191], v[46:49]
	ds_read_u16 v52, v200 offset:128
	ds_read_u16 v53, v200 offset:656
	ds_read_u16 v56, v200 offset:1184
	ds_read_u16 v57, v201 offset:128
	v_cvt_f32_f16_sdwa v223, v50 dst_sel:DWORD dst_unused:UNUSED_PAD src0_sel:WORD_1
	v_cvt_pk_f16_f32 v42, v44, v45
	s_waitcnt lgkmcnt(2)
	v_perm_b32 v50, v53, v52, s98
	v_cvt_pk_f16_f32 v47, v46, v47
	s_waitcnt lgkmcnt(0)
	v_perm_b32 v51, v57, v56, s98
	ds_read_u16 v56, v200 offset:17024
	ds_read_u16 v60, v200 offset:17552
	ds_read_u16 v57, v200 offset:18080
	ds_read_u16 v61, v201 offset:17024
	v_mfma_f32_16x16x16_f16 v[50:53], v[50:51], v[192:193], v[220:223]
	s_waitcnt lgkmcnt(0)
	v_perm_b32 v57, v61, v57, s98
	v_perm_b32 v56, v60, v56, s98
	v_cvt_f32_f16_e32 v220, v55
	s_nop 3
	v_cvt_f16_f32_e32 v50, v50
	v_cvt_f16_f32_e32 v51, v51
	v_cvt_f16_f32_e32 v52, v52
	v_cvt_f16_f32_e32 v53, v53
	v_cvt_f32_f16_e32 v50, v50
	v_cvt_f32_f16_e32 v51, v51
	v_cvt_f32_f16_e32 v52, v52
	v_cvt_f32_f16_e32 v53, v53
	v_cvt_f32_f16_sdwa v221, v55 dst_sel:DWORD dst_unused:UNUSED_PAD src0_sel:WORD_1
	v_cvt_f32_f16_e32 v222, v54
	v_mfma_f32_16x16x16_f16 v[50:53], v[56:57], v[190:191], v[50:53]
	ds_read_u16 v56, v200 offset:160
	ds_read_u16 v57, v200 offset:688
	ds_read_u16 v60, v200 offset:1216
	ds_read_u16 v61, v201 offset:160
	v_cvt_f32_f16_sdwa v223, v54 dst_sel:DWORD dst_unused:UNUSED_PAD src0_sel:WORD_1
	v_cvt_pk_f16_f32 v46, v48, v49
	s_waitcnt lgkmcnt(2)
	v_perm_b32 v54, v57, v56, s98
	;; [unrolled: 32-line block ×4, first 2 shown]
	v_cvt_pk_f16_f32 v60, v60, v61
	s_waitcnt lgkmcnt(0)
	v_perm_b32 v63, v69, v68, s98
	v_cvt_pk_f16_f32 v45, v38, v39
	v_cvt_pk_f16_f32 v44, v40, v41
	v_mfma_f32_16x16x16_f16 v[220:223], v[62:63], v[192:193], v[220:223]
	ds_read_u16 v62, v200 offset:17120
	ds_read_u16 v63, v200 offset:17648
	;; [unrolled: 1-line block ×4, first 2 shown]
	v_cvt_pk_f16_f32 v49, v34, v35
	v_cvt_pk_f16_f32 v48, v36, v37
	s_nop 1
	v_cvt_f16_f32_e32 v64, v220
	v_cvt_f16_f32_e32 v65, v221
	v_cvt_f16_f32_e32 v68, v222
	v_cvt_f16_f32_e32 v69, v223
	v_cvt_f32_f16_e32 v220, v64
	v_cvt_f32_f16_e32 v221, v65
	;; [unrolled: 1-line block ×4, first 2 shown]
	s_waitcnt lgkmcnt(0)
	v_perm_b32 v65, v73, v72, s98
	v_perm_b32 v64, v63, v62, s98
	ds_read_u16 v68, v200 offset:256
	ds_read_u16 v69, v200 offset:784
	;; [unrolled: 1-line block ×4, first 2 shown]
	v_mfma_f32_16x16x16_f16 v[62:65], v[64:65], v[190:191], v[220:223]
	s_nop 2
	v_cvt_f32_f16_e32 v220, v67
	v_cvt_f32_f16_sdwa v221, v67 dst_sel:DWORD dst_unused:UNUSED_PAD src0_sel:WORD_1
	v_cvt_f32_f16_e32 v222, v66
	v_cvt_f32_f16_sdwa v223, v66 dst_sel:DWORD dst_unused:UNUSED_PAD src0_sel:WORD_1
	s_waitcnt lgkmcnt(0)
	v_perm_b32 v67, v73, v72, s98
	v_perm_b32 v66, v69, v68, s98
	ds_read_u16 v72, v200 offset:17152
	ds_read_u16 v76, v200 offset:17680
	ds_read_u16 v73, v200 offset:18208
	ds_read_u16 v77, v201 offset:17152
	v_mfma_f32_16x16x16_f16 v[66:69], v[66:67], v[192:193], v[220:223]
	s_waitcnt lgkmcnt(0)
	v_perm_b32 v73, v77, v73, s98
	v_perm_b32 v72, v76, v72, s98
	v_cvt_f32_f16_e32 v220, v71
	s_nop 3
	v_cvt_f16_f32_e32 v66, v66
	v_cvt_f16_f32_e32 v67, v67
	v_cvt_f16_f32_e32 v68, v68
	v_cvt_f16_f32_e32 v69, v69
	v_cvt_f32_f16_e32 v66, v66
	v_cvt_f32_f16_e32 v67, v67
	v_cvt_f32_f16_e32 v68, v68
	v_cvt_f32_f16_e32 v69, v69
	v_cvt_f32_f16_sdwa v221, v71 dst_sel:DWORD dst_unused:UNUSED_PAD src0_sel:WORD_1
	v_cvt_f32_f16_e32 v222, v70
	v_mfma_f32_16x16x16_f16 v[66:69], v[72:73], v[190:191], v[66:69]
	ds_read_u16 v72, v200 offset:288
	ds_read_u16 v73, v200 offset:816
	ds_read_u16 v76, v200 offset:1344
	ds_read_u16 v77, v201 offset:288
	v_cvt_f32_f16_sdwa v223, v70 dst_sel:DWORD dst_unused:UNUSED_PAD src0_sel:WORD_1
	v_cvt_pk_f16_f32 v64, v64, v65
	s_waitcnt lgkmcnt(2)
	v_perm_b32 v70, v73, v72, s98
	v_cvt_pk_f16_f32 v67, v66, v67
	s_waitcnt lgkmcnt(0)
	v_perm_b32 v71, v77, v76, s98
	ds_read_u16 v76, v200 offset:17184
	ds_read_u16 v80, v200 offset:17712
	ds_read_u16 v77, v200 offset:18240
	ds_read_u16 v81, v201 offset:17184
	v_mfma_f32_16x16x16_f16 v[70:73], v[70:71], v[192:193], v[220:223]
	s_waitcnt lgkmcnt(0)
	v_perm_b32 v77, v81, v77, s98
	v_perm_b32 v76, v80, v76, s98
	v_cvt_f32_f16_e32 v220, v75
	s_nop 3
	v_cvt_f16_f32_e32 v70, v70
	v_cvt_f16_f32_e32 v71, v71
	v_cvt_f16_f32_e32 v72, v72
	v_cvt_f16_f32_e32 v73, v73
	v_cvt_f32_f16_e32 v70, v70
	v_cvt_f32_f16_e32 v71, v71
	v_cvt_f32_f16_e32 v72, v72
	v_cvt_f32_f16_e32 v73, v73
	v_cvt_f32_f16_sdwa v221, v75 dst_sel:DWORD dst_unused:UNUSED_PAD src0_sel:WORD_1
	v_cvt_f32_f16_e32 v222, v74
	v_mfma_f32_16x16x16_f16 v[70:73], v[76:77], v[190:191], v[70:73]
	ds_read_u16 v76, v200 offset:320
	ds_read_u16 v77, v200 offset:848
	ds_read_u16 v80, v200 offset:1376
	ds_read_u16 v81, v201 offset:320
	v_cvt_f32_f16_sdwa v223, v74 dst_sel:DWORD dst_unused:UNUSED_PAD src0_sel:WORD_1
	v_cvt_pk_f16_f32 v66, v68, v69
	s_waitcnt lgkmcnt(2)
	v_perm_b32 v74, v77, v76, s98
	v_cvt_pk_f16_f32 v71, v70, v71
	s_waitcnt lgkmcnt(0)
	;; [unrolled: 32-line block ×6, first 2 shown]
	v_perm_b32 v91, v218, v128, s98
	v_cvt_pk_f16_f32 v86, v88, v89
	v_cvt_pk_f16_f32 v68, v62, v63
	v_mfma_f32_16x16x16_f16 v[90:93], v[90:91], v[192:193], v[220:223]
	ds_read_u16 v128, v200 offset:17344
	ds_read_u16 v218, v200 offset:17872
	;; [unrolled: 1-line block ×4, first 2 shown]
	v_cvt_f32_f16_sdwa v221, v229 dst_sel:DWORD dst_unused:UNUSED_PAD src0_sel:WORD_1
	v_cvt_f32_f16_e32 v222, v224
	s_nop 1
	v_cvt_f16_f32_e32 v90, v90
	v_cvt_f16_f32_e32 v91, v91
	;; [unrolled: 1-line block ×4, first 2 shown]
	s_waitcnt lgkmcnt(0)
	v_perm_b32 v219, v220, v219, s98
	v_perm_b32 v218, v218, v128, s98
	v_cvt_f32_f16_e32 v90, v90
	v_cvt_f32_f16_e32 v91, v91
	;; [unrolled: 1-line block ×5, first 2 shown]
	v_cvt_f32_f16_sdwa v223, v224 dst_sel:DWORD dst_unused:UNUSED_PAD src0_sel:WORD_1
	v_mfma_f32_16x16x16_f16 v[90:93], v[218:219], v[190:191], v[90:93]
	ds_read_u16 v128, v200 offset:480
	ds_read_u16 v218, v200 offset:1008
	;; [unrolled: 1-line block ×4, first 2 shown]
	v_cvt_pk_f16_f32 v65, v58, v59
	s_waitcnt lgkmcnt(2)
	v_perm_b32 v218, v218, v128, s98
	s_nop 0
	v_cvt_pk_f16_f32 v91, v90, v91
	s_waitcnt lgkmcnt(0)
	v_perm_b32 v219, v228, v219, s98
	v_cvt_pk_f16_f32 v90, v92, v93
	s_nop 0
	v_mfma_f32_16x16x16_f16 v[220:223], v[218:219], v[192:193], v[220:223]
	s_nop 7
	v_cvt_f16_f32_e32 v128, v222
	v_cvt_f16_f32_e32 v222, v223
	ds_read_u16 v192, v200 offset:17376
	ds_read_u16 v193, v200 offset:17904
	;; [unrolled: 1-line block ×4, first 2 shown]
	v_cvt_f16_f32_e32 v224, v220
	v_cvt_f16_f32_e32 v229, v221
	v_cvt_f32_f16_e32 v221, v222
	s_waitcnt lgkmcnt(2)
	v_perm_b32 v222, v193, v192, s98
	s_waitcnt lgkmcnt(0)
	v_perm_b32 v223, v228, v223, s98
	v_cvt_f32_f16_e32 v218, v224
	v_cvt_f32_f16_e32 v219, v229
	;; [unrolled: 1-line block ×3, first 2 shown]
	s_barrier
	s_nop 0
	v_mfma_f32_16x16x16_f16 v[190:193], v[222:223], v[190:191], v[218:221]
	s_nop 7
	v_cvt_pk_f16_f32 v190, v190, v191
	v_cvt_pk_f16_f32 v191, v192, v193
	s_cbranch_scc0 .LBB32_359
; %bb.357:                              ;   in Loop: Header=BB32_324 Depth=2
	v_mov_b32_e32 v52, v226
	v_mov_b32_e32 v53, v130
	s_and_saveexec_b64 s[10:11], s[0:1]
	s_cbranch_execnz .LBB32_323
	s_branch .LBB32_324
.LBB32_358:                             ;   in Loop: Header=BB32_12 Depth=1
	v_mov_b32_e32 v130, 0xfeffffff
	v_mov_b32_e32 v226, 0
	s_mov_b64 s[10:11], 0
	v_mov_b32_e32 v48, 0
	v_mov_b32_e32 v49, 0
	;; [unrolled: 1-line block ×32, first 2 shown]
	s_and_saveexec_b64 s[14:15], s[0:1]
	s_cbranch_execnz .LBB32_360
	s_branch .LBB32_361
.LBB32_359:                             ;   in Loop: Header=BB32_12 Depth=1
	s_lshl_b32 s64, s14, 6
	s_mov_b64 s[10:11], s[64:65]
	s_and_saveexec_b64 s[14:15], s[0:1]
	s_cbranch_execz .LBB32_361
.LBB32_360:                             ;   in Loop: Header=BB32_12 Depth=1
	v_or_b32_e32 v36, v143, v196
	v_mul_hi_u32 v37, s44, v36
	v_add_u32_e32 v37, v36, v37
	v_lshrrev_b32_e32 v37, s45, v37
	v_mul_lo_u32 v37, v37, s36
	s_lshl_b64 s[34:35], s[10:11], 1
	v_sub_u32_e32 v36, v36, v37
	v_lshl_add_u64 v[34:35], v[170:171], 0, s[34:35]
	v_mad_i64_i32 v[36:37], s[34:35], v36, s48, 0
	v_lshl_add_u64 v[34:35], v[36:37], 1, v[34:35]
	v_lshlrev_b32_e32 v98, 1, v100
	v_lshl_add_u64 v[34:35], v[34:35], 0, v[98:99]
	global_load_dword v34, v[34:35], off
	s_waitcnt vmcnt(0)
	ds_write_b32 v206, v34 offset:33792
.LBB32_361:                             ;   in Loop: Header=BB32_12 Depth=1
	s_or_b64 exec, exec, s[14:15]
	s_mul_i32 s11, s10, s47
	s_mul_hi_u32 s14, s10, s46
	s_add_i32 s15, s14, s11
	s_mul_i32 s14, s10, s46
	s_lshl_b64 s[14:15], s[14:15], 2
	v_lshl_add_u64 v[34:35], v[168:169], 0, s[14:15]
	v_lshl_add_u64 v[36:37], v[102:103], 2, v[34:35]
	v_lshlrev_b32_e32 v98, 2, v96
	v_lshl_add_u64 v[38:39], v[104:105], 2, v[34:35]
	v_lshl_add_u64 v[36:37], v[36:37], 0, v[98:99]
	;; [unrolled: 1-line block ×7, first 2 shown]
	global_load_dwordx4 v[34:37], v[36:37], off
	s_nop 0
	global_load_dwordx4 v[38:41], v[38:39], off
	s_nop 0
	global_load_dwordx4 v[56:59], v[52:53], off
	global_load_dwordx4 v[168:171], v[62:63], off
	v_add_u32_e32 v52, 0x4000, v198
	s_waitcnt vmcnt(3)
	ds_write_b128 v197, v[34:37]
	s_waitcnt vmcnt(2)
	ds_write_b128 v236, v[38:41]
	;; [unrolled: 2-line block ×4, first 2 shown]
	s_waitcnt lgkmcnt(0)
	s_barrier
	ds_read2_b64 v[34:37], v198 offset1:4
	ds_read2_b64 v[56:59], v52 offset0:64 offset1:68
	s_waitcnt lgkmcnt(1)
	v_mfma_f32_16x16x16_f16 v[38:41], v[34:35], v[30:31], 0
	s_waitcnt lgkmcnt(0)
	v_mfma_f32_16x16x16_f16 v[168:171], v[56:57], v[30:31], 0
	v_mfma_f32_16x16x16_f16 v[34:37], v[36:37], v[32:33], v[38:41]
	;; [unrolled: 1-line block ×3, first 2 shown]
	s_nop 3
	ds_read2_b64 v[38:41], v198 offset0:8 offset1:12
	ds_read2_b64 v[56:59], v52 offset0:72 offset1:76
	s_waitcnt lgkmcnt(1)
	v_mfma_f32_16x16x16_f16 v[34:37], v[38:39], v[26:27], v[34:37]
	s_waitcnt lgkmcnt(0)
	v_mfma_f32_16x16x16_f16 v[30:33], v[56:57], v[26:27], v[30:33]
	v_mfma_f32_16x16x16_f16 v[34:37], v[40:41], v[28:29], v[34:37]
	ds_read2_b64 v[38:41], v52 offset0:80 offset1:84
	v_mfma_f32_16x16x16_f16 v[26:29], v[58:59], v[28:29], v[30:33]
	s_nop 4
	ds_read2_b64 v[30:33], v198 offset0:16 offset1:20
	s_waitcnt lgkmcnt(0)
	v_mfma_f32_16x16x16_f16 v[34:37], v[30:31], v[22:23], v[34:37]
	v_mfma_f32_16x16x16_f16 v[26:29], v[38:39], v[22:23], v[26:29]
	v_mfma_f32_16x16x16_f16 v[30:33], v[32:33], v[24:25], v[34:37]
	v_mfma_f32_16x16x16_f16 v[22:25], v[40:41], v[24:25], v[26:29]
	s_nop 4
	ds_read2_b64 v[34:37], v52 offset0:88 offset1:92
	ds_read2_b64 v[26:29], v198 offset0:24 offset1:28
	s_waitcnt lgkmcnt(0)
	v_mfma_f32_16x16x16_f16 v[30:33], v[26:27], v[18:19], v[30:33]
	v_mfma_f32_16x16x16_f16 v[22:25], v[34:35], v[18:19], v[22:25]
	v_mfma_f32_16x16x16_f16 v[26:29], v[28:29], v[20:21], v[30:33]
	v_mfma_f32_16x16x16_f16 v[18:21], v[36:37], v[20:21], v[22:25]
	s_nop 4
	ds_read2_b64 v[30:33], v52 offset0:96 offset1:100
	;; [unrolled: 8-line block ×5, first 2 shown]
	ds_read2_b64 v[10:13], v198 offset0:56 offset1:60
	s_waitcnt lgkmcnt(0)
	v_mfma_f32_16x16x16_f16 v[14:17], v[10:11], v[2:3], v[14:17]
	s_barrier
	v_mfma_f32_16x16x16_f16 v[22:25], v[18:19], v[2:3], v[6:9]
                                        ; implicit-def: $vgpr10
	v_mfma_f32_16x16x16_f16 v[6:9], v[12:13], v[4:5], v[14:17]
	v_mfma_f32_16x16x16_f16 v[2:5], v[20:21], v[4:5], v[22:25]
	s_nop 6
	v_cmp_nlt_f32_e64 s[14:15], |v6|, s49
	s_and_saveexec_b64 s[34:35], s[14:15]
	s_xor_b64 s[14:15], exec, s[34:35]
	s_cbranch_execz .LBB32_363
; %bb.362:                              ;   in Loop: Header=BB32_12 Depth=1
	v_add_f32_e64 v10, |v6|, |v6|
	v_mul_f32_e32 v11, 0x3fb8aa3b, v10
	v_rndne_f32_e32 v12, v11
	v_sub_f32_e32 v13, v11, v12
	v_fma_f32 v11, v10, s71, -v11
	v_fmac_f32_e32 v11, 0x32a5705f, v10
	v_add_f32_e32 v11, v13, v11
	v_cvt_i32_f32_e32 v12, v12
	v_exp_f32_e32 v11, v11
	v_cmp_ngt_f32_e32 vcc, s94, v10
	v_ldexp_f32 v11, v11, v12
	s_nop 0
	v_cndmask_b32_e32 v11, 0, v11, vcc
	v_cmp_nlt_f32_e32 vcc, s95, v10
	s_nop 1
	v_cndmask_b32_e32 v10, v132, v11, vcc
	v_add_f32_e32 v10, 1.0, v10
	v_rcp_f32_e32 v10, v10
	s_nop 0
	v_fma_f32 v10, v10, -2.0, 1.0
.LBB32_363:                             ;   in Loop: Header=BB32_12 Depth=1
	s_andn2_saveexec_b64 s[14:15], s[14:15]
; %bb.364:                              ;   in Loop: Header=BB32_12 Depth=1
	v_mul_f32_e32 v10, v6, v6
	v_fmamk_f32 v11, v10, 0xbbbac73d, v227
	v_fmaak_f32 v11, v10, v11, 0xbd5c1c4e
	v_fmaak_f32 v11, v10, v11, 0x3e088382
	;; [unrolled: 1-line block ×3, first 2 shown]
	v_mul_f32_e64 v11, |v6|, v11
	v_fma_f32 v10, v10, v11, |v6|
; %bb.365:                              ;   in Loop: Header=BB32_12 Depth=1
	s_or_b64 exec, exec, s[14:15]
	v_cmp_nlt_f32_e64 s[14:15], |v7|, s49
                                        ; implicit-def: $vgpr11
	s_and_saveexec_b64 s[34:35], s[14:15]
	s_xor_b64 s[14:15], exec, s[34:35]
	s_cbranch_execz .LBB32_367
; %bb.366:                              ;   in Loop: Header=BB32_12 Depth=1
	v_add_f32_e64 v11, |v7|, |v7|
	v_mul_f32_e32 v12, 0x3fb8aa3b, v11
	v_rndne_f32_e32 v13, v12
	v_sub_f32_e32 v14, v12, v13
	v_fma_f32 v12, v11, s71, -v12
	v_fmac_f32_e32 v12, 0x32a5705f, v11
	v_add_f32_e32 v12, v14, v12
	v_cvt_i32_f32_e32 v13, v13
	v_exp_f32_e32 v12, v12
	v_cmp_ngt_f32_e32 vcc, s94, v11
	v_ldexp_f32 v12, v12, v13
	s_nop 0
	v_cndmask_b32_e32 v12, 0, v12, vcc
	v_cmp_nlt_f32_e32 vcc, s95, v11
	s_nop 1
	v_cndmask_b32_e32 v11, v132, v12, vcc
	v_add_f32_e32 v11, 1.0, v11
	v_rcp_f32_e32 v11, v11
	s_nop 0
	v_fma_f32 v11, v11, -2.0, 1.0
.LBB32_367:                             ;   in Loop: Header=BB32_12 Depth=1
	s_andn2_saveexec_b64 s[14:15], s[14:15]
; %bb.368:                              ;   in Loop: Header=BB32_12 Depth=1
	v_mul_f32_e32 v11, v7, v7
	v_fmamk_f32 v12, v11, 0xbbbac73d, v227
	v_fmaak_f32 v12, v11, v12, 0xbd5c1c4e
	v_fmaak_f32 v12, v11, v12, 0x3e088382
	;; [unrolled: 1-line block ×3, first 2 shown]
	v_mul_f32_e64 v12, |v7|, v12
	v_fma_f32 v11, v11, v12, |v7|
; %bb.369:                              ;   in Loop: Header=BB32_12 Depth=1
	s_or_b64 exec, exec, s[14:15]
	v_cmp_nlt_f32_e64 s[14:15], |v8|, s49
                                        ; implicit-def: $vgpr12
	s_and_saveexec_b64 s[34:35], s[14:15]
	s_xor_b64 s[14:15], exec, s[34:35]
	s_cbranch_execz .LBB32_371
; %bb.370:                              ;   in Loop: Header=BB32_12 Depth=1
	v_add_f32_e64 v12, |v8|, |v8|
	v_mul_f32_e32 v13, 0x3fb8aa3b, v12
	v_rndne_f32_e32 v14, v13
	v_sub_f32_e32 v15, v13, v14
	v_fma_f32 v13, v12, s71, -v13
	v_fmac_f32_e32 v13, 0x32a5705f, v12
	v_add_f32_e32 v13, v15, v13
	v_cvt_i32_f32_e32 v14, v14
	v_exp_f32_e32 v13, v13
	v_cmp_ngt_f32_e32 vcc, s94, v12
	v_ldexp_f32 v13, v13, v14
	s_nop 0
	v_cndmask_b32_e32 v13, 0, v13, vcc
	v_cmp_nlt_f32_e32 vcc, s95, v12
	s_nop 1
	v_cndmask_b32_e32 v12, v132, v13, vcc
	v_add_f32_e32 v12, 1.0, v12
	v_rcp_f32_e32 v12, v12
	s_nop 0
	v_fma_f32 v12, v12, -2.0, 1.0
.LBB32_371:                             ;   in Loop: Header=BB32_12 Depth=1
	s_andn2_saveexec_b64 s[14:15], s[14:15]
; %bb.372:                              ;   in Loop: Header=BB32_12 Depth=1
	v_mul_f32_e32 v12, v8, v8
	v_fmamk_f32 v13, v12, 0xbbbac73d, v227
	v_fmaak_f32 v13, v12, v13, 0xbd5c1c4e
	v_fmaak_f32 v13, v12, v13, 0x3e088382
	v_fmaak_f32 v13, v12, v13, 0xbeaaaa99
	v_mul_f32_e64 v13, |v8|, v13
	v_fma_f32 v12, v12, v13, |v8|
; %bb.373:                              ;   in Loop: Header=BB32_12 Depth=1
	s_or_b64 exec, exec, s[14:15]
	v_cmp_nlt_f32_e64 s[14:15], |v9|, s49
                                        ; implicit-def: $vgpr13
	s_and_saveexec_b64 s[34:35], s[14:15]
	s_xor_b64 s[14:15], exec, s[34:35]
	s_cbranch_execz .LBB32_375
; %bb.374:                              ;   in Loop: Header=BB32_12 Depth=1
	v_add_f32_e64 v13, |v9|, |v9|
	v_mul_f32_e32 v14, 0x3fb8aa3b, v13
	v_rndne_f32_e32 v15, v14
	v_sub_f32_e32 v16, v14, v15
	v_fma_f32 v14, v13, s71, -v14
	v_fmac_f32_e32 v14, 0x32a5705f, v13
	v_add_f32_e32 v14, v16, v14
	v_cvt_i32_f32_e32 v15, v15
	v_exp_f32_e32 v14, v14
	v_cmp_ngt_f32_e32 vcc, s94, v13
	v_ldexp_f32 v14, v14, v15
	s_nop 0
	v_cndmask_b32_e32 v14, 0, v14, vcc
	v_cmp_nlt_f32_e32 vcc, s95, v13
	s_nop 1
	v_cndmask_b32_e32 v13, v132, v14, vcc
	v_add_f32_e32 v13, 1.0, v13
	v_rcp_f32_e32 v13, v13
	s_nop 0
	v_fma_f32 v13, v13, -2.0, 1.0
.LBB32_375:                             ;   in Loop: Header=BB32_12 Depth=1
	s_andn2_saveexec_b64 s[14:15], s[14:15]
; %bb.376:                              ;   in Loop: Header=BB32_12 Depth=1
	v_mul_f32_e32 v13, v9, v9
	v_fmamk_f32 v14, v13, 0xbbbac73d, v227
	v_fmaak_f32 v14, v13, v14, 0xbd5c1c4e
	v_fmaak_f32 v14, v13, v14, 0x3e088382
	;; [unrolled: 1-line block ×3, first 2 shown]
	v_mul_f32_e64 v14, |v9|, v14
	v_fma_f32 v13, v13, v14, |v9|
; %bb.377:                              ;   in Loop: Header=BB32_12 Depth=1
	s_or_b64 exec, exec, s[14:15]
	v_cmp_nlt_f32_e64 s[14:15], |v2|, s49
                                        ; implicit-def: $vgpr14
	s_and_saveexec_b64 s[34:35], s[14:15]
	s_xor_b64 s[14:15], exec, s[34:35]
	s_cbranch_execz .LBB32_379
; %bb.378:                              ;   in Loop: Header=BB32_12 Depth=1
	v_add_f32_e64 v14, |v2|, |v2|
	v_mul_f32_e32 v15, 0x3fb8aa3b, v14
	v_rndne_f32_e32 v16, v15
	v_sub_f32_e32 v17, v15, v16
	v_fma_f32 v15, v14, s71, -v15
	v_fmac_f32_e32 v15, 0x32a5705f, v14
	v_add_f32_e32 v15, v17, v15
	v_cvt_i32_f32_e32 v16, v16
	v_exp_f32_e32 v15, v15
	v_cmp_ngt_f32_e32 vcc, s94, v14
	v_ldexp_f32 v15, v15, v16
	s_nop 0
	v_cndmask_b32_e32 v15, 0, v15, vcc
	v_cmp_nlt_f32_e32 vcc, s95, v14
	s_nop 1
	v_cndmask_b32_e32 v14, v132, v15, vcc
	v_add_f32_e32 v14, 1.0, v14
	v_rcp_f32_e32 v14, v14
	s_nop 0
	v_fma_f32 v14, v14, -2.0, 1.0
.LBB32_379:                             ;   in Loop: Header=BB32_12 Depth=1
	s_andn2_saveexec_b64 s[14:15], s[14:15]
; %bb.380:                              ;   in Loop: Header=BB32_12 Depth=1
	v_mul_f32_e32 v14, v2, v2
	v_fmamk_f32 v15, v14, 0xbbbac73d, v227
	v_fmaak_f32 v15, v14, v15, 0xbd5c1c4e
	v_fmaak_f32 v15, v14, v15, 0x3e088382
	v_fmaak_f32 v15, v14, v15, 0xbeaaaa99
	v_mul_f32_e64 v15, |v2|, v15
	v_fma_f32 v14, v14, v15, |v2|
; %bb.381:                              ;   in Loop: Header=BB32_12 Depth=1
	s_or_b64 exec, exec, s[14:15]
	v_cmp_nlt_f32_e64 s[14:15], |v3|, s49
                                        ; implicit-def: $vgpr15
	s_and_saveexec_b64 s[34:35], s[14:15]
	s_xor_b64 s[14:15], exec, s[34:35]
	s_cbranch_execz .LBB32_383
; %bb.382:                              ;   in Loop: Header=BB32_12 Depth=1
	v_add_f32_e64 v15, |v3|, |v3|
	v_mul_f32_e32 v16, 0x3fb8aa3b, v15
	v_rndne_f32_e32 v17, v16
	v_sub_f32_e32 v18, v16, v17
	v_fma_f32 v16, v15, s71, -v16
	v_fmac_f32_e32 v16, 0x32a5705f, v15
	v_add_f32_e32 v16, v18, v16
	v_cvt_i32_f32_e32 v17, v17
	v_exp_f32_e32 v16, v16
	v_cmp_ngt_f32_e32 vcc, s94, v15
	v_ldexp_f32 v16, v16, v17
	s_nop 0
	v_cndmask_b32_e32 v16, 0, v16, vcc
	v_cmp_nlt_f32_e32 vcc, s95, v15
	s_nop 1
	v_cndmask_b32_e32 v15, v132, v16, vcc
	v_add_f32_e32 v15, 1.0, v15
	v_rcp_f32_e32 v15, v15
	s_nop 0
	v_fma_f32 v15, v15, -2.0, 1.0
.LBB32_383:                             ;   in Loop: Header=BB32_12 Depth=1
	s_andn2_saveexec_b64 s[14:15], s[14:15]
; %bb.384:                              ;   in Loop: Header=BB32_12 Depth=1
	v_mul_f32_e32 v15, v3, v3
	v_fmamk_f32 v16, v15, 0xbbbac73d, v227
	v_fmaak_f32 v16, v15, v16, 0xbd5c1c4e
	v_fmaak_f32 v16, v15, v16, 0x3e088382
	;; [unrolled: 1-line block ×3, first 2 shown]
	v_mul_f32_e64 v16, |v3|, v16
	v_fma_f32 v15, v15, v16, |v3|
; %bb.385:                              ;   in Loop: Header=BB32_12 Depth=1
	s_or_b64 exec, exec, s[14:15]
	v_cmp_nlt_f32_e64 s[14:15], |v4|, s49
                                        ; implicit-def: $vgpr16
	s_and_saveexec_b64 s[34:35], s[14:15]
	s_xor_b64 s[14:15], exec, s[34:35]
	s_cbranch_execz .LBB32_387
; %bb.386:                              ;   in Loop: Header=BB32_12 Depth=1
	v_add_f32_e64 v16, |v4|, |v4|
	v_mul_f32_e32 v17, 0x3fb8aa3b, v16
	v_rndne_f32_e32 v18, v17
	v_sub_f32_e32 v19, v17, v18
	v_fma_f32 v17, v16, s71, -v17
	v_fmac_f32_e32 v17, 0x32a5705f, v16
	v_add_f32_e32 v17, v19, v17
	v_cvt_i32_f32_e32 v18, v18
	v_exp_f32_e32 v17, v17
	v_cmp_ngt_f32_e32 vcc, s94, v16
	v_ldexp_f32 v17, v17, v18
	s_nop 0
	v_cndmask_b32_e32 v17, 0, v17, vcc
	v_cmp_nlt_f32_e32 vcc, s95, v16
	s_nop 1
	v_cndmask_b32_e32 v16, v132, v17, vcc
	v_add_f32_e32 v16, 1.0, v16
	v_rcp_f32_e32 v16, v16
	s_nop 0
	v_fma_f32 v16, v16, -2.0, 1.0
.LBB32_387:                             ;   in Loop: Header=BB32_12 Depth=1
	s_andn2_saveexec_b64 s[14:15], s[14:15]
; %bb.388:                              ;   in Loop: Header=BB32_12 Depth=1
	v_mul_f32_e32 v16, v4, v4
	v_fmamk_f32 v17, v16, 0xbbbac73d, v227
	v_fmaak_f32 v17, v16, v17, 0xbd5c1c4e
	v_fmaak_f32 v17, v16, v17, 0x3e088382
	;; [unrolled: 1-line block ×3, first 2 shown]
	v_mul_f32_e64 v17, |v4|, v17
	v_fma_f32 v16, v16, v17, |v4|
; %bb.389:                              ;   in Loop: Header=BB32_12 Depth=1
	s_or_b64 exec, exec, s[14:15]
	v_cmp_nlt_f32_e64 s[14:15], |v5|, s49
                                        ; implicit-def: $vgpr17
	s_and_saveexec_b64 s[34:35], s[14:15]
	s_xor_b64 s[14:15], exec, s[34:35]
	s_cbranch_execz .LBB32_391
; %bb.390:                              ;   in Loop: Header=BB32_12 Depth=1
	v_add_f32_e64 v17, |v5|, |v5|
	v_mul_f32_e32 v18, 0x3fb8aa3b, v17
	v_rndne_f32_e32 v19, v18
	v_sub_f32_e32 v20, v18, v19
	v_fma_f32 v18, v17, s71, -v18
	v_fmac_f32_e32 v18, 0x32a5705f, v17
	v_add_f32_e32 v18, v20, v18
	v_cvt_i32_f32_e32 v19, v19
	v_exp_f32_e32 v18, v18
	v_cmp_ngt_f32_e32 vcc, s94, v17
	v_ldexp_f32 v18, v18, v19
	s_nop 0
	v_cndmask_b32_e32 v18, 0, v18, vcc
	v_cmp_nlt_f32_e32 vcc, s95, v17
	s_nop 1
	v_cndmask_b32_e32 v17, v132, v18, vcc
	v_add_f32_e32 v17, 1.0, v17
	v_rcp_f32_e32 v17, v17
	s_nop 0
	v_fma_f32 v17, v17, -2.0, 1.0
.LBB32_391:                             ;   in Loop: Header=BB32_12 Depth=1
	s_andn2_saveexec_b64 s[14:15], s[14:15]
; %bb.392:                              ;   in Loop: Header=BB32_12 Depth=1
	v_mul_f32_e32 v17, v5, v5
	v_fmamk_f32 v18, v17, 0xbbbac73d, v227
	v_fmaak_f32 v18, v17, v18, 0xbd5c1c4e
	v_fmaak_f32 v18, v17, v18, 0x3e088382
	;; [unrolled: 1-line block ×3, first 2 shown]
	v_mul_f32_e64 v18, |v5|, v18
	v_fma_f32 v17, v17, v18, |v5|
; %bb.393:                              ;   in Loop: Header=BB32_12 Depth=1
	s_or_b64 exec, exec, s[14:15]
	v_bfi_b32 v14, s96, v14, v2
	v_add_u32_e32 v2, 0x8400, v199
	v_bfi_b32 v15, s96, v15, v3
	ds_read2_b32 v[2:3], v2 offset1:1
	v_bfi_b32 v6, s96, v10, v6
	v_bfi_b32 v7, s96, v11, v7
	ds_read_b32 v10, v207 offset:33792
	v_bfi_b32 v4, s96, v16, v4
	s_waitcnt lgkmcnt(1)
	v_fma_mix_f32 v6, s3, v6, v2 op_sel_hi:[0,0,1]
	v_fma_mix_f32 v2, s3, v7, v2 op_sel:[0,0,1] op_sel_hi:[0,0,1]
	ds_read_b32 v7, v208 offset:33792
	v_bfi_b32 v9, s96, v13, v9
	v_bfi_b32 v8, s96, v12, v8
	;; [unrolled: 1-line block ×3, first 2 shown]
	v_fma_mix_f32 v8, s3, v8, v3 op_sel_hi:[0,0,1]
	v_fma_mix_f32 v3, s3, v9, v3 op_sel:[0,0,1] op_sel_hi:[0,0,1]
	s_waitcnt lgkmcnt(0)
	v_fma_mix_f32 v16, s3, v4, v7 op_sel_hi:[0,0,1]
	v_fma_mix_f32 v17, s3, v5, v7 op_sel:[0,0,1] op_sel_hi:[0,0,1]
	v_add_f32_e32 v4, 0x40051340, v6
	v_add_f32_e32 v5, 0x40051340, v2
	v_fma_mix_f32 v9, s3, v14, v10 op_sel_hi:[0,0,1]
	v_fma_mix_f32 v10, s3, v15, v10 op_sel:[0,0,1] op_sel_hi:[0,0,1]
	v_max3_f32 v4, v130, v4, v5
	v_add_f32_e32 v5, 0x40051340, v8
	v_add_f32_e32 v7, 0x40051340, v3
	v_max3_f32 v4, v4, v5, v7
	v_add_f32_e32 v5, 0x40051340, v9
	v_add_f32_e32 v7, 0x40051340, v10
	;; [unrolled: 3-line block ×3, first 2 shown]
	v_max3_f32 v4, v4, v5, v7
	v_and_b32_e32 v5, 64, v234
	v_add_u32_e32 v5, 64, v5
	v_xor_b32_e32 v7, 32, v234
	v_cmp_lt_i32_e32 vcc, v7, v5
	s_mul_i32 s11, s10, s39
	s_mul_hi_u32 s14, s10, s38
	v_cndmask_b32_e32 v7, v234, v7, vcc
	v_lshlrev_b32_e32 v59, 2, v7
	ds_bpermute_b32 v7, v59, v4
	s_add_i32 s11, s14, s11
	s_mul_i32 s10, s10, s38
	s_lshl_b64 s[10:11], s[10:11], 2
	s_waitcnt lgkmcnt(0)
	v_max_f32_e32 v7, v7, v7
	v_max_f32_e32 v4, v4, v7
	v_xor_b32_e32 v7, 16, v234
	v_cmp_lt_i32_e32 vcc, v7, v5
	s_nop 1
	v_cndmask_b32_e32 v5, v234, v7, vcc
	v_lshlrev_b32_e32 v62, 2, v5
	ds_bpermute_b32 v5, v62, v4
	s_waitcnt lgkmcnt(0)
	v_max_f32_e32 v5, v5, v5
	v_max_f32_e32 v58, v4, v5
	v_sub_f32_e32 v4, v6, v58
	v_mul_f32_e32 v5, 0x3fb8aa3b, v4
	v_fma_f32 v6, v4, s71, -v5
	v_rndne_f32_e32 v7, v5
	v_fmac_f32_e32 v6, 0x32a5705f, v4
	v_sub_f32_e32 v5, v5, v7
	v_add_f32_e32 v5, v5, v6
	v_exp_f32_e32 v5, v5
	v_cvt_i32_f32_e32 v6, v7
	v_cmp_ngt_f32_e32 vcc, s94, v4
	v_sub_f32_e32 v3, v3, v58
	v_sub_f32_e32 v18, v9, v58
	v_ldexp_f32 v5, v5, v6
	v_sub_f32_e32 v6, v2, v58
	v_mul_f32_e32 v2, 0x3fb8aa3b, v6
	v_fma_f32 v7, v6, s71, -v2
	v_rndne_f32_e32 v11, v2
	v_fmac_f32_e32 v7, 0x32a5705f, v6
	v_sub_f32_e32 v2, v2, v11
	v_add_f32_e32 v2, v2, v7
	v_exp_f32_e32 v7, v2
	v_cvt_i32_f32_e32 v11, v11
	v_cndmask_b32_e32 v2, 0, v5, vcc
	v_sub_f32_e32 v5, v8, v58
	v_cmp_nlt_f32_e32 vcc, s95, v4
	v_ldexp_f32 v4, v7, v11
	v_mul_f32_e32 v7, 0x3fb8aa3b, v5
	v_fma_f32 v8, v5, s71, -v7
	v_rndne_f32_e32 v11, v7
	v_fmac_f32_e32 v8, 0x32a5705f, v5
	v_sub_f32_e32 v7, v7, v11
	v_add_f32_e32 v7, v7, v8
	v_exp_f32_e32 v7, v7
	v_cvt_i32_f32_e32 v8, v11
	v_cndmask_b32_e32 v2, v132, v2, vcc
	v_cmp_ngt_f32_e32 vcc, s94, v6
	v_sub_f32_e32 v23, v10, v58
	v_sub_f32_e32 v17, v17, v58
	v_cndmask_b32_e32 v4, 0, v4, vcc
	v_cmp_nlt_f32_e32 vcc, s95, v6
	v_ldexp_f32 v6, v7, v8
	v_mul_f32_e32 v7, 0x3fb8aa3b, v3
	v_fma_f32 v8, v3, s71, -v7
	v_rndne_f32_e32 v11, v7
	v_fmac_f32_e32 v8, 0x32a5705f, v3
	v_sub_f32_e32 v7, v7, v11
	v_add_f32_e32 v7, v7, v8
	v_exp_f32_e32 v7, v7
	v_cvt_i32_f32_e32 v8, v11
	v_cndmask_b32_e32 v20, v132, v4, vcc
	v_cmp_ngt_f32_e32 vcc, s94, v5
	v_add_f32_e32 v4, v2, v20
	s_nop 0
	v_cndmask_b32_e32 v6, 0, v6, vcc
	v_cmp_nlt_f32_e32 vcc, s95, v5
	v_ldexp_f32 v5, v7, v8
	s_nop 0
	v_cndmask_b32_e32 v21, v132, v6, vcc
	v_mul_f32_e32 v6, 0x3fb8aa3b, v18
	v_fma_f32 v7, v18, s71, -v6
	v_rndne_f32_e32 v8, v6
	v_fmac_f32_e32 v7, 0x32a5705f, v18
	v_sub_f32_e32 v6, v6, v8
	v_add_f32_e32 v6, v6, v7
	v_exp_f32_e32 v6, v6
	v_cvt_i32_f32_e32 v7, v8
	v_cmp_ngt_f32_e32 vcc, s94, v3
	v_add_f32_e32 v4, v21, v4
	s_nop 0
	v_cndmask_b32_e32 v5, 0, v5, vcc
	v_cmp_nlt_f32_e32 vcc, s95, v3
	s_nop 1
	v_cndmask_b32_e32 v3, v132, v5, vcc
	v_add_f32_e32 v19, v3, v4
	v_ldexp_f32 v4, v6, v7
	v_cmp_ngt_f32_e32 vcc, s94, v18
	v_cvt_pk_f16_f32 v61, v21, v3
	s_nop 0
	v_cndmask_b32_e32 v22, 0, v4, vcc
	v_mul_f32_e32 v4, 0x3fb8aa3b, v23
	v_fma_f32 v5, v23, s71, -v4
	v_rndne_f32_e32 v24, v4
	v_fmac_f32_e32 v5, 0x32a5705f, v23
	v_sub_f32_e32 v4, v4, v24
	v_add_f32_e32 v4, v4, v5
	v_exp_f32_e32 v25, v4
	v_lshl_add_u64 v[4:5], v[166:167], 0, s[10:11]
	v_lshl_add_u64 v[6:7], v[110:111], 2, v[4:5]
	;; [unrolled: 1-line block ×9, first 2 shown]
	global_load_dwordx4 v[4:7], v[6:7], off
	s_nop 0
	global_load_dwordx4 v[8:11], v[8:9], off
	s_nop 0
	global_load_dwordx4 v[36:39], v[12:13], off
	global_load_dwordx4 v[166:169], v[14:15], off
	v_cmp_nlt_f32_e32 vcc, s95, v18
	v_sub_f32_e32 v15, v16, v58
	v_mul_f32_e32 v16, 0x3fb8aa3b, v15
	v_cndmask_b32_e32 v13, v132, v22, vcc
	v_add_f32_e32 v14, v13, v19
	v_fma_f32 v18, v15, s71, -v16
	v_rndne_f32_e32 v19, v16
	v_fmac_f32_e32 v18, 0x32a5705f, v15
	v_sub_f32_e32 v16, v16, v19
	v_add_f32_e32 v16, v16, v18
	v_exp_f32_e32 v16, v16
	v_cvt_i32_f32_e32 v18, v19
	v_cvt_i32_f32_e32 v12, v24
	v_cmp_ngt_f32_e32 vcc, s94, v23
	s_waitcnt vmcnt(3)
	ds_write_b128 v197, v[4:7]
	s_waitcnt vmcnt(2)
	ds_write_b128 v236, v[8:11]
	;; [unrolled: 2-line block ×4, first 2 shown]
	v_ldexp_f32 v16, v16, v18
	v_mul_f32_e32 v18, 0x3fb8aa3b, v17
	v_fma_f32 v19, v17, s71, -v18
	v_rndne_f32_e32 v22, v18
	v_fmac_f32_e32 v19, 0x32a5705f, v17
	v_sub_f32_e32 v18, v18, v22
	v_ldexp_f32 v12, v25, v12
	v_add_f32_e32 v18, v18, v19
	v_cndmask_b32_e32 v12, 0, v12, vcc
	v_cmp_nlt_f32_e32 vcc, s95, v23
	v_exp_f32_e32 v18, v18
	v_cvt_i32_f32_e32 v19, v22
	v_cndmask_b32_e32 v12, v132, v12, vcc
	v_cmp_ngt_f32_e32 vcc, s94, v15
	s_waitcnt lgkmcnt(0)
	s_barrier
	v_cndmask_b32_e32 v16, 0, v16, vcc
	v_cmp_nlt_f32_e32 vcc, s95, v15
	v_ldexp_f32 v15, v18, v19
	s_nop 0
	v_cndmask_b32_e32 v24, v132, v16, vcc
	v_sub_f32_e32 v16, v130, v58
	v_mul_f32_e32 v18, 0x3fb8aa3b, v16
	v_fma_f32 v19, v16, s71, -v18
	v_rndne_f32_e32 v22, v18
	v_fmac_f32_e32 v19, 0x32a5705f, v16
	v_sub_f32_e32 v18, v18, v22
	v_add_f32_e32 v18, v18, v19
	v_exp_f32_e32 v18, v18
	v_cvt_i32_f32_e32 v19, v22
	v_cmp_ngt_f32_e32 vcc, s94, v17
	v_cmp_ngt_f32_e64 s[10:11], s94, v16
	ds_read_u16 v7, v200 offset:528
	ds_read_u16 v8, v200 offset:1056
	ds_read_u16 v9, v201
	ds_read_u16 v10, v200
	v_cndmask_b32_e32 v15, 0, v15, vcc
	v_cmp_nlt_f32_e32 vcc, s95, v17
	v_ldexp_f32 v17, v18, v19
	v_cndmask_b32_e64 v17, 0, v17, s[10:11]
	v_cmp_nlt_f32_e64 s[10:11], s95, v16
	v_add_f32_e32 v14, v12, v14
	v_add_f32_e32 v14, v24, v14
	v_cndmask_b32_e64 v17, v132, v17, s[10:11]
	v_cmp_le_f32_e64 s[10:11], s97, v16
	v_cndmask_b32_e32 v25, v132, v15, vcc
	v_add_f32_e32 v63, v25, v14
	v_cndmask_b32_e64 v16, 0, v17, s[10:11]
	v_cvt_f16_f32_e32 v17, v16
	s_waitcnt lgkmcnt(1)
	v_perm_b32 v9, v9, v8, s98
	s_waitcnt lgkmcnt(0)
	v_perm_b32 v8, v7, v10, s98
	ds_read_u16 v10, v201 offset:32
	v_mul_u32_u24_e32 v14, 0x10001, v17
	v_pk_mul_f16 v17, v49, v14
	v_pk_mul_f16 v28, v48, v14
	v_cvt_f32_f16_e32 v4, v17
	v_cvt_f32_f16_sdwa v5, v17 dst_sel:DWORD dst_unused:UNUSED_PAD src0_sel:WORD_1
	v_cvt_f32_f16_e32 v6, v28
	v_cvt_f32_f16_sdwa v7, v28 dst_sel:DWORD dst_unused:UNUSED_PAD src0_sel:WORD_1
	v_pk_mul_f16 v26, v60, v14
	v_cvt_pk_f16_f32 v60, v2, v20
	v_cvt_pk_f16_f32 v56, v13, v12
	v_pk_mul_f16 v29, v45, v14
	v_mfma_f32_16x16x16_f16 v[2:5], v[8:9], v[60:61], v[4:7]
	s_nop 2
	ds_read_u16 v6, v200 offset:16896
	ds_read_u16 v7, v200 offset:17952
	;; [unrolled: 1-line block ×4, first 2 shown]
	v_pk_mul_f16 v32, v44, v14
	v_cvt_pk_f16_f32 v57, v24, v25
	v_cvt_f16_f32_e32 v2, v2
	v_cvt_f16_f32_e32 v3, v3
	;; [unrolled: 1-line block ×4, first 2 shown]
	s_waitcnt lgkmcnt(0)
	v_perm_b32 v6, v9, v6, s98
	ds_read_u16 v9, v200 offset:32
	ds_read_u16 v11, v200 offset:1088
	;; [unrolled: 1-line block ×3, first 2 shown]
	v_perm_b32 v7, v8, v7, s98
	v_cvt_f32_f16_e32 v2, v2
	v_cvt_f32_f16_e32 v3, v3
	;; [unrolled: 1-line block ×4, first 2 shown]
	s_waitcnt lgkmcnt(1)
	v_perm_b32 v11, v10, v11, s98
	s_waitcnt lgkmcnt(0)
	v_perm_b32 v10, v12, v9, s98
	v_mfma_f32_16x16x16_f16 v[2:5], v[6:7], v[56:57], v[2:5]
	v_cvt_f32_f16_e32 v6, v29
	v_cvt_f32_f16_sdwa v7, v29 dst_sel:DWORD dst_unused:UNUSED_PAD src0_sel:WORD_1
	v_cvt_f32_f16_e32 v8, v32
	v_cvt_f32_f16_sdwa v9, v32 dst_sel:DWORD dst_unused:UNUSED_PAD src0_sel:WORD_1
	v_pk_mul_f16 v33, v43, v14
	v_pk_mul_f16 v40, v42, v14
	v_mfma_f32_16x16x16_f16 v[6:9], v[10:11], v[60:61], v[6:9]
	ds_read_u16 v10, v200 offset:16928
	ds_read_u16 v11, v200 offset:17984
	;; [unrolled: 1-line block ×4, first 2 shown]
	v_fmac_f32_e32 v63, v226, v16
	v_pk_mul_f16 v16, v47, v14
	s_nop 1
	v_cvt_f16_f32_e32 v6, v6
	v_cvt_f16_f32_e32 v7, v7
	;; [unrolled: 1-line block ×4, first 2 shown]
	s_waitcnt lgkmcnt(0)
	v_perm_b32 v10, v13, v10, s98
	ds_read_u16 v13, v200 offset:64
	ds_read_u16 v17, v200 offset:1120
	;; [unrolled: 1-line block ×4, first 2 shown]
	v_perm_b32 v11, v12, v11, s98
	v_cvt_f32_f16_e32 v6, v6
	v_cvt_f32_f16_e32 v7, v7
	;; [unrolled: 1-line block ×4, first 2 shown]
	s_waitcnt lgkmcnt(1)
	v_perm_b32 v21, v20, v17, s98
	s_waitcnt lgkmcnt(0)
	v_perm_b32 v20, v24, v13, s98
	v_mfma_f32_16x16x16_f16 v[6:9], v[10:11], v[56:57], v[6:9]
	v_cvt_f32_f16_e32 v10, v33
	v_cvt_f32_f16_sdwa v11, v33 dst_sel:DWORD dst_unused:UNUSED_PAD src0_sel:WORD_1
	v_cvt_f32_f16_e32 v12, v40
	v_cvt_f32_f16_sdwa v13, v40 dst_sel:DWORD dst_unused:UNUSED_PAD src0_sel:WORD_1
	v_pk_mul_f16 v15, v46, v14
	v_pk_mul_f16 v27, v65, v14
	v_mfma_f32_16x16x16_f16 v[10:13], v[20:21], v[60:61], v[10:13]
	ds_read_u16 v17, v200 offset:16960
	ds_read_u16 v20, v200 offset:18016
	;; [unrolled: 1-line block ×4, first 2 shown]
	v_pk_mul_f16 v30, v64, v14
	v_cvt_f32_f16_e32 v64, v16
	s_nop 1
	v_cvt_f16_f32_e32 v10, v10
	v_cvt_f16_f32_e32 v11, v11
	;; [unrolled: 1-line block ×4, first 2 shown]
	s_waitcnt lgkmcnt(1)
	v_perm_b32 v21, v21, v20, s98
	s_waitcnt lgkmcnt(0)
	v_perm_b32 v20, v24, v17, s98
	v_cvt_f32_f16_e32 v10, v10
	v_cvt_f32_f16_e32 v11, v11
	;; [unrolled: 1-line block ×4, first 2 shown]
	v_cvt_f32_f16_sdwa v65, v16 dst_sel:DWORD dst_unused:UNUSED_PAD src0_sel:WORD_1
	v_pk_mul_f16 v34, v67, v14
	v_mfma_f32_16x16x16_f16 v[10:13], v[20:21], v[56:57], v[10:13]
	ds_read_u16 v20, v200 offset:96
	ds_read_u16 v17, v200 offset:1152
	ds_read_u16 v21, v201 offset:96
	ds_read_u16 v24, v200 offset:624
	v_pk_mul_f16 v35, v66, v14
	v_cvt_f32_f16_e32 v66, v15
	v_cvt_f32_f16_sdwa v67, v15 dst_sel:DWORD dst_unused:UNUSED_PAD src0_sel:WORD_1
	s_waitcnt lgkmcnt(1)
	v_perm_b32 v17, v21, v17, s98
	s_waitcnt lgkmcnt(0)
	v_perm_b32 v16, v24, v20, s98
	v_pk_mul_f16 v19, v51, v14
	v_pk_mul_f16 v18, v50, v14
	;; [unrolled: 1-line block ×19, first 2 shown]
	v_mfma_f32_16x16x16_f16 v[14:17], v[16:17], v[60:61], v[64:67]
	ds_read_u16 v20, v200 offset:16992
	ds_read_u16 v21, v200 offset:18048
	;; [unrolled: 1-line block ×4, first 2 shown]
	v_cvt_f32_f16_e32 v70, v19
	v_cvt_f32_f16_sdwa v71, v19 dst_sel:DWORD dst_unused:UNUSED_PAD src0_sel:WORD_1
	s_nop 1
	v_cvt_f16_f32_e32 v14, v14
	v_cvt_f16_f32_e32 v15, v15
	;; [unrolled: 1-line block ×4, first 2 shown]
	s_waitcnt lgkmcnt(1)
	v_perm_b32 v21, v24, v21, s98
	s_waitcnt lgkmcnt(0)
	v_perm_b32 v20, v25, v20, s98
	v_cvt_f32_f16_e32 v14, v14
	v_cvt_f32_f16_e32 v15, v15
	;; [unrolled: 1-line block ×4, first 2 shown]
	v_cvt_f16_f32_e32 v24, v4
	v_cvt_f16_f32_e32 v25, v5
	v_mfma_f32_16x16x16_f16 v[14:17], v[20:21], v[56:57], v[14:17]
	ds_read_u16 v4, v200 offset:128
	ds_read_u16 v5, v200 offset:1184
	ds_read_u16 v20, v201 offset:128
	ds_read_u16 v21, v200 offset:656
	v_cvt_f32_f16_e32 v72, v18
	v_cvt_f32_f16_sdwa v73, v18 dst_sel:DWORD dst_unused:UNUSED_PAD src0_sel:WORD_1
	v_perm_b32 v64, v25, v24, s98
	s_waitcnt lgkmcnt(1)
	v_perm_b32 v5, v20, v5, s98
	s_waitcnt lgkmcnt(0)
	v_perm_b32 v4, v21, v4, s98
	ds_read_u16 v24, v200 offset:17024
	ds_read_u16 v25, v200 offset:18080
	;; [unrolled: 1-line block ×4, first 2 shown]
	v_mfma_f32_16x16x16_f16 v[18:21], v[4:5], v[60:61], v[70:73]
	s_nop 2
	v_cvt_f32_f16_e32 v72, v23
	v_cvt_f32_f16_sdwa v73, v23 dst_sel:DWORD dst_unused:UNUSED_PAD src0_sel:WORD_1
	v_cvt_f32_f16_e32 v74, v22
	s_nop 1
	v_cvt_f16_f32_e32 v4, v18
	v_cvt_f16_f32_e32 v5, v19
	;; [unrolled: 1-line block ×4, first 2 shown]
	v_cvt_f32_f16_e32 v18, v4
	v_cvt_f32_f16_e32 v19, v5
	s_waitcnt lgkmcnt(1)
	v_perm_b32 v5, v28, v25, s98
	s_waitcnt lgkmcnt(0)
	v_perm_b32 v4, v29, v24, s98
	v_cvt_f32_f16_e32 v20, v20
	v_cvt_f32_f16_e32 v21, v21
	v_cvt_f32_f16_sdwa v75, v22 dst_sel:DWORD dst_unused:UNUSED_PAD src0_sel:WORD_1
	v_cvt_f16_f32_e32 v8, v8
	v_mfma_f32_16x16x16_f16 v[18:21], v[4:5], v[56:57], v[18:21]
	ds_read_u16 v4, v200 offset:160
	ds_read_u16 v5, v200 offset:1216
	ds_read_u16 v24, v201 offset:160
	ds_read_u16 v25, v200 offset:688
	v_cvt_f16_f32_e32 v9, v9
	v_cvt_f32_f16_e32 v80, v27
	v_cvt_f32_f16_sdwa v81, v27 dst_sel:DWORD dst_unused:UNUSED_PAD src0_sel:WORD_1
	s_waitcnt lgkmcnt(1)
	v_perm_b32 v5, v24, v5, s98
	s_waitcnt lgkmcnt(0)
	v_perm_b32 v4, v25, v4, s98
	v_perm_b32 v65, v9, v8, s98
	v_cvt_f16_f32_e32 v9, v13
	v_mfma_f32_16x16x16_f16 v[22:25], v[4:5], v[60:61], v[72:75]
	v_cvt_f16_f32_e32 v8, v12
	v_cvt_f32_f16_e32 v82, v26
	v_cvt_f32_f16_sdwa v83, v26 dst_sel:DWORD dst_unused:UNUSED_PAD src0_sel:WORD_1
	s_nop 4
	v_cvt_f16_f32_e32 v13, v25
	ds_read_u16 v25, v200 offset:17056
	ds_read_u16 v28, v200 offset:18112
	;; [unrolled: 1-line block ×4, first 2 shown]
	v_cvt_f16_f32_e32 v4, v22
	v_cvt_f16_f32_e32 v5, v23
	;; [unrolled: 1-line block ×3, first 2 shown]
	v_perm_b32 v66, v9, v8, s98
	v_cvt_f32_f16_e32 v22, v4
	v_cvt_f32_f16_e32 v23, v5
	s_waitcnt lgkmcnt(1)
	v_perm_b32 v5, v29, v28, s98
	s_waitcnt lgkmcnt(0)
	v_perm_b32 v4, v32, v25, s98
	v_cvt_f32_f16_e32 v24, v12
	v_cvt_f32_f16_e32 v25, v13
	;; [unrolled: 1-line block ×3, first 2 shown]
	v_cvt_f32_f16_sdwa v87, v34 dst_sel:DWORD dst_unused:UNUSED_PAD src0_sel:WORD_1
	v_mfma_f32_16x16x16_f16 v[22:25], v[4:5], v[56:57], v[22:25]
	ds_read_u16 v4, v200 offset:192
	ds_read_u16 v5, v200 offset:1248
	;; [unrolled: 1-line block ×4, first 2 shown]
	v_cvt_f32_f16_e32 v88, v35
	v_cvt_f32_f16_sdwa v89, v35 dst_sel:DWORD dst_unused:UNUSED_PAD src0_sel:WORD_1
	v_cvt_f32_f16_e32 v90, v38
	s_waitcnt lgkmcnt(1)
	v_perm_b32 v5, v8, v5, s98
	s_waitcnt lgkmcnt(0)
	v_perm_b32 v4, v9, v4, s98
	v_cvt_f16_f32_e32 v8, v16
	v_cvt_f16_f32_e32 v9, v17
	v_mfma_f32_16x16x16_f16 v[26:29], v[4:5], v[60:61], v[80:83]
	v_cvt_f32_f16_sdwa v91, v38 dst_sel:DWORD dst_unused:UNUSED_PAD src0_sel:WORD_1
	s_nop 1
	v_cvt_f32_f16_e32 v80, v31
	v_cvt_f32_f16_sdwa v81, v31 dst_sel:DWORD dst_unused:UNUSED_PAD src0_sel:WORD_1
	s_nop 2
	v_cvt_f16_f32_e32 v13, v29
	ds_read_u16 v16, v200 offset:17088
	ds_read_u16 v17, v200 offset:18144
	ds_read_u16 v29, v201 offset:17088
	ds_read_u16 v32, v200 offset:17616
	v_cvt_f16_f32_e32 v4, v26
	v_cvt_f16_f32_e32 v5, v27
	;; [unrolled: 1-line block ×3, first 2 shown]
	v_cvt_f32_f16_e32 v82, v30
	v_cvt_f32_f16_e32 v26, v4
	;; [unrolled: 1-line block ×3, first 2 shown]
	s_waitcnt lgkmcnt(1)
	v_perm_b32 v5, v29, v17, s98
	s_waitcnt lgkmcnt(0)
	v_perm_b32 v4, v32, v16, s98
	v_cvt_f32_f16_e32 v28, v12
	v_cvt_f32_f16_e32 v29, v13
	v_perm_b32 v16, v9, v8, s98
	v_cvt_f32_f16_sdwa v83, v30 dst_sel:DWORD dst_unused:UNUSED_PAD src0_sel:WORD_1
	v_mfma_f32_16x16x16_f16 v[26:29], v[4:5], v[56:57], v[26:29]
	ds_read_u16 v4, v200 offset:224
	ds_read_u16 v5, v200 offset:1280
	;; [unrolled: 1-line block ×4, first 2 shown]
	v_cvt_f32_f16_e32 v92, v42
	v_cvt_f32_f16_sdwa v93, v42 dst_sel:DWORD dst_unused:UNUSED_PAD src0_sel:WORD_1
	v_cvt_f16_f32_e32 v67, v2
	s_waitcnt lgkmcnt(1)
	v_perm_b32 v9, v8, v5, s98
	s_waitcnt lgkmcnt(0)
	v_perm_b32 v8, v12, v4, s98
	v_cvt_f16_f32_e32 v4, v20
	v_cvt_f16_f32_e32 v5, v21
	v_mfma_f32_16x16x16_f16 v[30:33], v[8:9], v[60:61], v[80:83]
	v_perm_b32 v79, v5, v4, s98
	v_cvt_f16_f32_e32 v68, v3
	v_cvt_f16_f32_e32 v69, v6
	s_nop 4
	v_cvt_f16_f32_e32 v12, v30
	ds_read_u16 v9, v200 offset:17120
	ds_read_u16 v20, v200 offset:18176
	;; [unrolled: 1-line block ×4, first 2 shown]
	v_cvt_f16_f32_e32 v13, v31
	v_cvt_f16_f32_e32 v17, v32
	;; [unrolled: 1-line block ×3, first 2 shown]
	v_cvt_f32_f16_e32 v80, v12
	v_cvt_f32_f16_e32 v81, v13
	s_waitcnt lgkmcnt(1)
	v_perm_b32 v13, v21, v20, s98
	s_waitcnt lgkmcnt(0)
	v_perm_b32 v12, v30, v9, s98
	v_cvt_f32_f16_e32 v82, v17
	v_cvt_f32_f16_e32 v83, v8
	v_cvt_f16_f32_e32 v8, v24
	v_cvt_f16_f32_e32 v9, v25
	v_mfma_f32_16x16x16_f16 v[30:33], v[12:13], v[56:57], v[80:83]
	ds_read_u16 v4, v200 offset:256
	ds_read_u16 v5, v200 offset:1312
	;; [unrolled: 1-line block ×4, first 2 shown]
	v_perm_b32 v80, v9, v8, s98
	v_cvt_f16_f32_e32 v70, v7
	v_cvt_f16_f32_e32 v71, v10
	s_waitcnt lgkmcnt(1)
	v_perm_b32 v5, v12, v5, s98
	s_waitcnt lgkmcnt(0)
	v_perm_b32 v4, v13, v4, s98
	ds_read_u16 v12, v200 offset:17152
	ds_read_u16 v13, v200 offset:18208
	ds_read_u16 v17, v201 offset:17152
	ds_read_u16 v20, v200 offset:17680
	v_mfma_f32_16x16x16_f16 v[34:37], v[4:5], v[60:61], v[86:89]
	s_nop 2
	v_cvt_f32_f16_e32 v88, v39
	v_cvt_f32_f16_sdwa v89, v39 dst_sel:DWORD dst_unused:UNUSED_PAD src0_sel:WORD_1
	v_cvt_f16_f32_e32 v72, v11
	s_nop 1
	v_cvt_f16_f32_e32 v4, v34
	v_cvt_f16_f32_e32 v5, v35
	v_cvt_f16_f32_e32 v8, v36
	v_cvt_f16_f32_e32 v9, v37
	v_cvt_f32_f16_e32 v34, v4
	v_cvt_f32_f16_e32 v35, v5
	s_waitcnt lgkmcnt(1)
	v_perm_b32 v5, v17, v13, s98
	s_waitcnt lgkmcnt(0)
	v_perm_b32 v4, v20, v12, s98
	v_cvt_f32_f16_e32 v36, v8
	v_cvt_f32_f16_e32 v37, v9
	v_cvt_f16_f32_e32 v8, v28
	v_cvt_f16_f32_e32 v9, v29
	v_mfma_f32_16x16x16_f16 v[34:37], v[4:5], v[56:57], v[34:37]
	ds_read_u16 v4, v200 offset:288
	ds_read_u16 v5, v200 offset:1344
	;; [unrolled: 1-line block ×4, first 2 shown]
	v_perm_b32 v81, v9, v8, s98
	v_cvt_f16_f32_e32 v73, v14
	v_cvt_f16_f32_e32 v74, v15
	s_waitcnt lgkmcnt(1)
	v_perm_b32 v5, v12, v5, s98
	s_waitcnt lgkmcnt(0)
	v_perm_b32 v4, v13, v4, s98
	ds_read_u16 v12, v200 offset:17184
	ds_read_u16 v13, v200 offset:18240
	;; [unrolled: 1-line block ×4, first 2 shown]
	v_mfma_f32_16x16x16_f16 v[38:41], v[4:5], v[60:61], v[88:91]
	s_nop 2
	v_cvt_f32_f16_e32 v90, v43
	v_cvt_f32_f16_sdwa v91, v43 dst_sel:DWORD dst_unused:UNUSED_PAD src0_sel:WORD_1
	v_cvt_f16_f32_e32 v75, v18
	s_nop 1
	v_cvt_f16_f32_e32 v4, v38
	v_cvt_f16_f32_e32 v5, v39
	;; [unrolled: 1-line block ×4, first 2 shown]
	v_cvt_f32_f16_e32 v38, v4
	v_cvt_f32_f16_e32 v39, v5
	s_waitcnt lgkmcnt(1)
	v_perm_b32 v5, v17, v13, s98
	s_waitcnt lgkmcnt(0)
	v_perm_b32 v4, v20, v12, s98
	v_cvt_f32_f16_e32 v40, v8
	v_cvt_f32_f16_e32 v41, v9
	v_cvt_f16_f32_e32 v8, v32
	v_cvt_f16_f32_e32 v9, v33
	v_mfma_f32_16x16x16_f16 v[38:41], v[4:5], v[56:57], v[38:41]
	ds_read_u16 v4, v200 offset:320
	ds_read_u16 v5, v200 offset:1376
	;; [unrolled: 1-line block ×4, first 2 shown]
	v_perm_b32 v82, v9, v8, s98
	ds_read_u16 v20, v200 offset:17216
	ds_read_u16 v9, v200 offset:18272
	;; [unrolled: 1-line block ×4, first 2 shown]
	v_cvt_f16_f32_e32 v76, v19
	s_waitcnt lgkmcnt(5)
	v_perm_b32 v5, v12, v5, s98
	s_waitcnt lgkmcnt(4)
	v_perm_b32 v4, v13, v4, s98
	;; [unrolled: 2-line block ×3, first 2 shown]
	v_cvt_f16_f32_e32 v12, v36
	v_mfma_f32_16x16x16_f16 v[42:45], v[4:5], v[60:61], v[90:93]
	v_cvt_f16_f32_e32 v13, v37
	s_nop 1
	v_cvt_f32_f16_e32 v90, v46
	v_cvt_f32_f16_sdwa v91, v46 dst_sel:DWORD dst_unused:UNUSED_PAD src0_sel:WORD_1
	s_nop 2
	v_cvt_f16_f32_e32 v8, v44
	v_cvt_f16_f32_e32 v4, v42
	;; [unrolled: 1-line block ×4, first 2 shown]
	v_cvt_f32_f16_e32 v44, v8
	s_waitcnt lgkmcnt(0)
	v_perm_b32 v8, v24, v20, s98
	v_cvt_f32_f16_e32 v42, v4
	v_cvt_f32_f16_e32 v43, v5
	;; [unrolled: 1-line block ×3, first 2 shown]
	v_perm_b32 v4, v13, v12, s98
	v_cvt_f32_f16_e32 v92, v47
	v_mfma_f32_16x16x16_f16 v[42:45], v[8:9], v[56:57], v[42:45]
	ds_read_u16 v5, v200 offset:352
	ds_read_u16 v8, v200 offset:1408
	;; [unrolled: 1-line block ×4, first 2 shown]
	v_cvt_f32_f16_sdwa v93, v47 dst_sel:DWORD dst_unused:UNUSED_PAD src0_sel:WORD_1
	ds_read_u16 v20, v200 offset:17248
	ds_read_u16 v21, v200 offset:18304
	;; [unrolled: 1-line block ×4, first 2 shown]
	v_cvt_f16_f32_e32 v83, v22
	s_waitcnt lgkmcnt(5)
	v_perm_b32 v9, v9, v8, s98
	s_waitcnt lgkmcnt(4)
	v_perm_b32 v8, v12, v5, s98
	v_cvt_f16_f32_e32 v5, v40
	v_cvt_f16_f32_e32 v12, v41
	v_mfma_f32_16x16x16_f16 v[46:49], v[8:9], v[60:61], v[90:93]
	v_perm_b32 v5, v12, v5, s98
	s_nop 1
	v_cvt_f32_f16_e32 v90, v51
	v_cvt_f32_f16_sdwa v91, v51 dst_sel:DWORD dst_unused:UNUSED_PAD src0_sel:WORD_1
	s_nop 2
	v_cvt_f16_f32_e32 v8, v46
	v_cvt_f16_f32_e32 v9, v47
	;; [unrolled: 1-line block ×4, first 2 shown]
	v_cvt_f32_f16_e32 v46, v8
	v_cvt_f32_f16_e32 v47, v9
	s_waitcnt lgkmcnt(1)
	v_perm_b32 v9, v24, v21, s98
	s_waitcnt lgkmcnt(0)
	v_perm_b32 v8, v25, v20, s98
	v_cvt_f32_f16_e32 v48, v13
	v_cvt_f32_f16_e32 v49, v17
	;; [unrolled: 1-line block ×3, first 2 shown]
	v_cvt_f32_f16_sdwa v93, v50 dst_sel:DWORD dst_unused:UNUSED_PAD src0_sel:WORD_1
	v_mfma_f32_16x16x16_f16 v[46:49], v[8:9], v[56:57], v[46:49]
	ds_read_u16 v8, v200 offset:384
	ds_read_u16 v9, v200 offset:1440
	;; [unrolled: 1-line block ×4, first 2 shown]
	v_cvt_f16_f32_e32 v17, v44
	v_cvt_f16_f32_e32 v20, v45
	;; [unrolled: 1-line block ×3, first 2 shown]
	s_waitcnt lgkmcnt(1)
	v_perm_b32 v9, v12, v9, s98
	s_waitcnt lgkmcnt(0)
	v_perm_b32 v8, v13, v8, s98
	ds_read_u16 v24, v200 offset:17280
	ds_read_u16 v13, v200 offset:18336
	;; [unrolled: 1-line block ×4, first 2 shown]
	v_mfma_f32_16x16x16_f16 v[90:93], v[8:9], v[60:61], v[90:93]
	s_waitcnt lgkmcnt(1)
	v_perm_b32 v13, v25, v13, s98
	v_cvt_f16_f32_e32 v85, v26
	v_cvt_f16_f32_e32 v86, v27
	s_nop 3
	v_cvt_f16_f32_e32 v12, v92
	v_cvt_f16_f32_e32 v8, v90
	;; [unrolled: 1-line block ×4, first 2 shown]
	v_cvt_f32_f16_e32 v92, v12
	s_waitcnt lgkmcnt(0)
	v_perm_b32 v12, v28, v24, s98
	v_cvt_f32_f16_e32 v90, v8
	v_cvt_f32_f16_e32 v91, v9
	;; [unrolled: 1-line block ×3, first 2 shown]
	v_perm_b32 v8, v20, v17, s98
	v_cvt_f16_f32_e32 v9, v48
	v_cvt_f16_f32_e32 v17, v49
	v_mfma_f32_16x16x16_f16 v[48:51], v[12:13], v[56:57], v[90:93]
	ds_read_u16 v12, v200 offset:416
	ds_read_u16 v13, v200 offset:1472
	;; [unrolled: 1-line block ×4, first 2 shown]
	v_cvt_f32_f16_e32 v90, v53
	v_cvt_f32_f16_sdwa v91, v53 dst_sel:DWORD dst_unused:UNUSED_PAD src0_sel:WORD_1
	v_cvt_f32_f16_e32 v92, v52
	s_waitcnt lgkmcnt(1)
	v_perm_b32 v13, v20, v13, s98
	s_waitcnt lgkmcnt(0)
	v_perm_b32 v12, v21, v12, s98
	v_cvt_f32_f16_sdwa v93, v52 dst_sel:DWORD dst_unused:UNUSED_PAD src0_sel:WORD_1
	ds_read_u16 v21, v200 offset:17312
	ds_read_u16 v24, v200 offset:18368
	;; [unrolled: 1-line block ×4, first 2 shown]
	v_mfma_f32_16x16x16_f16 v[90:93], v[12:13], v[60:61], v[90:93]
	v_perm_b32 v9, v17, v9, s98
	v_cvt_f16_f32_e32 v87, v30
	v_cvt_f16_f32_e32 v88, v31
	s_nop 4
	v_cvt_f16_f32_e32 v12, v90
	v_cvt_f16_f32_e32 v13, v91
	;; [unrolled: 1-line block ×4, first 2 shown]
	v_cvt_f32_f16_e32 v90, v12
	v_cvt_f32_f16_e32 v91, v13
	s_waitcnt lgkmcnt(1)
	v_perm_b32 v13, v25, v24, s98
	s_waitcnt lgkmcnt(0)
	v_perm_b32 v12, v28, v21, s98
	v_cvt_f32_f16_e32 v92, v17
	v_cvt_f32_f16_e32 v93, v20
	v_cvt_f16_f32_e32 v17, v50
	v_cvt_f16_f32_e32 v24, v51
	v_mfma_f32_16x16x16_f16 v[50:53], v[12:13], v[56:57], v[90:93]
	ds_read_u16 v12, v200 offset:448
	ds_read_u16 v13, v200 offset:1504
	;; [unrolled: 1-line block ×4, first 2 shown]
	v_cvt_f32_f16_e32 v90, v54
	v_cvt_f32_f16_sdwa v91, v54 dst_sel:DWORD dst_unused:UNUSED_PAD src0_sel:WORD_1
	v_cvt_f32_f16_e32 v92, v55
	s_waitcnt lgkmcnt(1)
	v_perm_b32 v21, v20, v13, s98
	s_waitcnt lgkmcnt(0)
	v_perm_b32 v20, v25, v12, s98
	v_cvt_f32_f16_sdwa v93, v55 dst_sel:DWORD dst_unused:UNUSED_PAD src0_sel:WORD_1
	v_perm_b32 v12, v24, v17, s98
	v_cvt_f16_f32_e32 v36, v34
	v_mfma_f32_16x16x16_f16 v[90:93], v[20:21], v[60:61], v[90:93]
	ds_read_u16 v54, v200 offset:17344
	ds_read_u16 v21, v200 offset:18400
	;; [unrolled: 1-line block ×4, first 2 shown]
	v_cvt_f16_f32_e32 v37, v35
	v_cvt_f16_f32_e32 v33, v38
	s_nop 1
	v_cvt_f16_f32_e32 v20, v92
	v_cvt_f16_f32_e32 v13, v90
	;; [unrolled: 1-line block ×4, first 2 shown]
	v_cvt_f32_f16_e32 v92, v20
	s_waitcnt lgkmcnt(1)
	v_perm_b32 v21, v55, v21, s98
	s_waitcnt lgkmcnt(0)
	v_perm_b32 v20, v89, v54, s98
	v_cvt_f32_f16_e32 v90, v13
	v_cvt_f32_f16_e32 v91, v17
	;; [unrolled: 1-line block ×3, first 2 shown]
	v_cvt_f16_f32_e32 v13, v52
	v_cvt_f16_f32_e32 v17, v53
	v_mfma_f32_16x16x16_f16 v[52:55], v[20:21], v[56:57], v[90:93]
	ds_read_u16 v20, v200 offset:480
	ds_read_u16 v21, v200 offset:1536
	;; [unrolled: 1-line block ×4, first 2 shown]
	v_cvt_f32_f16_e32 v90, v78
	v_cvt_f32_f16_sdwa v91, v78 dst_sel:DWORD dst_unused:UNUSED_PAD src0_sel:WORD_1
	v_cvt_f32_f16_e32 v92, v77
	s_waitcnt lgkmcnt(1)
	v_perm_b32 v167, v24, v21, s98
	s_waitcnt lgkmcnt(0)
	v_perm_b32 v166, v93, v20, s98
	v_cvt_f32_f16_sdwa v93, v77 dst_sel:DWORD dst_unused:UNUSED_PAD src0_sel:WORD_1
	v_perm_b32 v13, v17, v13, s98
	v_cvt_f16_f32_e32 v17, v54
	v_mfma_f32_16x16x16_f16 v[90:93], v[166:167], v[60:61], v[90:93]
	ds_read_u16 v24, v200 offset:17376
	ds_read_u16 v61, v200 offset:18432
	;; [unrolled: 1-line block ×4, first 2 shown]
	v_cvt_f16_f32_e32 v20, v55
	v_cvt_f16_f32_e32 v40, v39
	s_nop 1
	v_cvt_f16_f32_e32 v54, v90
	v_cvt_f16_f32_e32 v55, v91
	;; [unrolled: 1-line block ×4, first 2 shown]
	v_cvt_f32_f16_e32 v90, v54
	v_cvt_f32_f16_e32 v91, v55
	s_waitcnt lgkmcnt(1)
	v_perm_b32 v55, v77, v61, s98
	s_waitcnt lgkmcnt(0)
	v_perm_b32 v54, v78, v24, s98
	v_cvt_f32_f16_e32 v92, v60
	v_cvt_f32_f16_e32 v93, v21
	v_perm_b32 v17, v20, v17, s98
	ds_bpermute_b32 v20, v59, v63
	v_mfma_f32_16x16x16_f16 v[54:57], v[54:55], v[56:57], v[90:93]
	v_cvt_f16_f32_e32 v32, v42
	v_cvt_f16_f32_e32 v41, v43
	s_waitcnt lgkmcnt(0)
	v_add_f32_e32 v59, v63, v20
	ds_bpermute_b32 v63, v62, v59
	v_cvt_f16_f32_e32 v29, v46
	v_cvt_f16_f32_e32 v44, v47
	;; [unrolled: 1-line block ×12, first 2 shown]
	v_cmp_ne_u64_e32 vcc, 0, v[164:165]
	s_waitcnt lgkmcnt(0)
	v_add_f32_e32 v59, v59, v63
	v_perm_b32 v20, v57, v56, s98
	s_and_b64 s[14:15], s[12:13], vcc
	v_perm_b32 v21, v61, v21, s98
	v_perm_b32 v24, v60, v24, s98
	;; [unrolled: 1-line block ×16, first 2 shown]
	s_barrier
	s_and_saveexec_b64 s[10:11], s[14:15]
	s_cbranch_execz .LBB32_395
; %bb.394:                              ;   in Loop: Header=BB32_12 Depth=1
	v_lshlrev_b32_e32 v21, 2, v136
	v_readfirstlane_b32 s14, v164
	v_readfirstlane_b32 s15, v165
	v_cvt_pk_f16_f32 v24, v2, v3
	v_max_f32_e32 v2, v58, v58
	v_cvt_pk_f16_f32 v6, v6, v7
	v_cvt_pk_f16_f32 v7, v10, v11
	;; [unrolled: 1-line block ×3, first 2 shown]
	global_load_dword v21, v21, s[14:15]
	v_cvt_pk_f16_f32 v18, v30, v31
	v_cvt_pk_f16_f32 v10, v14, v15
	v_cvt_pk_f16_f32 v14, v22, v23
	v_cvt_pk_f16_f32 v15, v26, v27
	v_cvt_pk_f16_f32 v19, v34, v35
	v_cvt_pk_f16_f32 v22, v38, v39
	v_cvt_pk_f16_f32 v23, v42, v43
	v_cvt_pk_f16_f32 v25, v46, v47
	v_cvt_pk_f16_f32 v26, v48, v49
	v_cvt_pk_f16_f32 v27, v50, v51
	v_cvt_pk_f16_f32 v34, v54, v55
	s_waitcnt vmcnt(0)
	v_max_f32_e32 v3, v21, v21
	v_max_f32_e32 v2, v2, v3
	v_sub_f32_e32 v3, v58, v2
	v_sub_f32_e32 v21, v21, v2
	v_mul_f32_e32 v28, 0x3fb8aa3b, v3
	v_mul_f32_e32 v29, 0x3fb8aa3b, v21
	v_fma_f32 v30, v3, s71, -v28
	v_rndne_f32_e32 v31, v28
	v_fma_f32 v32, v21, s71, -v29
	v_rndne_f32_e32 v33, v29
	v_fmac_f32_e32 v30, 0x32a5705f, v3
	v_sub_f32_e32 v28, v28, v31
	v_fmac_f32_e32 v32, 0x32a5705f, v21
	v_sub_f32_e32 v29, v29, v33
	v_add_f32_e32 v28, v28, v30
	v_cvt_i32_f32_e32 v31, v31
	v_add_f32_e32 v29, v29, v32
	v_exp_f32_e32 v28, v28
	v_cvt_i32_f32_e32 v33, v33
	v_exp_f32_e32 v29, v29
	v_cmp_ngt_f32_e32 vcc, s94, v3
	v_ldexp_f32 v28, v28, v31
	v_cvt_pk_f16_f32 v30, v52, v53
	v_ldexp_f32 v29, v29, v33
	v_cndmask_b32_e32 v28, 0, v28, vcc
	v_cmp_ngt_f32_e32 vcc, s94, v21
	s_nop 1
	v_cndmask_b32_e32 v29, 0, v29, vcc
	v_cmp_nlt_f32_e32 vcc, s95, v3
	s_nop 1
	v_cndmask_b32_e32 v28, v132, v28, vcc
	v_cmp_le_f32_e32 vcc, s97, v3
	s_nop 1
	v_cndmask_b32_e32 v28, 0, v28, vcc
	v_cvt_f16_f32_e32 v31, v28
	v_cmp_nlt_f32_e32 vcc, s95, v21
	v_mul_u32_u24_e32 v31, 0x10001, v31
	s_nop 0
	v_cndmask_b32_e32 v3, v132, v29, vcc
	v_fmac_f32_e32 v3, v59, v28
	v_pk_mul_f16 v60, v24, v31
	v_pk_mul_f16 v64, v64, v31
	;; [unrolled: 1-line block ×32, first 2 shown]
	v_mov_b64_e32 v[58:59], v[2:3]
.LBB32_395:                             ;   in Loop: Header=BB32_12 Depth=1
	s_or_b64 exec, exec, s[10:11]
	s_and_saveexec_b64 s[10:11], s[6:7]
; %bb.396:                              ;   in Loop: Header=BB32_12 Depth=1
	v_add_u32_e32 v2, 0, v209
	ds_write2_b32 v2, v58, v59 offset0:64 offset1:65
; %bb.397:                              ;   in Loop: Header=BB32_12 Depth=1
	s_or_b64 exec, exec, s[10:11]
	s_waitcnt lgkmcnt(0)
	s_barrier
	s_and_saveexec_b64 s[10:11], s[4:5]
	s_xor_b64 s[10:11], exec, s[10:11]
	s_cbranch_execz .LBB32_399
; %bb.398:                              ;   in Loop: Header=BB32_12 Depth=1
	s_barrier
                                        ; implicit-def: $vgpr62
.LBB32_399:                             ;   in Loop: Header=BB32_12 Depth=1
	s_andn2_saveexec_b64 s[10:11], s[10:11]
	s_cbranch_execz .LBB32_403
; %bb.400:                              ;   in Loop: Header=BB32_12 Depth=1
	v_add_u32_e32 v6, 0, v210
	ds_read_b64 v[2:3], v6 offset:256
	s_waitcnt lgkmcnt(0)
	s_barrier
	ds_bpermute_b32 v7, v62, v2
	v_max_f32_e32 v10, v2, v2
	s_waitcnt lgkmcnt(0)
	v_max_f32_e32 v7, v7, v7
	v_max_f32_e32 v7, v10, v7
	v_sub_f32_e32 v2, v2, v7
	v_mul_f32_e32 v7, 0x3fb8aa3b, v2
	v_fma_f32 v10, v2, s71, -v7
	v_rndne_f32_e32 v11, v7
	v_fmac_f32_e32 v10, 0x32a5705f, v2
	v_sub_f32_e32 v7, v7, v11
	v_add_f32_e32 v7, v7, v10
	v_cvt_i32_f32_e32 v11, v11
	v_exp_f32_e32 v7, v7
	v_cmp_ngt_f32_e32 vcc, s94, v2
	v_ldexp_f32 v7, v7, v11
	s_nop 0
	v_cndmask_b32_e32 v7, 0, v7, vcc
	v_cmp_nlt_f32_e32 vcc, s95, v2
	s_nop 1
	v_cndmask_b32_e32 v2, v132, v7, vcc
	v_mul_f32_e32 v3, v3, v2
	ds_bpermute_b32 v7, v62, v3
	s_and_saveexec_b64 s[14:15], s[8:9]
	s_cbranch_execz .LBB32_402
; %bb.401:                              ;   in Loop: Header=BB32_12 Depth=1
	s_waitcnt lgkmcnt(0)
	v_add_f32_e32 v3, v3, v7
	ds_write_b64 v6, v[2:3] offset:256
.LBB32_402:                             ;   in Loop: Header=BB32_12 Depth=1
	s_or_b64 exec, exec, s[14:15]
.LBB32_403:                             ;   in Loop: Header=BB32_12 Depth=1
	s_or_b64 exec, exec, s[10:11]
	ds_write2_b32 v202, v60, v64 offset1:1
	ds_write2_b32 v202, v57, v65 offset0:8 offset1:9
	ds_write2_b32 v202, v56, v66 offset0:16 offset1:17
	;; [unrolled: 1-line block ×7, first 2 shown]
	s_waitcnt lgkmcnt(0)
	s_barrier
	s_and_saveexec_b64 s[76:77], s[12:13]
	s_cbranch_execz .LBB32_481
; %bb.404:                              ;   in Loop: Header=BB32_12 Depth=1
	v_add_u32_e32 v3, v231, v143
	v_or_b32_e32 v2, v140, v97
	v_cmp_gt_i32_e32 vcc, s36, v3
	v_cmp_gt_i32_e64 s[10:11], s80, v2
	s_and_b64 s[34:35], vcc, s[10:11]
	v_mov_b32_e32 v2, 0x47
	s_and_saveexec_b64 s[14:15], s[34:35]
	s_cbranch_execz .LBB32_406
; %bb.405:                              ;   in Loop: Header=BB32_12 Depth=1
	v_mad_u64_u32 v[2:3], s[34:35], v3, s37, v[140:141]
	v_add_u32_e32 v14, 0, v211
	v_add_u32_e32 v3, v194, v211
	ds_read2_b32 v[6:7], v14 offset0:64 offset1:65
	ds_read2st64_b32 v[10:11], v3 offset1:17
	ds_read_b32 v14, v14 offset:4608
	v_lshl_add_u32 v2, v2, 7, v94
	v_ashrrev_i32_e32 v3, 31, v2
	v_lshl_add_u64 v[2:3], v[2:3], 3, v[162:163]
	s_waitcnt lgkmcnt(1)
	v_cvt_f32_f16_e32 v18, v10
	v_cvt_f32_f16_sdwa v19, v10 dst_sel:DWORD dst_unused:UNUSED_PAD src0_sel:WORD_1
	v_cvt_f32_f16_e32 v10, v11
	v_cvt_f32_f16_sdwa v11, v11 dst_sel:DWORD dst_unused:UNUSED_PAD src0_sel:WORD_1
	v_pk_fma_f32 v[18:19], v[6:7], v[18:19], 0 op_sel_hi:[0,1,0]
	s_waitcnt lgkmcnt(0)
	v_pk_fma_f32 v[10:11], v[14:15], v[10:11], v[18:19] op_sel_hi:[0,1,1]
	v_div_scale_f32 v6, s[34:35], v7, v7, v11
	v_rcp_f32_e32 v14, v6
	s_nop 0
	v_fma_f32 v15, -v6, v14, 1.0
	v_fmac_f32_e32 v14, v15, v14
	v_div_scale_f32 v15, vcc, v11, v7, v11
	v_mul_f32_e32 v16, v15, v14
	v_fma_f32 v18, -v6, v16, v15
	v_fmac_f32_e32 v16, v18, v14
	v_fma_f32 v6, -v6, v16, v15
	v_div_fmas_f32 v6, v6, v14, v16
	v_div_fixup_f32 v11, v6, v7, v11
	v_div_scale_f32 v6, s[34:35], v7, v7, v10
	v_rcp_f32_e32 v14, v6
	s_nop 0
	v_fma_f32 v15, -v6, v14, 1.0
	v_fmac_f32_e32 v14, v15, v14
	v_div_scale_f32 v15, vcc, v10, v7, v10
	v_mul_f32_e32 v16, v15, v14
	v_fma_f32 v18, -v6, v16, v15
	v_fmac_f32_e32 v16, v18, v14
	v_fma_f32 v6, -v6, v16, v15
	v_div_fmas_f32 v6, v6, v14, v16
	v_div_fixup_f32 v10, v6, v7, v10
	global_store_dwordx2 v[2:3], v[10:11], off
	v_mov_b32_e32 v2, 0
.LBB32_406:                             ;   in Loop: Header=BB32_12 Depth=1
	s_or_b64 exec, exec, s[14:15]
	v_cmp_gt_i32_e32 vcc, s99, v2
	s_mov_b64 s[14:15], -1
	s_and_saveexec_b64 s[78:79], vcc
; %bb.407:                              ;   in Loop: Header=BB32_12 Depth=1
	v_cmp_eq_u32_e32 vcc, 0, v2
	s_orn2_b64 s[14:15], vcc, exec
; %bb.408:                              ;   in Loop: Header=BB32_12 Depth=1
	s_or_b64 exec, exec, s[78:79]
	s_and_b64 exec, exec, s[14:15]
	s_cbranch_execz .LBB32_481
; %bb.409:                              ;   in Loop: Header=BB32_12 Depth=1
	v_add_u32_e32 v3, v232, v143
	v_or_b32_e32 v2, v120, v97
	v_cmp_gt_i32_e32 vcc, s36, v3
	v_cmp_gt_i32_e64 s[14:15], s80, v2
	s_and_b64 s[34:35], vcc, s[14:15]
	v_mov_b32_e32 v2, 0x47
	s_and_saveexec_b64 s[14:15], s[34:35]
	s_cbranch_execz .LBB32_411
; %bb.410:                              ;   in Loop: Header=BB32_12 Depth=1
	v_mad_u64_u32 v[2:3], s[34:35], v3, s37, v[120:121]
	v_add_u32_e32 v14, 0, v212
	v_add_u32_e32 v3, v194, v212
	ds_read2_b32 v[6:7], v14 offset0:64 offset1:65
	ds_read2st64_b32 v[10:11], v3 offset1:17
	ds_read_b32 v14, v14 offset:4608
	v_lshl_add_u32 v2, v2, 7, v94
	v_ashrrev_i32_e32 v3, 31, v2
	v_lshl_add_u64 v[2:3], v[2:3], 3, v[162:163]
	s_waitcnt lgkmcnt(1)
	v_cvt_f32_f16_e32 v18, v10
	v_cvt_f32_f16_sdwa v19, v10 dst_sel:DWORD dst_unused:UNUSED_PAD src0_sel:WORD_1
	v_cvt_f32_f16_e32 v10, v11
	v_cvt_f32_f16_sdwa v11, v11 dst_sel:DWORD dst_unused:UNUSED_PAD src0_sel:WORD_1
	v_pk_fma_f32 v[18:19], v[6:7], v[18:19], 0 op_sel_hi:[0,1,0]
	s_waitcnt lgkmcnt(0)
	v_pk_fma_f32 v[10:11], v[14:15], v[10:11], v[18:19] op_sel_hi:[0,1,1]
	v_div_scale_f32 v6, s[34:35], v7, v7, v11
	v_rcp_f32_e32 v14, v6
	s_nop 0
	v_fma_f32 v15, -v6, v14, 1.0
	v_fmac_f32_e32 v14, v15, v14
	v_div_scale_f32 v15, vcc, v11, v7, v11
	v_mul_f32_e32 v16, v15, v14
	v_fma_f32 v18, -v6, v16, v15
	v_fmac_f32_e32 v16, v18, v14
	v_fma_f32 v6, -v6, v16, v15
	v_div_fmas_f32 v6, v6, v14, v16
	v_div_fixup_f32 v11, v6, v7, v11
	v_div_scale_f32 v6, s[34:35], v7, v7, v10
	v_rcp_f32_e32 v14, v6
	s_nop 0
	v_fma_f32 v15, -v6, v14, 1.0
	v_fmac_f32_e32 v14, v15, v14
	v_div_scale_f32 v15, vcc, v10, v7, v10
	v_mul_f32_e32 v16, v15, v14
	v_fma_f32 v18, -v6, v16, v15
	v_fmac_f32_e32 v16, v18, v14
	v_fma_f32 v6, -v6, v16, v15
	v_div_fmas_f32 v6, v6, v14, v16
	v_div_fixup_f32 v10, v6, v7, v10
	global_store_dwordx2 v[2:3], v[10:11], off
	v_mov_b32_e32 v2, 0
.LBB32_411:                             ;   in Loop: Header=BB32_12 Depth=1
	s_or_b64 exec, exec, s[14:15]
	v_cmp_gt_i32_e32 vcc, s99, v2
	s_mov_b64 s[14:15], -1
	s_and_saveexec_b64 s[78:79], vcc
; %bb.412:                              ;   in Loop: Header=BB32_12 Depth=1
	v_cmp_eq_u32_e32 vcc, 0, v2
	s_orn2_b64 s[14:15], vcc, exec
; %bb.413:                              ;   in Loop: Header=BB32_12 Depth=1
	s_or_b64 exec, exec, s[78:79]
	s_and_b64 exec, exec, s[14:15]
	s_cbranch_execz .LBB32_481
; %bb.414:                              ;   in Loop: Header=BB32_12 Depth=1
	v_add_u32_e32 v3, v213, v143
	v_cmp_gt_i32_e32 vcc, s36, v3
	s_and_b64 s[34:35], vcc, s[10:11]
	v_mov_b32_e32 v2, 0x47
	s_and_saveexec_b64 s[14:15], s[34:35]
	s_cbranch_execz .LBB32_416
; %bb.415:                              ;   in Loop: Header=BB32_12 Depth=1
	v_mad_u64_u32 v[2:3], s[34:35], v3, s37, v[140:141]
	v_add_u32_e32 v14, 0, v214
	v_add_u32_e32 v3, v194, v214
	ds_read2_b32 v[6:7], v14 offset0:64 offset1:65
	ds_read2st64_b32 v[10:11], v3 offset1:17
	ds_read_b32 v14, v14 offset:4608
	v_lshl_add_u32 v2, v2, 7, v94
	v_ashrrev_i32_e32 v3, 31, v2
	v_lshl_add_u64 v[2:3], v[2:3], 3, v[162:163]
	s_waitcnt lgkmcnt(1)
	v_cvt_f32_f16_e32 v18, v10
	v_cvt_f32_f16_sdwa v19, v10 dst_sel:DWORD dst_unused:UNUSED_PAD src0_sel:WORD_1
	v_cvt_f32_f16_e32 v10, v11
	v_cvt_f32_f16_sdwa v11, v11 dst_sel:DWORD dst_unused:UNUSED_PAD src0_sel:WORD_1
	v_pk_fma_f32 v[18:19], v[6:7], v[18:19], 0 op_sel_hi:[0,1,0]
	s_waitcnt lgkmcnt(0)
	v_pk_fma_f32 v[10:11], v[14:15], v[10:11], v[18:19] op_sel_hi:[0,1,1]
	v_div_scale_f32 v6, s[34:35], v7, v7, v11
	v_rcp_f32_e32 v14, v6
	s_nop 0
	v_fma_f32 v15, -v6, v14, 1.0
	v_fmac_f32_e32 v14, v15, v14
	v_div_scale_f32 v15, vcc, v11, v7, v11
	v_mul_f32_e32 v16, v15, v14
	v_fma_f32 v18, -v6, v16, v15
	v_fmac_f32_e32 v16, v18, v14
	v_fma_f32 v6, -v6, v16, v15
	v_div_fmas_f32 v6, v6, v14, v16
	v_div_fixup_f32 v11, v6, v7, v11
	v_div_scale_f32 v6, s[34:35], v7, v7, v10
	v_rcp_f32_e32 v14, v6
	s_nop 0
	v_fma_f32 v15, -v6, v14, 1.0
	v_fmac_f32_e32 v14, v15, v14
	v_div_scale_f32 v15, vcc, v10, v7, v10
	v_mul_f32_e32 v16, v15, v14
	v_fma_f32 v18, -v6, v16, v15
	v_fmac_f32_e32 v16, v18, v14
	v_fma_f32 v6, -v6, v16, v15
	v_div_fmas_f32 v6, v6, v14, v16
	v_div_fixup_f32 v10, v6, v7, v10
	global_store_dwordx2 v[2:3], v[10:11], off
	v_mov_b32_e32 v2, 0
.LBB32_416:                             ;   in Loop: Header=BB32_12 Depth=1
	s_or_b64 exec, exec, s[14:15]
	v_cmp_gt_i32_e32 vcc, s99, v2
	s_mov_b64 s[14:15], -1
	s_and_saveexec_b64 s[78:79], vcc
; %bb.417:                              ;   in Loop: Header=BB32_12 Depth=1
	v_cmp_eq_u32_e32 vcc, 0, v2
	s_orn2_b64 s[14:15], vcc, exec
; %bb.418:                              ;   in Loop: Header=BB32_12 Depth=1
	s_or_b64 exec, exec, s[78:79]
	s_and_b64 exec, exec, s[14:15]
	s_cbranch_execz .LBB32_481
; %bb.419:                              ;   in Loop: Header=BB32_12 Depth=1
	v_add_u32_e32 v3, v230, v143
	v_or_b32_e32 v2, v122, v97
	v_cmp_gt_i32_e32 vcc, s36, v3
	v_cmp_gt_i32_e64 s[14:15], s80, v2
	s_and_b64 s[34:35], vcc, s[14:15]
	v_mov_b32_e32 v2, 0x47
	s_and_saveexec_b64 s[14:15], s[34:35]
	s_cbranch_execz .LBB32_421
; %bb.420:                              ;   in Loop: Header=BB32_12 Depth=1
	v_mad_u64_u32 v[2:3], s[34:35], v3, s37, v[122:123]
	v_add_u32_e32 v14, 0, v215
	v_add_u32_e32 v3, v194, v215
	ds_read2_b32 v[6:7], v14 offset0:64 offset1:65
	ds_read2st64_b32 v[10:11], v3 offset1:17
	ds_read_b32 v14, v14 offset:4608
	v_lshl_add_u32 v2, v2, 7, v94
	v_ashrrev_i32_e32 v3, 31, v2
	v_lshl_add_u64 v[2:3], v[2:3], 3, v[162:163]
	s_waitcnt lgkmcnt(1)
	v_cvt_f32_f16_e32 v18, v10
	v_cvt_f32_f16_sdwa v19, v10 dst_sel:DWORD dst_unused:UNUSED_PAD src0_sel:WORD_1
	v_cvt_f32_f16_e32 v10, v11
	v_cvt_f32_f16_sdwa v11, v11 dst_sel:DWORD dst_unused:UNUSED_PAD src0_sel:WORD_1
	v_pk_fma_f32 v[18:19], v[6:7], v[18:19], 0 op_sel_hi:[0,1,0]
	s_waitcnt lgkmcnt(0)
	v_pk_fma_f32 v[10:11], v[14:15], v[10:11], v[18:19] op_sel_hi:[0,1,1]
	v_div_scale_f32 v6, s[34:35], v7, v7, v11
	v_rcp_f32_e32 v14, v6
	s_nop 0
	v_fma_f32 v15, -v6, v14, 1.0
	v_fmac_f32_e32 v14, v15, v14
	v_div_scale_f32 v15, vcc, v11, v7, v11
	v_mul_f32_e32 v16, v15, v14
	v_fma_f32 v18, -v6, v16, v15
	v_fmac_f32_e32 v16, v18, v14
	v_fma_f32 v6, -v6, v16, v15
	v_div_fmas_f32 v6, v6, v14, v16
	v_div_fixup_f32 v11, v6, v7, v11
	v_div_scale_f32 v6, s[34:35], v7, v7, v10
	v_rcp_f32_e32 v14, v6
	s_nop 0
	v_fma_f32 v15, -v6, v14, 1.0
	v_fmac_f32_e32 v14, v15, v14
	v_div_scale_f32 v15, vcc, v10, v7, v10
	v_mul_f32_e32 v16, v15, v14
	v_fma_f32 v18, -v6, v16, v15
	v_fmac_f32_e32 v16, v18, v14
	v_fma_f32 v6, -v6, v16, v15
	v_div_fmas_f32 v6, v6, v14, v16
	v_div_fixup_f32 v10, v6, v7, v10
	global_store_dwordx2 v[2:3], v[10:11], off
	v_mov_b32_e32 v2, 0
.LBB32_421:                             ;   in Loop: Header=BB32_12 Depth=1
	s_or_b64 exec, exec, s[14:15]
	v_cmp_gt_i32_e32 vcc, s99, v2
	s_mov_b64 s[14:15], -1
	s_and_saveexec_b64 s[78:79], vcc
; %bb.422:                              ;   in Loop: Header=BB32_12 Depth=1
	v_cmp_eq_u32_e32 vcc, 0, v2
	s_orn2_b64 s[14:15], vcc, exec
; %bb.423:                              ;   in Loop: Header=BB32_12 Depth=1
	s_or_b64 exec, exec, s[78:79]
	s_and_b64 exec, exec, s[14:15]
	s_cbranch_execz .LBB32_481
; %bb.424:                              ;   in Loop: Header=BB32_12 Depth=1
	v_add_u32_e32 v3, v216, v143
	v_cmp_gt_i32_e32 vcc, s36, v3
	s_and_b64 s[34:35], vcc, s[10:11]
	v_mov_b32_e32 v2, 0x47
	s_and_saveexec_b64 s[14:15], s[34:35]
	s_cbranch_execz .LBB32_426
; %bb.425:                              ;   in Loop: Header=BB32_12 Depth=1
	v_mad_u64_u32 v[2:3], s[34:35], v3, s37, v[140:141]
	v_add_u32_e32 v14, 0, v217
	v_add_u32_e32 v3, v194, v217
	ds_read2_b32 v[6:7], v14 offset0:64 offset1:65
	ds_read2st64_b32 v[10:11], v3 offset1:17
	ds_read_b32 v14, v14 offset:4608
	v_lshl_add_u32 v2, v2, 7, v94
	v_ashrrev_i32_e32 v3, 31, v2
	v_lshl_add_u64 v[2:3], v[2:3], 3, v[162:163]
	s_waitcnt lgkmcnt(1)
	v_cvt_f32_f16_e32 v18, v10
	v_cvt_f32_f16_sdwa v19, v10 dst_sel:DWORD dst_unused:UNUSED_PAD src0_sel:WORD_1
	v_cvt_f32_f16_e32 v10, v11
	v_cvt_f32_f16_sdwa v11, v11 dst_sel:DWORD dst_unused:UNUSED_PAD src0_sel:WORD_1
	v_pk_fma_f32 v[18:19], v[6:7], v[18:19], 0 op_sel_hi:[0,1,0]
	s_waitcnt lgkmcnt(0)
	v_pk_fma_f32 v[10:11], v[14:15], v[10:11], v[18:19] op_sel_hi:[0,1,1]
	v_div_scale_f32 v6, s[34:35], v7, v7, v11
	v_rcp_f32_e32 v14, v6
	s_nop 0
	v_fma_f32 v15, -v6, v14, 1.0
	v_fmac_f32_e32 v14, v15, v14
	v_div_scale_f32 v15, vcc, v11, v7, v11
	v_mul_f32_e32 v16, v15, v14
	v_fma_f32 v18, -v6, v16, v15
	v_fmac_f32_e32 v16, v18, v14
	v_fma_f32 v6, -v6, v16, v15
	v_div_fmas_f32 v6, v6, v14, v16
	v_div_fixup_f32 v11, v6, v7, v11
	v_div_scale_f32 v6, s[34:35], v7, v7, v10
	v_rcp_f32_e32 v14, v6
	s_nop 0
	v_fma_f32 v15, -v6, v14, 1.0
	v_fmac_f32_e32 v14, v15, v14
	v_div_scale_f32 v15, vcc, v10, v7, v10
	v_mul_f32_e32 v16, v15, v14
	v_fma_f32 v18, -v6, v16, v15
	v_fmac_f32_e32 v16, v18, v14
	v_fma_f32 v6, -v6, v16, v15
	v_div_fmas_f32 v6, v6, v14, v16
	v_div_fixup_f32 v10, v6, v7, v10
	global_store_dwordx2 v[2:3], v[10:11], off
	v_mov_b32_e32 v2, 0
.LBB32_426:                             ;   in Loop: Header=BB32_12 Depth=1
	s_or_b64 exec, exec, s[14:15]
	v_cmp_gt_i32_e32 vcc, s99, v2
	s_mov_b64 s[14:15], -1
	s_and_saveexec_b64 s[78:79], vcc
; %bb.427:                              ;   in Loop: Header=BB32_12 Depth=1
	v_cmp_eq_u32_e32 vcc, 0, v2
	s_orn2_b64 s[14:15], vcc, exec
; %bb.428:                              ;   in Loop: Header=BB32_12 Depth=1
	s_or_b64 exec, exec, s[78:79]
	s_and_b64 exec, exec, s[14:15]
	s_cbranch_execz .LBB32_481
; %bb.429:                              ;   in Loop: Header=BB32_12 Depth=1
	v_add_u32_e32 v3, v134, v143
	v_or_b32_e32 v2, v124, v97
	v_cmp_gt_i32_e32 vcc, s36, v3
	v_cmp_gt_i32_e64 s[14:15], s80, v2
	s_and_b64 s[34:35], vcc, s[14:15]
	v_mov_b32_e32 v2, 0x47
	s_and_saveexec_b64 s[14:15], s[34:35]
	s_cbranch_execz .LBB32_431
; %bb.430:                              ;   in Loop: Header=BB32_12 Depth=1
	v_mad_u64_u32 v[2:3], s[34:35], v3, s37, v[124:125]
	v_add_u32_e32 v14, 0, v126
	v_add_u32_e32 v3, v194, v126
	ds_read2_b32 v[6:7], v14 offset0:64 offset1:65
	ds_read2st64_b32 v[10:11], v3 offset1:17
	ds_read_b32 v14, v14 offset:4608
	v_lshl_add_u32 v2, v2, 7, v94
	v_ashrrev_i32_e32 v3, 31, v2
	v_lshl_add_u64 v[2:3], v[2:3], 3, v[162:163]
	s_waitcnt lgkmcnt(1)
	v_cvt_f32_f16_e32 v18, v10
	v_cvt_f32_f16_sdwa v19, v10 dst_sel:DWORD dst_unused:UNUSED_PAD src0_sel:WORD_1
	v_cvt_f32_f16_e32 v10, v11
	v_cvt_f32_f16_sdwa v11, v11 dst_sel:DWORD dst_unused:UNUSED_PAD src0_sel:WORD_1
	v_pk_fma_f32 v[18:19], v[6:7], v[18:19], 0 op_sel_hi:[0,1,0]
	s_waitcnt lgkmcnt(0)
	v_pk_fma_f32 v[10:11], v[14:15], v[10:11], v[18:19] op_sel_hi:[0,1,1]
	v_div_scale_f32 v6, s[34:35], v7, v7, v11
	v_rcp_f32_e32 v14, v6
	s_nop 0
	v_fma_f32 v15, -v6, v14, 1.0
	v_fmac_f32_e32 v14, v15, v14
	v_div_scale_f32 v15, vcc, v11, v7, v11
	v_mul_f32_e32 v16, v15, v14
	v_fma_f32 v18, -v6, v16, v15
	v_fmac_f32_e32 v16, v18, v14
	v_fma_f32 v6, -v6, v16, v15
	v_div_fmas_f32 v6, v6, v14, v16
	v_div_fixup_f32 v11, v6, v7, v11
	v_div_scale_f32 v6, s[34:35], v7, v7, v10
	v_rcp_f32_e32 v14, v6
	s_nop 0
	v_fma_f32 v15, -v6, v14, 1.0
	v_fmac_f32_e32 v14, v15, v14
	v_div_scale_f32 v15, vcc, v10, v7, v10
	v_mul_f32_e32 v16, v15, v14
	v_fma_f32 v18, -v6, v16, v15
	v_fmac_f32_e32 v16, v18, v14
	v_fma_f32 v6, -v6, v16, v15
	v_div_fmas_f32 v6, v6, v14, v16
	v_div_fixup_f32 v10, v6, v7, v10
	global_store_dwordx2 v[2:3], v[10:11], off
	v_mov_b32_e32 v2, 0
.LBB32_431:                             ;   in Loop: Header=BB32_12 Depth=1
	s_or_b64 exec, exec, s[14:15]
	v_cmp_gt_i32_e32 vcc, s99, v2
	s_mov_b64 s[14:15], -1
	s_and_saveexec_b64 s[78:79], vcc
; %bb.432:                              ;   in Loop: Header=BB32_12 Depth=1
	v_cmp_eq_u32_e32 vcc, 0, v2
	s_orn2_b64 s[14:15], vcc, exec
; %bb.433:                              ;   in Loop: Header=BB32_12 Depth=1
	s_or_b64 exec, exec, s[78:79]
	s_and_b64 exec, exec, s[14:15]
	s_cbranch_execz .LBB32_481
; %bb.434:                              ;   in Loop: Header=BB32_12 Depth=1
	scratch_load_dword v2, off, off         ; 4-byte Folded Reload
	s_waitcnt vmcnt(0)
	v_add_u32_e32 v3, v2, v143
	v_cmp_gt_i32_e32 vcc, s36, v3
	s_and_b64 s[34:35], vcc, s[10:11]
	v_mov_b32_e32 v2, 0x47
	s_and_saveexec_b64 s[14:15], s[34:35]
	s_cbranch_execz .LBB32_436
; %bb.435:                              ;   in Loop: Header=BB32_12 Depth=1
	scratch_load_dword v10, off, off offset:12 ; 4-byte Folded Reload
	v_mad_u64_u32 v[2:3], s[34:35], v3, s37, v[140:141]
	v_lshl_add_u32 v2, v2, 7, v94
	s_waitcnt vmcnt(0)
	v_add_u32_e32 v14, 0, v10
	v_add_u32_e32 v3, v194, v10
	ds_read2_b32 v[6:7], v14 offset0:64 offset1:65
	ds_read2st64_b32 v[10:11], v3 offset1:17
	ds_read_b32 v14, v14 offset:4608
	v_ashrrev_i32_e32 v3, 31, v2
	v_lshl_add_u64 v[2:3], v[2:3], 3, v[162:163]
	s_waitcnt lgkmcnt(1)
	v_cvt_f32_f16_e32 v18, v10
	v_cvt_f32_f16_sdwa v19, v10 dst_sel:DWORD dst_unused:UNUSED_PAD src0_sel:WORD_1
	v_cvt_f32_f16_e32 v10, v11
	v_cvt_f32_f16_sdwa v11, v11 dst_sel:DWORD dst_unused:UNUSED_PAD src0_sel:WORD_1
	v_pk_fma_f32 v[18:19], v[6:7], v[18:19], 0 op_sel_hi:[0,1,0]
	s_waitcnt lgkmcnt(0)
	v_pk_fma_f32 v[10:11], v[14:15], v[10:11], v[18:19] op_sel_hi:[0,1,1]
	v_div_scale_f32 v6, s[34:35], v7, v7, v11
	v_rcp_f32_e32 v14, v6
	s_nop 0
	v_fma_f32 v15, -v6, v14, 1.0
	v_fmac_f32_e32 v14, v15, v14
	v_div_scale_f32 v15, vcc, v11, v7, v11
	v_mul_f32_e32 v16, v15, v14
	v_fma_f32 v18, -v6, v16, v15
	v_fmac_f32_e32 v16, v18, v14
	v_fma_f32 v6, -v6, v16, v15
	v_div_fmas_f32 v6, v6, v14, v16
	v_div_fixup_f32 v11, v6, v7, v11
	v_div_scale_f32 v6, s[34:35], v7, v7, v10
	v_rcp_f32_e32 v14, v6
	s_nop 0
	v_fma_f32 v15, -v6, v14, 1.0
	v_fmac_f32_e32 v14, v15, v14
	v_div_scale_f32 v15, vcc, v10, v7, v10
	v_mul_f32_e32 v16, v15, v14
	v_fma_f32 v18, -v6, v16, v15
	v_fmac_f32_e32 v16, v18, v14
	v_fma_f32 v6, -v6, v16, v15
	v_div_fmas_f32 v6, v6, v14, v16
	v_div_fixup_f32 v10, v6, v7, v10
	global_store_dwordx2 v[2:3], v[10:11], off
	v_mov_b32_e32 v2, 0
.LBB32_436:                             ;   in Loop: Header=BB32_12 Depth=1
	s_or_b64 exec, exec, s[14:15]
	v_cmp_gt_i32_e32 vcc, s99, v2
	s_mov_b64 s[14:15], -1
	s_and_saveexec_b64 s[78:79], vcc
; %bb.437:                              ;   in Loop: Header=BB32_12 Depth=1
	v_cmp_eq_u32_e32 vcc, 0, v2
	s_orn2_b64 s[14:15], vcc, exec
; %bb.438:                              ;   in Loop: Header=BB32_12 Depth=1
	s_or_b64 exec, exec, s[78:79]
	s_and_b64 exec, exec, s[14:15]
	s_cbranch_execz .LBB32_481
; %bb.439:                              ;   in Loop: Header=BB32_12 Depth=1
	scratch_load_dword v2, off, off offset:16 ; 4-byte Folded Reload
	scratch_load_dwordx2 v[6:7], off, off offset:4 ; 8-byte Folded Reload
	s_waitcnt vmcnt(1)
	v_add_u32_e32 v3, v2, v143
	s_waitcnt vmcnt(0)
	v_or_b32_e32 v2, v6, v97
	v_cmp_gt_i32_e32 vcc, s36, v3
	v_cmp_gt_i32_e64 s[14:15], s80, v2
	s_and_b64 s[34:35], vcc, s[14:15]
	v_mov_b32_e32 v2, 0x47
	s_and_saveexec_b64 s[14:15], s[34:35]
	s_cbranch_execz .LBB32_441
; %bb.440:                              ;   in Loop: Header=BB32_12 Depth=1
	scratch_load_dword v10, off, off offset:20 ; 4-byte Folded Reload
	scratch_load_dwordx2 v[18:19], off, off offset:4 ; 8-byte Folded Reload
	s_waitcnt vmcnt(1)
	v_add_u32_e32 v14, 0, v10
	s_waitcnt vmcnt(0)
	v_mad_u64_u32 v[2:3], s[34:35], v3, s37, v[18:19]
	v_add_u32_e32 v3, v194, v10
	ds_read2_b32 v[6:7], v14 offset0:64 offset1:65
	ds_read2st64_b32 v[10:11], v3 offset1:17
	ds_read_b32 v14, v14 offset:4608
	v_lshl_add_u32 v2, v2, 7, v94
	v_ashrrev_i32_e32 v3, 31, v2
	v_lshl_add_u64 v[2:3], v[2:3], 3, v[162:163]
	s_waitcnt lgkmcnt(1)
	v_cvt_f32_f16_e32 v18, v10
	v_cvt_f32_f16_sdwa v19, v10 dst_sel:DWORD dst_unused:UNUSED_PAD src0_sel:WORD_1
	v_cvt_f32_f16_e32 v10, v11
	v_cvt_f32_f16_sdwa v11, v11 dst_sel:DWORD dst_unused:UNUSED_PAD src0_sel:WORD_1
	v_pk_fma_f32 v[18:19], v[6:7], v[18:19], 0 op_sel_hi:[0,1,0]
	s_waitcnt lgkmcnt(0)
	v_pk_fma_f32 v[10:11], v[14:15], v[10:11], v[18:19] op_sel_hi:[0,1,1]
	v_div_scale_f32 v6, s[34:35], v7, v7, v11
	v_rcp_f32_e32 v14, v6
	s_nop 0
	v_fma_f32 v15, -v6, v14, 1.0
	v_fmac_f32_e32 v14, v15, v14
	v_div_scale_f32 v15, vcc, v11, v7, v11
	v_mul_f32_e32 v16, v15, v14
	v_fma_f32 v18, -v6, v16, v15
	v_fmac_f32_e32 v16, v18, v14
	v_fma_f32 v6, -v6, v16, v15
	v_div_fmas_f32 v6, v6, v14, v16
	v_div_fixup_f32 v11, v6, v7, v11
	v_div_scale_f32 v6, s[34:35], v7, v7, v10
	v_rcp_f32_e32 v14, v6
	s_nop 0
	v_fma_f32 v15, -v6, v14, 1.0
	v_fmac_f32_e32 v14, v15, v14
	v_div_scale_f32 v15, vcc, v10, v7, v10
	v_mul_f32_e32 v16, v15, v14
	v_fma_f32 v18, -v6, v16, v15
	v_fmac_f32_e32 v16, v18, v14
	v_fma_f32 v6, -v6, v16, v15
	v_div_fmas_f32 v6, v6, v14, v16
	v_div_fixup_f32 v10, v6, v7, v10
	global_store_dwordx2 v[2:3], v[10:11], off
	v_mov_b32_e32 v2, 0
.LBB32_441:                             ;   in Loop: Header=BB32_12 Depth=1
	s_or_b64 exec, exec, s[14:15]
	v_cmp_gt_i32_e32 vcc, s99, v2
	s_mov_b64 s[14:15], -1
	s_and_saveexec_b64 s[78:79], vcc
; %bb.442:                              ;   in Loop: Header=BB32_12 Depth=1
	v_cmp_eq_u32_e32 vcc, 0, v2
	s_orn2_b64 s[14:15], vcc, exec
; %bb.443:                              ;   in Loop: Header=BB32_12 Depth=1
	s_or_b64 exec, exec, s[78:79]
	s_and_b64 exec, exec, s[14:15]
	s_cbranch_execz .LBB32_481
; %bb.444:                              ;   in Loop: Header=BB32_12 Depth=1
	scratch_load_dword v2, off, off offset:24 ; 4-byte Folded Reload
	s_waitcnt vmcnt(0)
	v_add_u32_e32 v3, v2, v143
	v_cmp_gt_i32_e32 vcc, s36, v3
	s_and_b64 s[34:35], vcc, s[10:11]
	v_mov_b32_e32 v2, 0x47
	s_and_saveexec_b64 s[14:15], s[34:35]
	s_cbranch_execz .LBB32_446
; %bb.445:                              ;   in Loop: Header=BB32_12 Depth=1
	scratch_load_dword v10, off, off offset:36 ; 4-byte Folded Reload
	v_mad_u64_u32 v[2:3], s[34:35], v3, s37, v[140:141]
	v_lshl_add_u32 v2, v2, 7, v94
	s_waitcnt vmcnt(0)
	v_add_u32_e32 v14, 0, v10
	v_add_u32_e32 v3, v194, v10
	ds_read2_b32 v[6:7], v14 offset0:64 offset1:65
	ds_read2st64_b32 v[10:11], v3 offset1:17
	ds_read_b32 v14, v14 offset:4608
	v_ashrrev_i32_e32 v3, 31, v2
	v_lshl_add_u64 v[2:3], v[2:3], 3, v[162:163]
	s_waitcnt lgkmcnt(1)
	v_cvt_f32_f16_e32 v18, v10
	v_cvt_f32_f16_sdwa v19, v10 dst_sel:DWORD dst_unused:UNUSED_PAD src0_sel:WORD_1
	v_cvt_f32_f16_e32 v10, v11
	v_cvt_f32_f16_sdwa v11, v11 dst_sel:DWORD dst_unused:UNUSED_PAD src0_sel:WORD_1
	v_pk_fma_f32 v[18:19], v[6:7], v[18:19], 0 op_sel_hi:[0,1,0]
	s_waitcnt lgkmcnt(0)
	v_pk_fma_f32 v[10:11], v[14:15], v[10:11], v[18:19] op_sel_hi:[0,1,1]
	v_div_scale_f32 v6, s[34:35], v7, v7, v11
	v_rcp_f32_e32 v14, v6
	s_nop 0
	v_fma_f32 v15, -v6, v14, 1.0
	v_fmac_f32_e32 v14, v15, v14
	v_div_scale_f32 v15, vcc, v11, v7, v11
	v_mul_f32_e32 v16, v15, v14
	v_fma_f32 v18, -v6, v16, v15
	v_fmac_f32_e32 v16, v18, v14
	v_fma_f32 v6, -v6, v16, v15
	v_div_fmas_f32 v6, v6, v14, v16
	v_div_fixup_f32 v11, v6, v7, v11
	v_div_scale_f32 v6, s[34:35], v7, v7, v10
	v_rcp_f32_e32 v14, v6
	s_nop 0
	v_fma_f32 v15, -v6, v14, 1.0
	v_fmac_f32_e32 v14, v15, v14
	v_div_scale_f32 v15, vcc, v10, v7, v10
	v_mul_f32_e32 v16, v15, v14
	v_fma_f32 v18, -v6, v16, v15
	v_fmac_f32_e32 v16, v18, v14
	v_fma_f32 v6, -v6, v16, v15
	v_div_fmas_f32 v6, v6, v14, v16
	v_div_fixup_f32 v10, v6, v7, v10
	global_store_dwordx2 v[2:3], v[10:11], off
	v_mov_b32_e32 v2, 0
.LBB32_446:                             ;   in Loop: Header=BB32_12 Depth=1
	s_or_b64 exec, exec, s[14:15]
	v_cmp_gt_i32_e32 vcc, s99, v2
	s_mov_b64 s[14:15], -1
	s_and_saveexec_b64 s[78:79], vcc
; %bb.447:                              ;   in Loop: Header=BB32_12 Depth=1
	v_cmp_eq_u32_e32 vcc, 0, v2
	s_orn2_b64 s[14:15], vcc, exec
; %bb.448:                              ;   in Loop: Header=BB32_12 Depth=1
	s_or_b64 exec, exec, s[78:79]
	s_and_b64 exec, exec, s[14:15]
	s_cbranch_execz .LBB32_481
; %bb.449:                              ;   in Loop: Header=BB32_12 Depth=1
	scratch_load_dword v2, off, off offset:40 ; 4-byte Folded Reload
	scratch_load_dwordx2 v[6:7], off, off offset:28 ; 8-byte Folded Reload
	s_waitcnt vmcnt(1)
	v_add_u32_e32 v3, v2, v143
	s_waitcnt vmcnt(0)
	v_or_b32_e32 v2, v6, v97
	v_cmp_gt_i32_e32 vcc, s36, v3
	v_cmp_gt_i32_e64 s[14:15], s80, v2
	s_and_b64 s[34:35], vcc, s[14:15]
	v_mov_b32_e32 v2, 0x47
	s_and_saveexec_b64 s[14:15], s[34:35]
	s_cbranch_execz .LBB32_451
; %bb.450:                              ;   in Loop: Header=BB32_12 Depth=1
	scratch_load_dword v10, off, off offset:44 ; 4-byte Folded Reload
	scratch_load_dwordx2 v[18:19], off, off offset:28 ; 8-byte Folded Reload
	s_waitcnt vmcnt(1)
	v_add_u32_e32 v14, 0, v10
	s_waitcnt vmcnt(0)
	v_mad_u64_u32 v[2:3], s[34:35], v3, s37, v[18:19]
	v_add_u32_e32 v3, v194, v10
	ds_read2_b32 v[6:7], v14 offset0:64 offset1:65
	ds_read2st64_b32 v[10:11], v3 offset1:17
	ds_read_b32 v14, v14 offset:4608
	v_lshl_add_u32 v2, v2, 7, v94
	v_ashrrev_i32_e32 v3, 31, v2
	v_lshl_add_u64 v[2:3], v[2:3], 3, v[162:163]
	s_waitcnt lgkmcnt(1)
	v_cvt_f32_f16_e32 v18, v10
	v_cvt_f32_f16_sdwa v19, v10 dst_sel:DWORD dst_unused:UNUSED_PAD src0_sel:WORD_1
	v_cvt_f32_f16_e32 v10, v11
	v_cvt_f32_f16_sdwa v11, v11 dst_sel:DWORD dst_unused:UNUSED_PAD src0_sel:WORD_1
	v_pk_fma_f32 v[18:19], v[6:7], v[18:19], 0 op_sel_hi:[0,1,0]
	s_waitcnt lgkmcnt(0)
	v_pk_fma_f32 v[10:11], v[14:15], v[10:11], v[18:19] op_sel_hi:[0,1,1]
	v_div_scale_f32 v6, s[34:35], v7, v7, v11
	v_rcp_f32_e32 v14, v6
	s_nop 0
	v_fma_f32 v15, -v6, v14, 1.0
	v_fmac_f32_e32 v14, v15, v14
	v_div_scale_f32 v15, vcc, v11, v7, v11
	v_mul_f32_e32 v16, v15, v14
	v_fma_f32 v18, -v6, v16, v15
	v_fmac_f32_e32 v16, v18, v14
	v_fma_f32 v6, -v6, v16, v15
	v_div_fmas_f32 v6, v6, v14, v16
	v_div_fixup_f32 v11, v6, v7, v11
	v_div_scale_f32 v6, s[34:35], v7, v7, v10
	v_rcp_f32_e32 v14, v6
	s_nop 0
	v_fma_f32 v15, -v6, v14, 1.0
	v_fmac_f32_e32 v14, v15, v14
	v_div_scale_f32 v15, vcc, v10, v7, v10
	v_mul_f32_e32 v16, v15, v14
	v_fma_f32 v18, -v6, v16, v15
	v_fmac_f32_e32 v16, v18, v14
	v_fma_f32 v6, -v6, v16, v15
	v_div_fmas_f32 v6, v6, v14, v16
	v_div_fixup_f32 v10, v6, v7, v10
	global_store_dwordx2 v[2:3], v[10:11], off
	v_mov_b32_e32 v2, 0
.LBB32_451:                             ;   in Loop: Header=BB32_12 Depth=1
	s_or_b64 exec, exec, s[14:15]
	v_cmp_gt_i32_e32 vcc, s99, v2
	s_mov_b64 s[14:15], -1
	s_and_saveexec_b64 s[78:79], vcc
; %bb.452:                              ;   in Loop: Header=BB32_12 Depth=1
	v_cmp_eq_u32_e32 vcc, 0, v2
	s_orn2_b64 s[14:15], vcc, exec
; %bb.453:                              ;   in Loop: Header=BB32_12 Depth=1
	s_or_b64 exec, exec, s[78:79]
	s_and_b64 exec, exec, s[14:15]
	s_cbranch_execz .LBB32_481
; %bb.454:                              ;   in Loop: Header=BB32_12 Depth=1
	scratch_load_dword v2, off, off offset:48 ; 4-byte Folded Reload
	s_waitcnt vmcnt(0)
	v_add_u32_e32 v3, v2, v143
	v_cmp_gt_i32_e32 vcc, s36, v3
	s_and_b64 s[34:35], vcc, s[10:11]
	v_mov_b32_e32 v2, 0x47
	s_and_saveexec_b64 s[14:15], s[34:35]
	s_cbranch_execz .LBB32_456
; %bb.455:                              ;   in Loop: Header=BB32_12 Depth=1
	scratch_load_dword v10, off, off offset:60 ; 4-byte Folded Reload
	v_mad_u64_u32 v[2:3], s[34:35], v3, s37, v[140:141]
	v_lshl_add_u32 v2, v2, 7, v94
	s_waitcnt vmcnt(0)
	v_add_u32_e32 v14, 0, v10
	v_add_u32_e32 v3, v194, v10
	ds_read2_b32 v[6:7], v14 offset0:64 offset1:65
	ds_read2st64_b32 v[10:11], v3 offset1:17
	ds_read_b32 v14, v14 offset:4608
	v_ashrrev_i32_e32 v3, 31, v2
	v_lshl_add_u64 v[2:3], v[2:3], 3, v[162:163]
	s_waitcnt lgkmcnt(1)
	v_cvt_f32_f16_e32 v18, v10
	v_cvt_f32_f16_sdwa v19, v10 dst_sel:DWORD dst_unused:UNUSED_PAD src0_sel:WORD_1
	v_cvt_f32_f16_e32 v10, v11
	v_cvt_f32_f16_sdwa v11, v11 dst_sel:DWORD dst_unused:UNUSED_PAD src0_sel:WORD_1
	v_pk_fma_f32 v[18:19], v[6:7], v[18:19], 0 op_sel_hi:[0,1,0]
	s_waitcnt lgkmcnt(0)
	v_pk_fma_f32 v[10:11], v[14:15], v[10:11], v[18:19] op_sel_hi:[0,1,1]
	v_div_scale_f32 v6, s[34:35], v7, v7, v11
	v_rcp_f32_e32 v14, v6
	s_nop 0
	v_fma_f32 v15, -v6, v14, 1.0
	v_fmac_f32_e32 v14, v15, v14
	v_div_scale_f32 v15, vcc, v11, v7, v11
	v_mul_f32_e32 v16, v15, v14
	v_fma_f32 v18, -v6, v16, v15
	v_fmac_f32_e32 v16, v18, v14
	v_fma_f32 v6, -v6, v16, v15
	v_div_fmas_f32 v6, v6, v14, v16
	v_div_fixup_f32 v11, v6, v7, v11
	v_div_scale_f32 v6, s[34:35], v7, v7, v10
	v_rcp_f32_e32 v14, v6
	s_nop 0
	v_fma_f32 v15, -v6, v14, 1.0
	v_fmac_f32_e32 v14, v15, v14
	v_div_scale_f32 v15, vcc, v10, v7, v10
	v_mul_f32_e32 v16, v15, v14
	v_fma_f32 v18, -v6, v16, v15
	v_fmac_f32_e32 v16, v18, v14
	v_fma_f32 v6, -v6, v16, v15
	v_div_fmas_f32 v6, v6, v14, v16
	v_div_fixup_f32 v10, v6, v7, v10
	global_store_dwordx2 v[2:3], v[10:11], off
	v_mov_b32_e32 v2, 0
.LBB32_456:                             ;   in Loop: Header=BB32_12 Depth=1
	s_or_b64 exec, exec, s[14:15]
	v_cmp_gt_i32_e32 vcc, s99, v2
	s_mov_b64 s[14:15], -1
	s_and_saveexec_b64 s[78:79], vcc
; %bb.457:                              ;   in Loop: Header=BB32_12 Depth=1
	v_cmp_eq_u32_e32 vcc, 0, v2
	s_orn2_b64 s[14:15], vcc, exec
; %bb.458:                              ;   in Loop: Header=BB32_12 Depth=1
	s_or_b64 exec, exec, s[78:79]
	s_and_b64 exec, exec, s[14:15]
	s_cbranch_execz .LBB32_481
; %bb.459:                              ;   in Loop: Header=BB32_12 Depth=1
	scratch_load_dword v2, off, off offset:64 ; 4-byte Folded Reload
	scratch_load_dwordx2 v[6:7], off, off offset:52 ; 8-byte Folded Reload
	s_waitcnt vmcnt(1)
	v_add_u32_e32 v3, v2, v143
	s_waitcnt vmcnt(0)
	v_or_b32_e32 v2, v6, v97
	v_cmp_gt_i32_e32 vcc, s36, v3
	v_cmp_gt_i32_e64 s[14:15], s80, v2
	s_and_b64 s[34:35], vcc, s[14:15]
	v_mov_b32_e32 v2, 0x47
	s_and_saveexec_b64 s[14:15], s[34:35]
	s_cbranch_execz .LBB32_461
; %bb.460:                              ;   in Loop: Header=BB32_12 Depth=1
	scratch_load_dword v10, off, off offset:68 ; 4-byte Folded Reload
	scratch_load_dwordx2 v[18:19], off, off offset:52 ; 8-byte Folded Reload
	s_waitcnt vmcnt(1)
	v_add_u32_e32 v14, 0, v10
	s_waitcnt vmcnt(0)
	v_mad_u64_u32 v[2:3], s[34:35], v3, s37, v[18:19]
	v_add_u32_e32 v3, v194, v10
	ds_read2_b32 v[6:7], v14 offset0:64 offset1:65
	ds_read2st64_b32 v[10:11], v3 offset1:17
	ds_read_b32 v14, v14 offset:4608
	v_lshl_add_u32 v2, v2, 7, v94
	v_ashrrev_i32_e32 v3, 31, v2
	v_lshl_add_u64 v[2:3], v[2:3], 3, v[162:163]
	s_waitcnt lgkmcnt(1)
	v_cvt_f32_f16_e32 v18, v10
	v_cvt_f32_f16_sdwa v19, v10 dst_sel:DWORD dst_unused:UNUSED_PAD src0_sel:WORD_1
	v_cvt_f32_f16_e32 v10, v11
	v_cvt_f32_f16_sdwa v11, v11 dst_sel:DWORD dst_unused:UNUSED_PAD src0_sel:WORD_1
	v_pk_fma_f32 v[18:19], v[6:7], v[18:19], 0 op_sel_hi:[0,1,0]
	s_waitcnt lgkmcnt(0)
	v_pk_fma_f32 v[10:11], v[14:15], v[10:11], v[18:19] op_sel_hi:[0,1,1]
	v_div_scale_f32 v6, s[34:35], v7, v7, v11
	v_rcp_f32_e32 v14, v6
	s_nop 0
	v_fma_f32 v15, -v6, v14, 1.0
	v_fmac_f32_e32 v14, v15, v14
	v_div_scale_f32 v15, vcc, v11, v7, v11
	v_mul_f32_e32 v16, v15, v14
	v_fma_f32 v18, -v6, v16, v15
	v_fmac_f32_e32 v16, v18, v14
	v_fma_f32 v6, -v6, v16, v15
	v_div_fmas_f32 v6, v6, v14, v16
	v_div_fixup_f32 v11, v6, v7, v11
	v_div_scale_f32 v6, s[34:35], v7, v7, v10
	v_rcp_f32_e32 v14, v6
	s_nop 0
	v_fma_f32 v15, -v6, v14, 1.0
	v_fmac_f32_e32 v14, v15, v14
	v_div_scale_f32 v15, vcc, v10, v7, v10
	v_mul_f32_e32 v16, v15, v14
	v_fma_f32 v18, -v6, v16, v15
	v_fmac_f32_e32 v16, v18, v14
	v_fma_f32 v6, -v6, v16, v15
	v_div_fmas_f32 v6, v6, v14, v16
	v_div_fixup_f32 v10, v6, v7, v10
	global_store_dwordx2 v[2:3], v[10:11], off
	v_mov_b32_e32 v2, 0
.LBB32_461:                             ;   in Loop: Header=BB32_12 Depth=1
	s_or_b64 exec, exec, s[14:15]
	v_cmp_gt_i32_e32 vcc, s99, v2
	s_mov_b64 s[14:15], -1
	s_and_saveexec_b64 s[78:79], vcc
; %bb.462:                              ;   in Loop: Header=BB32_12 Depth=1
	v_cmp_eq_u32_e32 vcc, 0, v2
	s_orn2_b64 s[14:15], vcc, exec
; %bb.463:                              ;   in Loop: Header=BB32_12 Depth=1
	s_or_b64 exec, exec, s[78:79]
	s_and_b64 exec, exec, s[14:15]
	s_cbranch_execz .LBB32_481
; %bb.464:                              ;   in Loop: Header=BB32_12 Depth=1
	scratch_load_dword v2, off, off offset:72 ; 4-byte Folded Reload
	s_waitcnt vmcnt(0)
	v_add_u32_e32 v3, v2, v143
	v_cmp_gt_i32_e32 vcc, s36, v3
	s_and_b64 s[34:35], vcc, s[10:11]
	v_mov_b32_e32 v2, 0x47
	s_and_saveexec_b64 s[14:15], s[34:35]
	s_cbranch_execz .LBB32_466
; %bb.465:                              ;   in Loop: Header=BB32_12 Depth=1
	scratch_load_dword v10, off, off offset:84 ; 4-byte Folded Reload
	v_mad_u64_u32 v[2:3], s[34:35], v3, s37, v[140:141]
	v_lshl_add_u32 v2, v2, 7, v94
	s_waitcnt vmcnt(0)
	v_add_u32_e32 v14, 0, v10
	v_add_u32_e32 v3, v194, v10
	ds_read2_b32 v[6:7], v14 offset0:64 offset1:65
	ds_read2st64_b32 v[10:11], v3 offset1:17
	ds_read_b32 v14, v14 offset:4608
	v_ashrrev_i32_e32 v3, 31, v2
	v_lshl_add_u64 v[2:3], v[2:3], 3, v[162:163]
	s_waitcnt lgkmcnt(1)
	v_cvt_f32_f16_e32 v18, v10
	v_cvt_f32_f16_sdwa v19, v10 dst_sel:DWORD dst_unused:UNUSED_PAD src0_sel:WORD_1
	v_cvt_f32_f16_e32 v10, v11
	v_cvt_f32_f16_sdwa v11, v11 dst_sel:DWORD dst_unused:UNUSED_PAD src0_sel:WORD_1
	v_pk_fma_f32 v[18:19], v[6:7], v[18:19], 0 op_sel_hi:[0,1,0]
	s_waitcnt lgkmcnt(0)
	v_pk_fma_f32 v[10:11], v[14:15], v[10:11], v[18:19] op_sel_hi:[0,1,1]
	v_div_scale_f32 v6, s[34:35], v7, v7, v11
	v_rcp_f32_e32 v14, v6
	s_nop 0
	v_fma_f32 v15, -v6, v14, 1.0
	v_fmac_f32_e32 v14, v15, v14
	v_div_scale_f32 v15, vcc, v11, v7, v11
	v_mul_f32_e32 v16, v15, v14
	v_fma_f32 v18, -v6, v16, v15
	v_fmac_f32_e32 v16, v18, v14
	v_fma_f32 v6, -v6, v16, v15
	v_div_fmas_f32 v6, v6, v14, v16
	v_div_fixup_f32 v11, v6, v7, v11
	v_div_scale_f32 v6, s[34:35], v7, v7, v10
	v_rcp_f32_e32 v14, v6
	s_nop 0
	v_fma_f32 v15, -v6, v14, 1.0
	v_fmac_f32_e32 v14, v15, v14
	v_div_scale_f32 v15, vcc, v10, v7, v10
	v_mul_f32_e32 v16, v15, v14
	v_fma_f32 v18, -v6, v16, v15
	v_fmac_f32_e32 v16, v18, v14
	v_fma_f32 v6, -v6, v16, v15
	v_div_fmas_f32 v6, v6, v14, v16
	v_div_fixup_f32 v10, v6, v7, v10
	global_store_dwordx2 v[2:3], v[10:11], off
	v_mov_b32_e32 v2, 0
.LBB32_466:                             ;   in Loop: Header=BB32_12 Depth=1
	s_or_b64 exec, exec, s[14:15]
	v_cmp_gt_i32_e32 vcc, s99, v2
	s_mov_b64 s[14:15], -1
	s_and_saveexec_b64 s[78:79], vcc
; %bb.467:                              ;   in Loop: Header=BB32_12 Depth=1
	v_cmp_eq_u32_e32 vcc, 0, v2
	s_orn2_b64 s[14:15], vcc, exec
; %bb.468:                              ;   in Loop: Header=BB32_12 Depth=1
	s_or_b64 exec, exec, s[78:79]
	s_and_b64 exec, exec, s[14:15]
	s_cbranch_execz .LBB32_481
; %bb.469:                              ;   in Loop: Header=BB32_12 Depth=1
	scratch_load_dword v2, off, off offset:88 ; 4-byte Folded Reload
	scratch_load_dwordx2 v[6:7], off, off offset:76 ; 8-byte Folded Reload
	s_waitcnt vmcnt(1)
	v_add_u32_e32 v3, v2, v143
	s_waitcnt vmcnt(0)
	v_or_b32_e32 v2, v6, v97
	v_cmp_gt_i32_e32 vcc, s36, v3
	v_cmp_gt_i32_e64 s[14:15], s80, v2
	s_and_b64 s[34:35], vcc, s[14:15]
	v_mov_b32_e32 v2, 0x47
	s_and_saveexec_b64 s[14:15], s[34:35]
	s_cbranch_execz .LBB32_471
; %bb.470:                              ;   in Loop: Header=BB32_12 Depth=1
	scratch_load_dword v10, off, off offset:92 ; 4-byte Folded Reload
	scratch_load_dwordx2 v[18:19], off, off offset:76 ; 8-byte Folded Reload
	s_waitcnt vmcnt(1)
	v_add_u32_e32 v14, 0, v10
	s_waitcnt vmcnt(0)
	v_mad_u64_u32 v[2:3], s[34:35], v3, s37, v[18:19]
	v_add_u32_e32 v3, v194, v10
	ds_read2_b32 v[6:7], v14 offset0:64 offset1:65
	ds_read2st64_b32 v[10:11], v3 offset1:17
	ds_read_b32 v14, v14 offset:4608
	v_lshl_add_u32 v2, v2, 7, v94
	v_ashrrev_i32_e32 v3, 31, v2
	v_lshl_add_u64 v[2:3], v[2:3], 3, v[162:163]
	s_waitcnt lgkmcnt(1)
	v_cvt_f32_f16_e32 v18, v10
	v_cvt_f32_f16_sdwa v19, v10 dst_sel:DWORD dst_unused:UNUSED_PAD src0_sel:WORD_1
	v_cvt_f32_f16_e32 v10, v11
	v_cvt_f32_f16_sdwa v11, v11 dst_sel:DWORD dst_unused:UNUSED_PAD src0_sel:WORD_1
	v_pk_fma_f32 v[18:19], v[6:7], v[18:19], 0 op_sel_hi:[0,1,0]
	s_waitcnt lgkmcnt(0)
	v_pk_fma_f32 v[10:11], v[14:15], v[10:11], v[18:19] op_sel_hi:[0,1,1]
	v_div_scale_f32 v6, s[34:35], v7, v7, v11
	v_rcp_f32_e32 v14, v6
	s_nop 0
	v_fma_f32 v15, -v6, v14, 1.0
	v_fmac_f32_e32 v14, v15, v14
	v_div_scale_f32 v15, vcc, v11, v7, v11
	v_mul_f32_e32 v16, v15, v14
	v_fma_f32 v18, -v6, v16, v15
	v_fmac_f32_e32 v16, v18, v14
	v_fma_f32 v6, -v6, v16, v15
	v_div_fmas_f32 v6, v6, v14, v16
	v_div_fixup_f32 v11, v6, v7, v11
	v_div_scale_f32 v6, s[34:35], v7, v7, v10
	v_rcp_f32_e32 v14, v6
	s_nop 0
	v_fma_f32 v15, -v6, v14, 1.0
	v_fmac_f32_e32 v14, v15, v14
	v_div_scale_f32 v15, vcc, v10, v7, v10
	v_mul_f32_e32 v16, v15, v14
	v_fma_f32 v18, -v6, v16, v15
	v_fmac_f32_e32 v16, v18, v14
	v_fma_f32 v6, -v6, v16, v15
	v_div_fmas_f32 v6, v6, v14, v16
	v_div_fixup_f32 v10, v6, v7, v10
	global_store_dwordx2 v[2:3], v[10:11], off
	v_mov_b32_e32 v2, 0
.LBB32_471:                             ;   in Loop: Header=BB32_12 Depth=1
	s_or_b64 exec, exec, s[14:15]
	v_cmp_gt_i32_e32 vcc, s99, v2
	s_mov_b64 s[14:15], -1
	s_and_saveexec_b64 s[78:79], vcc
; %bb.472:                              ;   in Loop: Header=BB32_12 Depth=1
	v_cmp_eq_u32_e32 vcc, 0, v2
	s_orn2_b64 s[14:15], vcc, exec
; %bb.473:                              ;   in Loop: Header=BB32_12 Depth=1
	s_or_b64 exec, exec, s[78:79]
	s_and_b64 exec, exec, s[14:15]
	s_cbranch_execz .LBB32_481
; %bb.474:                              ;   in Loop: Header=BB32_12 Depth=1
	scratch_load_dword v2, off, off offset:96 ; 4-byte Folded Reload
	v_mov_b32_e32 v3, 0x47
	s_waitcnt vmcnt(0)
	v_add_u32_e32 v2, v2, v143
	v_cmp_gt_i32_e32 vcc, s36, v2
	s_and_b64 s[14:15], vcc, s[10:11]
	s_and_saveexec_b64 s[10:11], s[14:15]
	s_cbranch_execz .LBB32_476
; %bb.475:                              ;   in Loop: Header=BB32_12 Depth=1
	scratch_load_dword v10, off, off offset:108 ; 4-byte Folded Reload
	s_waitcnt vmcnt(0)
	v_add_u32_e32 v3, v194, v10
	ds_read2st64_b32 v[6:7], v3 offset1:17
	v_add_u32_e32 v3, 0, v10
	ds_read2_b32 v[10:11], v3 offset0:64 offset1:65
	ds_read_b32 v14, v3 offset:4608
	v_mad_u64_u32 v[2:3], s[14:15], v2, s37, v[140:141]
	s_waitcnt lgkmcnt(2)
	v_cvt_f32_f16_e32 v18, v6
	v_cvt_f32_f16_sdwa v19, v6 dst_sel:DWORD dst_unused:UNUSED_PAD src0_sel:WORD_1
	v_cvt_f32_f16_e32 v6, v7
	v_cvt_f32_f16_sdwa v7, v7 dst_sel:DWORD dst_unused:UNUSED_PAD src0_sel:WORD_1
	v_lshl_add_u32 v2, v2, 7, v94
	s_waitcnt lgkmcnt(1)
	v_pk_fma_f32 v[18:19], v[10:11], v[18:19], 0 op_sel_hi:[0,1,0]
	v_ashrrev_i32_e32 v3, 31, v2
	s_waitcnt lgkmcnt(0)
	v_pk_fma_f32 v[6:7], v[14:15], v[6:7], v[18:19] op_sel_hi:[0,1,1]
	v_div_scale_f32 v10, s[14:15], v11, v11, v7
	v_rcp_f32_e32 v14, v10
	v_lshl_add_u64 v[2:3], v[2:3], 3, v[162:163]
	v_fma_f32 v15, -v10, v14, 1.0
	v_fmac_f32_e32 v14, v15, v14
	v_div_scale_f32 v15, vcc, v7, v11, v7
	v_mul_f32_e32 v16, v15, v14
	v_fma_f32 v18, -v10, v16, v15
	v_fmac_f32_e32 v16, v18, v14
	v_fma_f32 v10, -v10, v16, v15
	v_div_scale_f32 v15, s[14:15], v11, v11, v6
	v_rcp_f32_e32 v18, v15
	v_div_fmas_f32 v10, v10, v14, v16
	v_div_fixup_f32 v7, v10, v11, v7
	v_fma_f32 v10, -v15, v18, 1.0
	v_fmac_f32_e32 v18, v10, v18
	v_div_scale_f32 v10, vcc, v6, v11, v6
	v_mul_f32_e32 v14, v10, v18
	v_fma_f32 v16, -v15, v14, v10
	v_fmac_f32_e32 v14, v16, v18
	v_fma_f32 v10, -v15, v14, v10
	v_div_fmas_f32 v10, v10, v18, v14
	v_div_fixup_f32 v6, v10, v11, v6
	global_store_dwordx2 v[2:3], v[6:7], off
	v_mov_b32_e32 v3, 0
.LBB32_476:                             ;   in Loop: Header=BB32_12 Depth=1
	s_or_b64 exec, exec, s[10:11]
	v_cmp_gt_i32_e32 vcc, s99, v3
	s_mov_b64 s[10:11], -1
	s_and_saveexec_b64 s[14:15], vcc
; %bb.477:                              ;   in Loop: Header=BB32_12 Depth=1
	v_cmp_eq_u32_e32 vcc, 0, v3
	s_orn2_b64 s[10:11], vcc, exec
; %bb.478:                              ;   in Loop: Header=BB32_12 Depth=1
	s_or_b64 exec, exec, s[14:15]
	s_and_b64 exec, exec, s[10:11]
	s_cbranch_execz .LBB32_481
; %bb.479:                              ;   in Loop: Header=BB32_12 Depth=1
	scratch_load_dword v2, off, off offset:112 ; 4-byte Folded Reload
	scratch_load_dwordx2 v[6:7], off, off offset:100 ; 8-byte Folded Reload
	s_waitcnt vmcnt(1)
	v_add_u32_e32 v2, v2, v143
	s_waitcnt vmcnt(0)
	v_or_b32_e32 v3, v6, v97
	v_cmp_gt_i32_e32 vcc, s36, v2
	v_cmp_gt_i32_e64 s[10:11], s80, v3
	s_and_b64 s[10:11], vcc, s[10:11]
	s_and_b64 exec, exec, s[10:11]
	s_cbranch_execz .LBB32_481
; %bb.480:                              ;   in Loop: Header=BB32_12 Depth=1
	scratch_load_dword v10, off, off offset:116 ; 4-byte Folded Reload
	s_waitcnt vmcnt(0)
	v_add_u32_e32 v3, v194, v10
	ds_read2st64_b32 v[6:7], v3 offset1:17
	v_add_u32_e32 v3, 0, v10
	ds_read2_b32 v[10:11], v3 offset0:64 offset1:65
	ds_read_b32 v14, v3 offset:4608
	scratch_load_dwordx2 v[22:23], off, off offset:100 ; 8-byte Folded Reload
	s_waitcnt lgkmcnt(2)
	v_cvt_f32_f16_e32 v18, v6
	v_cvt_f32_f16_sdwa v19, v6 dst_sel:DWORD dst_unused:UNUSED_PAD src0_sel:WORD_1
	v_cvt_f32_f16_e32 v6, v7
	v_cvt_f32_f16_sdwa v7, v7 dst_sel:DWORD dst_unused:UNUSED_PAD src0_sel:WORD_1
	s_waitcnt lgkmcnt(1)
	v_pk_fma_f32 v[18:19], v[10:11], v[18:19], 0 op_sel_hi:[0,1,0]
	s_waitcnt lgkmcnt(0)
	v_pk_fma_f32 v[6:7], v[14:15], v[6:7], v[18:19] op_sel_hi:[0,1,1]
	v_div_scale_f32 v10, s[10:11], v11, v11, v7
	v_rcp_f32_e32 v14, v10
	s_waitcnt vmcnt(0)
	v_mad_u64_u32 v[2:3], s[10:11], v2, s37, v[22:23]
	v_fma_f32 v15, -v10, v14, 1.0
	v_fmac_f32_e32 v14, v15, v14
	v_div_scale_f32 v15, vcc, v7, v11, v7
	v_mul_f32_e32 v16, v15, v14
	v_fma_f32 v18, -v10, v16, v15
	v_fmac_f32_e32 v16, v18, v14
	v_fma_f32 v10, -v10, v16, v15
	v_div_scale_f32 v15, s[10:11], v11, v11, v6
	v_rcp_f32_e32 v18, v15
	v_div_fmas_f32 v10, v10, v14, v16
	v_div_fixup_f32 v7, v10, v11, v7
	v_lshl_add_u32 v2, v2, 7, v94
	v_fma_f32 v10, -v15, v18, 1.0
	v_fmac_f32_e32 v18, v10, v18
	v_div_scale_f32 v10, vcc, v6, v11, v6
	v_mul_f32_e32 v14, v10, v18
	v_fma_f32 v16, -v15, v14, v10
	v_fmac_f32_e32 v14, v16, v18
	v_fma_f32 v10, -v15, v14, v10
	v_ashrrev_i32_e32 v3, 31, v2
	v_div_fmas_f32 v10, v10, v18, v14
	v_lshl_add_u64 v[2:3], v[2:3], 3, v[162:163]
	v_div_fixup_f32 v6, v10, v11, v6
	global_store_dwordx2 v[2:3], v[6:7], off
.LBB32_481:                             ;   in Loop: Header=BB32_12 Depth=1
	s_or_b64 exec, exec, s[76:77]
	s_barrier
	ds_write2_b32 v202, v36, v4 offset1:1
	ds_write2_b32 v202, v33, v5 offset0:8 offset1:9
	ds_write2_b32 v202, v32, v8 offset0:16 offset1:17
	ds_write2_b32 v202, v29, v9 offset0:24 offset1:25
	ds_write2_b32 v202, v28, v12 offset0:32 offset1:33
	ds_write2_b32 v202, v25, v13 offset0:40 offset1:41
	ds_write2_b32 v202, v24, v17 offset0:48 offset1:49
	ds_write2_b32 v202, v21, v20 offset0:56 offset1:57
	s_waitcnt lgkmcnt(0)
	s_barrier
	s_and_saveexec_b64 s[76:77], s[12:13]
	s_cbranch_execz .LBB32_10
; %bb.482:                              ;   in Loop: Header=BB32_12 Depth=1
	v_add_u32_e32 v3, v231, v143
	v_or_b32_e32 v2, v140, v97
	v_cmp_gt_i32_e32 vcc, s36, v3
	v_cmp_gt_i32_e64 s[10:11], s80, v2
	s_and_b64 s[34:35], vcc, s[10:11]
	v_mov_b32_e32 v2, 0x47
	s_and_saveexec_b64 s[14:15], s[34:35]
	s_cbranch_execz .LBB32_484
; %bb.483:                              ;   in Loop: Header=BB32_12 Depth=1
	v_mad_u64_u32 v[2:3], s[34:35], v3, s37, v[140:141]
	v_add_u32_e32 v8, 0, v211
	v_add_u32_e32 v3, v194, v211
	ds_read2_b32 v[4:5], v8 offset0:64 offset1:65
	ds_read2st64_b32 v[6:7], v3 offset1:17
	ds_read_b32 v8, v8 offset:4608
	v_lshl_add_u32 v2, v2, 7, v239
	v_ashrrev_i32_e32 v3, 31, v2
	v_lshl_add_u64 v[2:3], v[2:3], 3, v[162:163]
	s_waitcnt lgkmcnt(1)
	v_cvt_f32_f16_e32 v10, v6
	v_cvt_f32_f16_sdwa v11, v6 dst_sel:DWORD dst_unused:UNUSED_PAD src0_sel:WORD_1
	v_cvt_f32_f16_e32 v6, v7
	v_cvt_f32_f16_sdwa v7, v7 dst_sel:DWORD dst_unused:UNUSED_PAD src0_sel:WORD_1
	v_pk_fma_f32 v[10:11], v[4:5], v[10:11], 0 op_sel_hi:[0,1,0]
	s_waitcnt lgkmcnt(0)
	v_pk_fma_f32 v[6:7], v[8:9], v[6:7], v[10:11] op_sel_hi:[0,1,1]
	v_div_scale_f32 v4, s[34:35], v5, v5, v7
	v_rcp_f32_e32 v8, v4
	s_nop 0
	v_fma_f32 v9, -v4, v8, 1.0
	v_fmac_f32_e32 v8, v9, v8
	v_div_scale_f32 v9, vcc, v7, v5, v7
	v_mul_f32_e32 v10, v9, v8
	v_fma_f32 v11, -v4, v10, v9
	v_fmac_f32_e32 v10, v11, v8
	v_fma_f32 v4, -v4, v10, v9
	v_div_fmas_f32 v4, v4, v8, v10
	v_div_fixup_f32 v7, v4, v5, v7
	v_div_scale_f32 v4, s[34:35], v5, v5, v6
	v_rcp_f32_e32 v8, v4
	s_nop 0
	v_fma_f32 v9, -v4, v8, 1.0
	v_fmac_f32_e32 v8, v9, v8
	v_div_scale_f32 v9, vcc, v6, v5, v6
	v_mul_f32_e32 v10, v9, v8
	v_fma_f32 v11, -v4, v10, v9
	v_fmac_f32_e32 v10, v11, v8
	v_fma_f32 v4, -v4, v10, v9
	v_div_fmas_f32 v4, v4, v8, v10
	v_div_fixup_f32 v6, v4, v5, v6
	global_store_dwordx2 v[2:3], v[6:7], off
	v_mov_b32_e32 v2, 0
.LBB32_484:                             ;   in Loop: Header=BB32_12 Depth=1
	s_or_b64 exec, exec, s[14:15]
	v_cmp_gt_i32_e32 vcc, s99, v2
	s_mov_b64 s[14:15], -1
	s_and_saveexec_b64 s[78:79], vcc
; %bb.485:                              ;   in Loop: Header=BB32_12 Depth=1
	v_cmp_eq_u32_e32 vcc, 0, v2
	s_orn2_b64 s[14:15], vcc, exec
; %bb.486:                              ;   in Loop: Header=BB32_12 Depth=1
	s_or_b64 exec, exec, s[78:79]
	s_and_b64 exec, exec, s[14:15]
	s_cbranch_execz .LBB32_10
; %bb.487:                              ;   in Loop: Header=BB32_12 Depth=1
	v_add_u32_e32 v3, v232, v143
	v_or_b32_e32 v2, v120, v97
	v_cmp_gt_i32_e32 vcc, s36, v3
	v_cmp_gt_i32_e64 s[14:15], s80, v2
	s_and_b64 s[34:35], vcc, s[14:15]
	v_mov_b32_e32 v2, 0x47
	s_and_saveexec_b64 s[14:15], s[34:35]
	s_cbranch_execz .LBB32_489
; %bb.488:                              ;   in Loop: Header=BB32_12 Depth=1
	v_mad_u64_u32 v[2:3], s[34:35], v3, s37, v[120:121]
	v_add_u32_e32 v8, 0, v212
	v_add_u32_e32 v3, v194, v212
	ds_read2_b32 v[4:5], v8 offset0:64 offset1:65
	ds_read2st64_b32 v[6:7], v3 offset1:17
	ds_read_b32 v8, v8 offset:4608
	v_lshl_add_u32 v2, v2, 7, v239
	v_ashrrev_i32_e32 v3, 31, v2
	v_lshl_add_u64 v[2:3], v[2:3], 3, v[162:163]
	s_waitcnt lgkmcnt(1)
	v_cvt_f32_f16_e32 v10, v6
	v_cvt_f32_f16_sdwa v11, v6 dst_sel:DWORD dst_unused:UNUSED_PAD src0_sel:WORD_1
	v_cvt_f32_f16_e32 v6, v7
	v_cvt_f32_f16_sdwa v7, v7 dst_sel:DWORD dst_unused:UNUSED_PAD src0_sel:WORD_1
	v_pk_fma_f32 v[10:11], v[4:5], v[10:11], 0 op_sel_hi:[0,1,0]
	s_waitcnt lgkmcnt(0)
	v_pk_fma_f32 v[6:7], v[8:9], v[6:7], v[10:11] op_sel_hi:[0,1,1]
	v_div_scale_f32 v4, s[34:35], v5, v5, v7
	v_rcp_f32_e32 v8, v4
	s_nop 0
	v_fma_f32 v9, -v4, v8, 1.0
	v_fmac_f32_e32 v8, v9, v8
	v_div_scale_f32 v9, vcc, v7, v5, v7
	v_mul_f32_e32 v10, v9, v8
	v_fma_f32 v11, -v4, v10, v9
	v_fmac_f32_e32 v10, v11, v8
	v_fma_f32 v4, -v4, v10, v9
	v_div_fmas_f32 v4, v4, v8, v10
	v_div_fixup_f32 v7, v4, v5, v7
	v_div_scale_f32 v4, s[34:35], v5, v5, v6
	v_rcp_f32_e32 v8, v4
	s_nop 0
	v_fma_f32 v9, -v4, v8, 1.0
	v_fmac_f32_e32 v8, v9, v8
	v_div_scale_f32 v9, vcc, v6, v5, v6
	v_mul_f32_e32 v10, v9, v8
	v_fma_f32 v11, -v4, v10, v9
	v_fmac_f32_e32 v10, v11, v8
	v_fma_f32 v4, -v4, v10, v9
	v_div_fmas_f32 v4, v4, v8, v10
	v_div_fixup_f32 v6, v4, v5, v6
	global_store_dwordx2 v[2:3], v[6:7], off
	v_mov_b32_e32 v2, 0
.LBB32_489:                             ;   in Loop: Header=BB32_12 Depth=1
	s_or_b64 exec, exec, s[14:15]
	v_cmp_gt_i32_e32 vcc, s99, v2
	s_mov_b64 s[14:15], -1
	s_and_saveexec_b64 s[78:79], vcc
; %bb.490:                              ;   in Loop: Header=BB32_12 Depth=1
	v_cmp_eq_u32_e32 vcc, 0, v2
	s_orn2_b64 s[14:15], vcc, exec
; %bb.491:                              ;   in Loop: Header=BB32_12 Depth=1
	s_or_b64 exec, exec, s[78:79]
	s_and_b64 exec, exec, s[14:15]
	s_cbranch_execz .LBB32_10
; %bb.492:                              ;   in Loop: Header=BB32_12 Depth=1
	v_add_u32_e32 v3, v213, v143
	v_cmp_gt_i32_e32 vcc, s36, v3
	s_and_b64 s[34:35], vcc, s[10:11]
	v_mov_b32_e32 v2, 0x47
	s_and_saveexec_b64 s[14:15], s[34:35]
	s_cbranch_execz .LBB32_494
; %bb.493:                              ;   in Loop: Header=BB32_12 Depth=1
	v_mad_u64_u32 v[2:3], s[34:35], v3, s37, v[140:141]
	v_add_u32_e32 v8, 0, v214
	v_add_u32_e32 v3, v194, v214
	ds_read2_b32 v[4:5], v8 offset0:64 offset1:65
	ds_read2st64_b32 v[6:7], v3 offset1:17
	ds_read_b32 v8, v8 offset:4608
	v_lshl_add_u32 v2, v2, 7, v239
	v_ashrrev_i32_e32 v3, 31, v2
	v_lshl_add_u64 v[2:3], v[2:3], 3, v[162:163]
	s_waitcnt lgkmcnt(1)
	v_cvt_f32_f16_e32 v10, v6
	v_cvt_f32_f16_sdwa v11, v6 dst_sel:DWORD dst_unused:UNUSED_PAD src0_sel:WORD_1
	v_cvt_f32_f16_e32 v6, v7
	v_cvt_f32_f16_sdwa v7, v7 dst_sel:DWORD dst_unused:UNUSED_PAD src0_sel:WORD_1
	v_pk_fma_f32 v[10:11], v[4:5], v[10:11], 0 op_sel_hi:[0,1,0]
	s_waitcnt lgkmcnt(0)
	v_pk_fma_f32 v[6:7], v[8:9], v[6:7], v[10:11] op_sel_hi:[0,1,1]
	v_div_scale_f32 v4, s[34:35], v5, v5, v7
	v_rcp_f32_e32 v8, v4
	s_nop 0
	v_fma_f32 v9, -v4, v8, 1.0
	v_fmac_f32_e32 v8, v9, v8
	v_div_scale_f32 v9, vcc, v7, v5, v7
	v_mul_f32_e32 v10, v9, v8
	v_fma_f32 v11, -v4, v10, v9
	v_fmac_f32_e32 v10, v11, v8
	v_fma_f32 v4, -v4, v10, v9
	v_div_fmas_f32 v4, v4, v8, v10
	v_div_fixup_f32 v7, v4, v5, v7
	v_div_scale_f32 v4, s[34:35], v5, v5, v6
	v_rcp_f32_e32 v8, v4
	s_nop 0
	v_fma_f32 v9, -v4, v8, 1.0
	v_fmac_f32_e32 v8, v9, v8
	v_div_scale_f32 v9, vcc, v6, v5, v6
	v_mul_f32_e32 v10, v9, v8
	v_fma_f32 v11, -v4, v10, v9
	v_fmac_f32_e32 v10, v11, v8
	v_fma_f32 v4, -v4, v10, v9
	v_div_fmas_f32 v4, v4, v8, v10
	v_div_fixup_f32 v6, v4, v5, v6
	global_store_dwordx2 v[2:3], v[6:7], off
	v_mov_b32_e32 v2, 0
.LBB32_494:                             ;   in Loop: Header=BB32_12 Depth=1
	s_or_b64 exec, exec, s[14:15]
	v_cmp_gt_i32_e32 vcc, s99, v2
	s_mov_b64 s[14:15], -1
	s_and_saveexec_b64 s[78:79], vcc
; %bb.495:                              ;   in Loop: Header=BB32_12 Depth=1
	v_cmp_eq_u32_e32 vcc, 0, v2
	s_orn2_b64 s[14:15], vcc, exec
; %bb.496:                              ;   in Loop: Header=BB32_12 Depth=1
	s_or_b64 exec, exec, s[78:79]
	s_and_b64 exec, exec, s[14:15]
	s_cbranch_execz .LBB32_10
; %bb.497:                              ;   in Loop: Header=BB32_12 Depth=1
	v_add_u32_e32 v3, v230, v143
	v_or_b32_e32 v2, v122, v97
	v_cmp_gt_i32_e32 vcc, s36, v3
	v_cmp_gt_i32_e64 s[14:15], s80, v2
	s_and_b64 s[34:35], vcc, s[14:15]
	v_mov_b32_e32 v2, 0x47
	s_and_saveexec_b64 s[14:15], s[34:35]
	s_cbranch_execz .LBB32_499
; %bb.498:                              ;   in Loop: Header=BB32_12 Depth=1
	v_mad_u64_u32 v[2:3], s[34:35], v3, s37, v[122:123]
	v_add_u32_e32 v8, 0, v215
	v_add_u32_e32 v3, v194, v215
	ds_read2_b32 v[4:5], v8 offset0:64 offset1:65
	ds_read2st64_b32 v[6:7], v3 offset1:17
	ds_read_b32 v8, v8 offset:4608
	v_lshl_add_u32 v2, v2, 7, v239
	v_ashrrev_i32_e32 v3, 31, v2
	v_lshl_add_u64 v[2:3], v[2:3], 3, v[162:163]
	s_waitcnt lgkmcnt(1)
	v_cvt_f32_f16_e32 v10, v6
	v_cvt_f32_f16_sdwa v11, v6 dst_sel:DWORD dst_unused:UNUSED_PAD src0_sel:WORD_1
	v_cvt_f32_f16_e32 v6, v7
	v_cvt_f32_f16_sdwa v7, v7 dst_sel:DWORD dst_unused:UNUSED_PAD src0_sel:WORD_1
	v_pk_fma_f32 v[10:11], v[4:5], v[10:11], 0 op_sel_hi:[0,1,0]
	s_waitcnt lgkmcnt(0)
	v_pk_fma_f32 v[6:7], v[8:9], v[6:7], v[10:11] op_sel_hi:[0,1,1]
	v_div_scale_f32 v4, s[34:35], v5, v5, v7
	v_rcp_f32_e32 v8, v4
	s_nop 0
	v_fma_f32 v9, -v4, v8, 1.0
	v_fmac_f32_e32 v8, v9, v8
	v_div_scale_f32 v9, vcc, v7, v5, v7
	v_mul_f32_e32 v10, v9, v8
	v_fma_f32 v11, -v4, v10, v9
	v_fmac_f32_e32 v10, v11, v8
	v_fma_f32 v4, -v4, v10, v9
	v_div_fmas_f32 v4, v4, v8, v10
	v_div_fixup_f32 v7, v4, v5, v7
	v_div_scale_f32 v4, s[34:35], v5, v5, v6
	v_rcp_f32_e32 v8, v4
	s_nop 0
	v_fma_f32 v9, -v4, v8, 1.0
	v_fmac_f32_e32 v8, v9, v8
	v_div_scale_f32 v9, vcc, v6, v5, v6
	v_mul_f32_e32 v10, v9, v8
	v_fma_f32 v11, -v4, v10, v9
	v_fmac_f32_e32 v10, v11, v8
	v_fma_f32 v4, -v4, v10, v9
	v_div_fmas_f32 v4, v4, v8, v10
	v_div_fixup_f32 v6, v4, v5, v6
	global_store_dwordx2 v[2:3], v[6:7], off
	v_mov_b32_e32 v2, 0
.LBB32_499:                             ;   in Loop: Header=BB32_12 Depth=1
	s_or_b64 exec, exec, s[14:15]
	v_cmp_gt_i32_e32 vcc, s99, v2
	s_mov_b64 s[14:15], -1
	s_and_saveexec_b64 s[78:79], vcc
; %bb.500:                              ;   in Loop: Header=BB32_12 Depth=1
	v_cmp_eq_u32_e32 vcc, 0, v2
	s_orn2_b64 s[14:15], vcc, exec
; %bb.501:                              ;   in Loop: Header=BB32_12 Depth=1
	s_or_b64 exec, exec, s[78:79]
	s_and_b64 exec, exec, s[14:15]
	s_cbranch_execz .LBB32_10
; %bb.502:                              ;   in Loop: Header=BB32_12 Depth=1
	v_add_u32_e32 v3, v216, v143
	v_cmp_gt_i32_e32 vcc, s36, v3
	s_and_b64 s[34:35], vcc, s[10:11]
	v_mov_b32_e32 v2, 0x47
	s_and_saveexec_b64 s[14:15], s[34:35]
	s_cbranch_execz .LBB32_504
; %bb.503:                              ;   in Loop: Header=BB32_12 Depth=1
	v_mad_u64_u32 v[2:3], s[34:35], v3, s37, v[140:141]
	v_add_u32_e32 v8, 0, v217
	v_add_u32_e32 v3, v194, v217
	ds_read2_b32 v[4:5], v8 offset0:64 offset1:65
	ds_read2st64_b32 v[6:7], v3 offset1:17
	ds_read_b32 v8, v8 offset:4608
	v_lshl_add_u32 v2, v2, 7, v239
	v_ashrrev_i32_e32 v3, 31, v2
	v_lshl_add_u64 v[2:3], v[2:3], 3, v[162:163]
	s_waitcnt lgkmcnt(1)
	v_cvt_f32_f16_e32 v10, v6
	v_cvt_f32_f16_sdwa v11, v6 dst_sel:DWORD dst_unused:UNUSED_PAD src0_sel:WORD_1
	v_cvt_f32_f16_e32 v6, v7
	v_cvt_f32_f16_sdwa v7, v7 dst_sel:DWORD dst_unused:UNUSED_PAD src0_sel:WORD_1
	v_pk_fma_f32 v[10:11], v[4:5], v[10:11], 0 op_sel_hi:[0,1,0]
	s_waitcnt lgkmcnt(0)
	v_pk_fma_f32 v[6:7], v[8:9], v[6:7], v[10:11] op_sel_hi:[0,1,1]
	v_div_scale_f32 v4, s[34:35], v5, v5, v7
	v_rcp_f32_e32 v8, v4
	s_nop 0
	v_fma_f32 v9, -v4, v8, 1.0
	v_fmac_f32_e32 v8, v9, v8
	v_div_scale_f32 v9, vcc, v7, v5, v7
	v_mul_f32_e32 v10, v9, v8
	v_fma_f32 v11, -v4, v10, v9
	v_fmac_f32_e32 v10, v11, v8
	v_fma_f32 v4, -v4, v10, v9
	v_div_fmas_f32 v4, v4, v8, v10
	v_div_fixup_f32 v7, v4, v5, v7
	v_div_scale_f32 v4, s[34:35], v5, v5, v6
	v_rcp_f32_e32 v8, v4
	s_nop 0
	v_fma_f32 v9, -v4, v8, 1.0
	v_fmac_f32_e32 v8, v9, v8
	v_div_scale_f32 v9, vcc, v6, v5, v6
	v_mul_f32_e32 v10, v9, v8
	v_fma_f32 v11, -v4, v10, v9
	v_fmac_f32_e32 v10, v11, v8
	v_fma_f32 v4, -v4, v10, v9
	v_div_fmas_f32 v4, v4, v8, v10
	v_div_fixup_f32 v6, v4, v5, v6
	global_store_dwordx2 v[2:3], v[6:7], off
	v_mov_b32_e32 v2, 0
.LBB32_504:                             ;   in Loop: Header=BB32_12 Depth=1
	s_or_b64 exec, exec, s[14:15]
	v_cmp_gt_i32_e32 vcc, s99, v2
	s_mov_b64 s[14:15], -1
	s_and_saveexec_b64 s[78:79], vcc
; %bb.505:                              ;   in Loop: Header=BB32_12 Depth=1
	v_cmp_eq_u32_e32 vcc, 0, v2
	s_orn2_b64 s[14:15], vcc, exec
; %bb.506:                              ;   in Loop: Header=BB32_12 Depth=1
	s_or_b64 exec, exec, s[78:79]
	s_and_b64 exec, exec, s[14:15]
	s_cbranch_execz .LBB32_10
; %bb.507:                              ;   in Loop: Header=BB32_12 Depth=1
	v_add_u32_e32 v3, v134, v143
	v_or_b32_e32 v2, v124, v97
	v_cmp_gt_i32_e32 vcc, s36, v3
	v_cmp_gt_i32_e64 s[14:15], s80, v2
	s_and_b64 s[34:35], vcc, s[14:15]
	v_mov_b32_e32 v2, 0x47
	s_and_saveexec_b64 s[14:15], s[34:35]
	s_cbranch_execz .LBB32_509
; %bb.508:                              ;   in Loop: Header=BB32_12 Depth=1
	v_mad_u64_u32 v[2:3], s[34:35], v3, s37, v[124:125]
	v_add_u32_e32 v8, 0, v126
	v_add_u32_e32 v3, v194, v126
	ds_read2_b32 v[4:5], v8 offset0:64 offset1:65
	ds_read2st64_b32 v[6:7], v3 offset1:17
	ds_read_b32 v8, v8 offset:4608
	v_lshl_add_u32 v2, v2, 7, v239
	v_ashrrev_i32_e32 v3, 31, v2
	v_lshl_add_u64 v[2:3], v[2:3], 3, v[162:163]
	s_waitcnt lgkmcnt(1)
	v_cvt_f32_f16_e32 v10, v6
	v_cvt_f32_f16_sdwa v11, v6 dst_sel:DWORD dst_unused:UNUSED_PAD src0_sel:WORD_1
	v_cvt_f32_f16_e32 v6, v7
	v_cvt_f32_f16_sdwa v7, v7 dst_sel:DWORD dst_unused:UNUSED_PAD src0_sel:WORD_1
	v_pk_fma_f32 v[10:11], v[4:5], v[10:11], 0 op_sel_hi:[0,1,0]
	s_waitcnt lgkmcnt(0)
	v_pk_fma_f32 v[6:7], v[8:9], v[6:7], v[10:11] op_sel_hi:[0,1,1]
	v_div_scale_f32 v4, s[34:35], v5, v5, v7
	v_rcp_f32_e32 v8, v4
	s_nop 0
	v_fma_f32 v9, -v4, v8, 1.0
	v_fmac_f32_e32 v8, v9, v8
	v_div_scale_f32 v9, vcc, v7, v5, v7
	v_mul_f32_e32 v10, v9, v8
	v_fma_f32 v11, -v4, v10, v9
	v_fmac_f32_e32 v10, v11, v8
	v_fma_f32 v4, -v4, v10, v9
	v_div_fmas_f32 v4, v4, v8, v10
	v_div_fixup_f32 v7, v4, v5, v7
	v_div_scale_f32 v4, s[34:35], v5, v5, v6
	v_rcp_f32_e32 v8, v4
	s_nop 0
	v_fma_f32 v9, -v4, v8, 1.0
	v_fmac_f32_e32 v8, v9, v8
	v_div_scale_f32 v9, vcc, v6, v5, v6
	v_mul_f32_e32 v10, v9, v8
	v_fma_f32 v11, -v4, v10, v9
	v_fmac_f32_e32 v10, v11, v8
	v_fma_f32 v4, -v4, v10, v9
	v_div_fmas_f32 v4, v4, v8, v10
	v_div_fixup_f32 v6, v4, v5, v6
	global_store_dwordx2 v[2:3], v[6:7], off
	v_mov_b32_e32 v2, 0
.LBB32_509:                             ;   in Loop: Header=BB32_12 Depth=1
	s_or_b64 exec, exec, s[14:15]
	v_cmp_gt_i32_e32 vcc, s99, v2
	s_mov_b64 s[14:15], -1
	s_and_saveexec_b64 s[78:79], vcc
; %bb.510:                              ;   in Loop: Header=BB32_12 Depth=1
	v_cmp_eq_u32_e32 vcc, 0, v2
	s_orn2_b64 s[14:15], vcc, exec
; %bb.511:                              ;   in Loop: Header=BB32_12 Depth=1
	s_or_b64 exec, exec, s[78:79]
	s_and_b64 exec, exec, s[14:15]
	s_cbranch_execz .LBB32_10
; %bb.512:                              ;   in Loop: Header=BB32_12 Depth=1
	scratch_load_dword v2, off, off         ; 4-byte Folded Reload
	s_waitcnt vmcnt(0)
	v_add_u32_e32 v3, v2, v143
	v_cmp_gt_i32_e32 vcc, s36, v3
	s_and_b64 s[34:35], vcc, s[10:11]
	v_mov_b32_e32 v2, 0x47
	s_and_saveexec_b64 s[14:15], s[34:35]
	s_cbranch_execz .LBB32_514
; %bb.513:                              ;   in Loop: Header=BB32_12 Depth=1
	scratch_load_dword v6, off, off offset:12 ; 4-byte Folded Reload
	v_mad_u64_u32 v[2:3], s[34:35], v3, s37, v[140:141]
	v_lshl_add_u32 v2, v2, 7, v239
	s_waitcnt vmcnt(0)
	v_add_u32_e32 v8, 0, v6
	v_add_u32_e32 v3, v194, v6
	ds_read2_b32 v[4:5], v8 offset0:64 offset1:65
	ds_read2st64_b32 v[6:7], v3 offset1:17
	ds_read_b32 v8, v8 offset:4608
	v_ashrrev_i32_e32 v3, 31, v2
	v_lshl_add_u64 v[2:3], v[2:3], 3, v[162:163]
	s_waitcnt lgkmcnt(1)
	v_cvt_f32_f16_e32 v10, v6
	v_cvt_f32_f16_sdwa v11, v6 dst_sel:DWORD dst_unused:UNUSED_PAD src0_sel:WORD_1
	v_cvt_f32_f16_e32 v6, v7
	v_cvt_f32_f16_sdwa v7, v7 dst_sel:DWORD dst_unused:UNUSED_PAD src0_sel:WORD_1
	v_pk_fma_f32 v[10:11], v[4:5], v[10:11], 0 op_sel_hi:[0,1,0]
	s_waitcnt lgkmcnt(0)
	v_pk_fma_f32 v[6:7], v[8:9], v[6:7], v[10:11] op_sel_hi:[0,1,1]
	v_div_scale_f32 v4, s[34:35], v5, v5, v7
	v_rcp_f32_e32 v8, v4
	s_nop 0
	v_fma_f32 v9, -v4, v8, 1.0
	v_fmac_f32_e32 v8, v9, v8
	v_div_scale_f32 v9, vcc, v7, v5, v7
	v_mul_f32_e32 v10, v9, v8
	v_fma_f32 v11, -v4, v10, v9
	v_fmac_f32_e32 v10, v11, v8
	v_fma_f32 v4, -v4, v10, v9
	v_div_fmas_f32 v4, v4, v8, v10
	v_div_fixup_f32 v7, v4, v5, v7
	v_div_scale_f32 v4, s[34:35], v5, v5, v6
	v_rcp_f32_e32 v8, v4
	s_nop 0
	v_fma_f32 v9, -v4, v8, 1.0
	v_fmac_f32_e32 v8, v9, v8
	v_div_scale_f32 v9, vcc, v6, v5, v6
	v_mul_f32_e32 v10, v9, v8
	v_fma_f32 v11, -v4, v10, v9
	v_fmac_f32_e32 v10, v11, v8
	v_fma_f32 v4, -v4, v10, v9
	v_div_fmas_f32 v4, v4, v8, v10
	v_div_fixup_f32 v6, v4, v5, v6
	global_store_dwordx2 v[2:3], v[6:7], off
	v_mov_b32_e32 v2, 0
.LBB32_514:                             ;   in Loop: Header=BB32_12 Depth=1
	s_or_b64 exec, exec, s[14:15]
	v_cmp_gt_i32_e32 vcc, s99, v2
	s_mov_b64 s[14:15], -1
	s_and_saveexec_b64 s[78:79], vcc
; %bb.515:                              ;   in Loop: Header=BB32_12 Depth=1
	v_cmp_eq_u32_e32 vcc, 0, v2
	s_orn2_b64 s[14:15], vcc, exec
; %bb.516:                              ;   in Loop: Header=BB32_12 Depth=1
	s_or_b64 exec, exec, s[78:79]
	s_and_b64 exec, exec, s[14:15]
	s_cbranch_execz .LBB32_10
; %bb.517:                              ;   in Loop: Header=BB32_12 Depth=1
	scratch_load_dword v2, off, off offset:16 ; 4-byte Folded Reload
	scratch_load_dwordx2 v[4:5], off, off offset:4 ; 8-byte Folded Reload
	s_waitcnt vmcnt(1)
	v_add_u32_e32 v3, v2, v143
	s_waitcnt vmcnt(0)
	v_or_b32_e32 v2, v4, v97
	v_cmp_gt_i32_e32 vcc, s36, v3
	v_cmp_gt_i32_e64 s[14:15], s80, v2
	s_and_b64 s[34:35], vcc, s[14:15]
	v_mov_b32_e32 v2, 0x47
	s_and_saveexec_b64 s[14:15], s[34:35]
	s_cbranch_execz .LBB32_519
; %bb.518:                              ;   in Loop: Header=BB32_12 Depth=1
	scratch_load_dword v6, off, off offset:20 ; 4-byte Folded Reload
	scratch_load_dwordx2 v[10:11], off, off offset:4 ; 8-byte Folded Reload
	s_waitcnt vmcnt(1)
	v_add_u32_e32 v8, 0, v6
	s_waitcnt vmcnt(0)
	v_mad_u64_u32 v[2:3], s[34:35], v3, s37, v[10:11]
	v_add_u32_e32 v3, v194, v6
	ds_read2_b32 v[4:5], v8 offset0:64 offset1:65
	ds_read2st64_b32 v[6:7], v3 offset1:17
	ds_read_b32 v8, v8 offset:4608
	v_lshl_add_u32 v2, v2, 7, v239
	v_ashrrev_i32_e32 v3, 31, v2
	v_lshl_add_u64 v[2:3], v[2:3], 3, v[162:163]
	s_waitcnt lgkmcnt(1)
	v_cvt_f32_f16_e32 v10, v6
	v_cvt_f32_f16_sdwa v11, v6 dst_sel:DWORD dst_unused:UNUSED_PAD src0_sel:WORD_1
	v_cvt_f32_f16_e32 v6, v7
	v_cvt_f32_f16_sdwa v7, v7 dst_sel:DWORD dst_unused:UNUSED_PAD src0_sel:WORD_1
	v_pk_fma_f32 v[10:11], v[4:5], v[10:11], 0 op_sel_hi:[0,1,0]
	s_waitcnt lgkmcnt(0)
	v_pk_fma_f32 v[6:7], v[8:9], v[6:7], v[10:11] op_sel_hi:[0,1,1]
	v_div_scale_f32 v4, s[34:35], v5, v5, v7
	v_rcp_f32_e32 v8, v4
	s_nop 0
	v_fma_f32 v9, -v4, v8, 1.0
	v_fmac_f32_e32 v8, v9, v8
	v_div_scale_f32 v9, vcc, v7, v5, v7
	v_mul_f32_e32 v10, v9, v8
	v_fma_f32 v11, -v4, v10, v9
	v_fmac_f32_e32 v10, v11, v8
	v_fma_f32 v4, -v4, v10, v9
	v_div_fmas_f32 v4, v4, v8, v10
	v_div_fixup_f32 v7, v4, v5, v7
	v_div_scale_f32 v4, s[34:35], v5, v5, v6
	v_rcp_f32_e32 v8, v4
	s_nop 0
	v_fma_f32 v9, -v4, v8, 1.0
	v_fmac_f32_e32 v8, v9, v8
	v_div_scale_f32 v9, vcc, v6, v5, v6
	v_mul_f32_e32 v10, v9, v8
	v_fma_f32 v11, -v4, v10, v9
	v_fmac_f32_e32 v10, v11, v8
	v_fma_f32 v4, -v4, v10, v9
	v_div_fmas_f32 v4, v4, v8, v10
	v_div_fixup_f32 v6, v4, v5, v6
	global_store_dwordx2 v[2:3], v[6:7], off
	v_mov_b32_e32 v2, 0
.LBB32_519:                             ;   in Loop: Header=BB32_12 Depth=1
	s_or_b64 exec, exec, s[14:15]
	v_cmp_gt_i32_e32 vcc, s99, v2
	s_mov_b64 s[14:15], -1
	s_and_saveexec_b64 s[78:79], vcc
; %bb.520:                              ;   in Loop: Header=BB32_12 Depth=1
	v_cmp_eq_u32_e32 vcc, 0, v2
	s_orn2_b64 s[14:15], vcc, exec
; %bb.521:                              ;   in Loop: Header=BB32_12 Depth=1
	s_or_b64 exec, exec, s[78:79]
	s_and_b64 exec, exec, s[14:15]
	s_cbranch_execz .LBB32_10
; %bb.522:                              ;   in Loop: Header=BB32_12 Depth=1
	scratch_load_dword v2, off, off offset:24 ; 4-byte Folded Reload
	s_waitcnt vmcnt(0)
	v_add_u32_e32 v3, v2, v143
	v_cmp_gt_i32_e32 vcc, s36, v3
	s_and_b64 s[34:35], vcc, s[10:11]
	v_mov_b32_e32 v2, 0x47
	s_and_saveexec_b64 s[14:15], s[34:35]
	s_cbranch_execz .LBB32_524
; %bb.523:                              ;   in Loop: Header=BB32_12 Depth=1
	scratch_load_dword v6, off, off offset:36 ; 4-byte Folded Reload
	v_mad_u64_u32 v[2:3], s[34:35], v3, s37, v[140:141]
	v_lshl_add_u32 v2, v2, 7, v239
	s_waitcnt vmcnt(0)
	v_add_u32_e32 v8, 0, v6
	v_add_u32_e32 v3, v194, v6
	ds_read2_b32 v[4:5], v8 offset0:64 offset1:65
	ds_read2st64_b32 v[6:7], v3 offset1:17
	ds_read_b32 v8, v8 offset:4608
	v_ashrrev_i32_e32 v3, 31, v2
	v_lshl_add_u64 v[2:3], v[2:3], 3, v[162:163]
	s_waitcnt lgkmcnt(1)
	v_cvt_f32_f16_e32 v10, v6
	v_cvt_f32_f16_sdwa v11, v6 dst_sel:DWORD dst_unused:UNUSED_PAD src0_sel:WORD_1
	v_cvt_f32_f16_e32 v6, v7
	v_cvt_f32_f16_sdwa v7, v7 dst_sel:DWORD dst_unused:UNUSED_PAD src0_sel:WORD_1
	v_pk_fma_f32 v[10:11], v[4:5], v[10:11], 0 op_sel_hi:[0,1,0]
	s_waitcnt lgkmcnt(0)
	v_pk_fma_f32 v[6:7], v[8:9], v[6:7], v[10:11] op_sel_hi:[0,1,1]
	v_div_scale_f32 v4, s[34:35], v5, v5, v7
	v_rcp_f32_e32 v8, v4
	s_nop 0
	v_fma_f32 v9, -v4, v8, 1.0
	v_fmac_f32_e32 v8, v9, v8
	v_div_scale_f32 v9, vcc, v7, v5, v7
	v_mul_f32_e32 v10, v9, v8
	v_fma_f32 v11, -v4, v10, v9
	v_fmac_f32_e32 v10, v11, v8
	v_fma_f32 v4, -v4, v10, v9
	v_div_fmas_f32 v4, v4, v8, v10
	v_div_fixup_f32 v7, v4, v5, v7
	v_div_scale_f32 v4, s[34:35], v5, v5, v6
	v_rcp_f32_e32 v8, v4
	s_nop 0
	v_fma_f32 v9, -v4, v8, 1.0
	v_fmac_f32_e32 v8, v9, v8
	v_div_scale_f32 v9, vcc, v6, v5, v6
	v_mul_f32_e32 v10, v9, v8
	v_fma_f32 v11, -v4, v10, v9
	v_fmac_f32_e32 v10, v11, v8
	v_fma_f32 v4, -v4, v10, v9
	v_div_fmas_f32 v4, v4, v8, v10
	v_div_fixup_f32 v6, v4, v5, v6
	global_store_dwordx2 v[2:3], v[6:7], off
	v_mov_b32_e32 v2, 0
.LBB32_524:                             ;   in Loop: Header=BB32_12 Depth=1
	s_or_b64 exec, exec, s[14:15]
	v_cmp_gt_i32_e32 vcc, s99, v2
	s_mov_b64 s[14:15], -1
	s_and_saveexec_b64 s[78:79], vcc
; %bb.525:                              ;   in Loop: Header=BB32_12 Depth=1
	v_cmp_eq_u32_e32 vcc, 0, v2
	s_orn2_b64 s[14:15], vcc, exec
; %bb.526:                              ;   in Loop: Header=BB32_12 Depth=1
	s_or_b64 exec, exec, s[78:79]
	s_and_b64 exec, exec, s[14:15]
	s_cbranch_execz .LBB32_10
; %bb.527:                              ;   in Loop: Header=BB32_12 Depth=1
	scratch_load_dword v2, off, off offset:40 ; 4-byte Folded Reload
	scratch_load_dwordx2 v[4:5], off, off offset:28 ; 8-byte Folded Reload
	s_waitcnt vmcnt(1)
	v_add_u32_e32 v3, v2, v143
	s_waitcnt vmcnt(0)
	v_or_b32_e32 v2, v4, v97
	v_cmp_gt_i32_e32 vcc, s36, v3
	v_cmp_gt_i32_e64 s[14:15], s80, v2
	s_and_b64 s[34:35], vcc, s[14:15]
	v_mov_b32_e32 v2, 0x47
	s_and_saveexec_b64 s[14:15], s[34:35]
	s_cbranch_execz .LBB32_529
; %bb.528:                              ;   in Loop: Header=BB32_12 Depth=1
	scratch_load_dword v6, off, off offset:44 ; 4-byte Folded Reload
	scratch_load_dwordx2 v[10:11], off, off offset:28 ; 8-byte Folded Reload
	s_waitcnt vmcnt(1)
	v_add_u32_e32 v8, 0, v6
	s_waitcnt vmcnt(0)
	v_mad_u64_u32 v[2:3], s[34:35], v3, s37, v[10:11]
	v_add_u32_e32 v3, v194, v6
	ds_read2_b32 v[4:5], v8 offset0:64 offset1:65
	ds_read2st64_b32 v[6:7], v3 offset1:17
	ds_read_b32 v8, v8 offset:4608
	v_lshl_add_u32 v2, v2, 7, v239
	v_ashrrev_i32_e32 v3, 31, v2
	v_lshl_add_u64 v[2:3], v[2:3], 3, v[162:163]
	s_waitcnt lgkmcnt(1)
	v_cvt_f32_f16_e32 v10, v6
	v_cvt_f32_f16_sdwa v11, v6 dst_sel:DWORD dst_unused:UNUSED_PAD src0_sel:WORD_1
	v_cvt_f32_f16_e32 v6, v7
	v_cvt_f32_f16_sdwa v7, v7 dst_sel:DWORD dst_unused:UNUSED_PAD src0_sel:WORD_1
	v_pk_fma_f32 v[10:11], v[4:5], v[10:11], 0 op_sel_hi:[0,1,0]
	s_waitcnt lgkmcnt(0)
	v_pk_fma_f32 v[6:7], v[8:9], v[6:7], v[10:11] op_sel_hi:[0,1,1]
	v_div_scale_f32 v4, s[34:35], v5, v5, v7
	v_rcp_f32_e32 v8, v4
	s_nop 0
	v_fma_f32 v9, -v4, v8, 1.0
	v_fmac_f32_e32 v8, v9, v8
	v_div_scale_f32 v9, vcc, v7, v5, v7
	v_mul_f32_e32 v10, v9, v8
	v_fma_f32 v11, -v4, v10, v9
	v_fmac_f32_e32 v10, v11, v8
	v_fma_f32 v4, -v4, v10, v9
	v_div_fmas_f32 v4, v4, v8, v10
	v_div_fixup_f32 v7, v4, v5, v7
	v_div_scale_f32 v4, s[34:35], v5, v5, v6
	v_rcp_f32_e32 v8, v4
	s_nop 0
	v_fma_f32 v9, -v4, v8, 1.0
	v_fmac_f32_e32 v8, v9, v8
	v_div_scale_f32 v9, vcc, v6, v5, v6
	v_mul_f32_e32 v10, v9, v8
	v_fma_f32 v11, -v4, v10, v9
	v_fmac_f32_e32 v10, v11, v8
	v_fma_f32 v4, -v4, v10, v9
	v_div_fmas_f32 v4, v4, v8, v10
	v_div_fixup_f32 v6, v4, v5, v6
	global_store_dwordx2 v[2:3], v[6:7], off
	v_mov_b32_e32 v2, 0
.LBB32_529:                             ;   in Loop: Header=BB32_12 Depth=1
	s_or_b64 exec, exec, s[14:15]
	v_cmp_gt_i32_e32 vcc, s99, v2
	s_mov_b64 s[14:15], -1
	s_and_saveexec_b64 s[78:79], vcc
; %bb.530:                              ;   in Loop: Header=BB32_12 Depth=1
	v_cmp_eq_u32_e32 vcc, 0, v2
	s_orn2_b64 s[14:15], vcc, exec
; %bb.531:                              ;   in Loop: Header=BB32_12 Depth=1
	s_or_b64 exec, exec, s[78:79]
	s_and_b64 exec, exec, s[14:15]
	s_cbranch_execz .LBB32_10
; %bb.532:                              ;   in Loop: Header=BB32_12 Depth=1
	scratch_load_dword v2, off, off offset:48 ; 4-byte Folded Reload
	s_waitcnt vmcnt(0)
	v_add_u32_e32 v3, v2, v143
	v_cmp_gt_i32_e32 vcc, s36, v3
	s_and_b64 s[34:35], vcc, s[10:11]
	v_mov_b32_e32 v2, 0x47
	s_and_saveexec_b64 s[14:15], s[34:35]
	s_cbranch_execz .LBB32_534
; %bb.533:                              ;   in Loop: Header=BB32_12 Depth=1
	scratch_load_dword v6, off, off offset:60 ; 4-byte Folded Reload
	v_mad_u64_u32 v[2:3], s[34:35], v3, s37, v[140:141]
	v_lshl_add_u32 v2, v2, 7, v239
	s_waitcnt vmcnt(0)
	v_add_u32_e32 v8, 0, v6
	v_add_u32_e32 v3, v194, v6
	ds_read2_b32 v[4:5], v8 offset0:64 offset1:65
	ds_read2st64_b32 v[6:7], v3 offset1:17
	ds_read_b32 v8, v8 offset:4608
	v_ashrrev_i32_e32 v3, 31, v2
	v_lshl_add_u64 v[2:3], v[2:3], 3, v[162:163]
	s_waitcnt lgkmcnt(1)
	v_cvt_f32_f16_e32 v10, v6
	v_cvt_f32_f16_sdwa v11, v6 dst_sel:DWORD dst_unused:UNUSED_PAD src0_sel:WORD_1
	v_cvt_f32_f16_e32 v6, v7
	v_cvt_f32_f16_sdwa v7, v7 dst_sel:DWORD dst_unused:UNUSED_PAD src0_sel:WORD_1
	v_pk_fma_f32 v[10:11], v[4:5], v[10:11], 0 op_sel_hi:[0,1,0]
	s_waitcnt lgkmcnt(0)
	v_pk_fma_f32 v[6:7], v[8:9], v[6:7], v[10:11] op_sel_hi:[0,1,1]
	v_div_scale_f32 v4, s[34:35], v5, v5, v7
	v_rcp_f32_e32 v8, v4
	s_nop 0
	v_fma_f32 v9, -v4, v8, 1.0
	v_fmac_f32_e32 v8, v9, v8
	v_div_scale_f32 v9, vcc, v7, v5, v7
	v_mul_f32_e32 v10, v9, v8
	v_fma_f32 v11, -v4, v10, v9
	v_fmac_f32_e32 v10, v11, v8
	v_fma_f32 v4, -v4, v10, v9
	v_div_fmas_f32 v4, v4, v8, v10
	v_div_fixup_f32 v7, v4, v5, v7
	v_div_scale_f32 v4, s[34:35], v5, v5, v6
	v_rcp_f32_e32 v8, v4
	s_nop 0
	v_fma_f32 v9, -v4, v8, 1.0
	v_fmac_f32_e32 v8, v9, v8
	v_div_scale_f32 v9, vcc, v6, v5, v6
	v_mul_f32_e32 v10, v9, v8
	v_fma_f32 v11, -v4, v10, v9
	v_fmac_f32_e32 v10, v11, v8
	v_fma_f32 v4, -v4, v10, v9
	v_div_fmas_f32 v4, v4, v8, v10
	v_div_fixup_f32 v6, v4, v5, v6
	global_store_dwordx2 v[2:3], v[6:7], off
	v_mov_b32_e32 v2, 0
.LBB32_534:                             ;   in Loop: Header=BB32_12 Depth=1
	s_or_b64 exec, exec, s[14:15]
	v_cmp_gt_i32_e32 vcc, s99, v2
	s_mov_b64 s[14:15], -1
	s_and_saveexec_b64 s[78:79], vcc
; %bb.535:                              ;   in Loop: Header=BB32_12 Depth=1
	v_cmp_eq_u32_e32 vcc, 0, v2
	s_orn2_b64 s[14:15], vcc, exec
; %bb.536:                              ;   in Loop: Header=BB32_12 Depth=1
	s_or_b64 exec, exec, s[78:79]
	s_and_b64 exec, exec, s[14:15]
	s_cbranch_execz .LBB32_10
; %bb.537:                              ;   in Loop: Header=BB32_12 Depth=1
	scratch_load_dword v2, off, off offset:64 ; 4-byte Folded Reload
	scratch_load_dwordx2 v[4:5], off, off offset:52 ; 8-byte Folded Reload
	s_waitcnt vmcnt(1)
	v_add_u32_e32 v3, v2, v143
	s_waitcnt vmcnt(0)
	v_or_b32_e32 v2, v4, v97
	v_cmp_gt_i32_e32 vcc, s36, v3
	v_cmp_gt_i32_e64 s[14:15], s80, v2
	s_and_b64 s[34:35], vcc, s[14:15]
	v_mov_b32_e32 v2, 0x47
	s_and_saveexec_b64 s[14:15], s[34:35]
	s_cbranch_execz .LBB32_539
; %bb.538:                              ;   in Loop: Header=BB32_12 Depth=1
	scratch_load_dword v6, off, off offset:68 ; 4-byte Folded Reload
	scratch_load_dwordx2 v[10:11], off, off offset:52 ; 8-byte Folded Reload
	s_waitcnt vmcnt(1)
	v_add_u32_e32 v8, 0, v6
	s_waitcnt vmcnt(0)
	v_mad_u64_u32 v[2:3], s[34:35], v3, s37, v[10:11]
	v_add_u32_e32 v3, v194, v6
	ds_read2_b32 v[4:5], v8 offset0:64 offset1:65
	ds_read2st64_b32 v[6:7], v3 offset1:17
	ds_read_b32 v8, v8 offset:4608
	v_lshl_add_u32 v2, v2, 7, v239
	v_ashrrev_i32_e32 v3, 31, v2
	v_lshl_add_u64 v[2:3], v[2:3], 3, v[162:163]
	s_waitcnt lgkmcnt(1)
	v_cvt_f32_f16_e32 v10, v6
	v_cvt_f32_f16_sdwa v11, v6 dst_sel:DWORD dst_unused:UNUSED_PAD src0_sel:WORD_1
	v_cvt_f32_f16_e32 v6, v7
	v_cvt_f32_f16_sdwa v7, v7 dst_sel:DWORD dst_unused:UNUSED_PAD src0_sel:WORD_1
	v_pk_fma_f32 v[10:11], v[4:5], v[10:11], 0 op_sel_hi:[0,1,0]
	s_waitcnt lgkmcnt(0)
	v_pk_fma_f32 v[6:7], v[8:9], v[6:7], v[10:11] op_sel_hi:[0,1,1]
	v_div_scale_f32 v4, s[34:35], v5, v5, v7
	v_rcp_f32_e32 v8, v4
	s_nop 0
	v_fma_f32 v9, -v4, v8, 1.0
	v_fmac_f32_e32 v8, v9, v8
	v_div_scale_f32 v9, vcc, v7, v5, v7
	v_mul_f32_e32 v10, v9, v8
	v_fma_f32 v11, -v4, v10, v9
	v_fmac_f32_e32 v10, v11, v8
	v_fma_f32 v4, -v4, v10, v9
	v_div_fmas_f32 v4, v4, v8, v10
	v_div_fixup_f32 v7, v4, v5, v7
	v_div_scale_f32 v4, s[34:35], v5, v5, v6
	v_rcp_f32_e32 v8, v4
	s_nop 0
	v_fma_f32 v9, -v4, v8, 1.0
	v_fmac_f32_e32 v8, v9, v8
	v_div_scale_f32 v9, vcc, v6, v5, v6
	v_mul_f32_e32 v10, v9, v8
	v_fma_f32 v11, -v4, v10, v9
	v_fmac_f32_e32 v10, v11, v8
	v_fma_f32 v4, -v4, v10, v9
	v_div_fmas_f32 v4, v4, v8, v10
	v_div_fixup_f32 v6, v4, v5, v6
	global_store_dwordx2 v[2:3], v[6:7], off
	v_mov_b32_e32 v2, 0
.LBB32_539:                             ;   in Loop: Header=BB32_12 Depth=1
	s_or_b64 exec, exec, s[14:15]
	v_cmp_gt_i32_e32 vcc, s99, v2
	s_mov_b64 s[14:15], -1
	s_and_saveexec_b64 s[78:79], vcc
; %bb.540:                              ;   in Loop: Header=BB32_12 Depth=1
	v_cmp_eq_u32_e32 vcc, 0, v2
	s_orn2_b64 s[14:15], vcc, exec
; %bb.541:                              ;   in Loop: Header=BB32_12 Depth=1
	s_or_b64 exec, exec, s[78:79]
	s_and_b64 exec, exec, s[14:15]
	s_cbranch_execz .LBB32_10
; %bb.542:                              ;   in Loop: Header=BB32_12 Depth=1
	scratch_load_dword v2, off, off offset:72 ; 4-byte Folded Reload
	s_waitcnt vmcnt(0)
	v_add_u32_e32 v3, v2, v143
	v_cmp_gt_i32_e32 vcc, s36, v3
	s_and_b64 s[34:35], vcc, s[10:11]
	v_mov_b32_e32 v2, 0x47
	s_and_saveexec_b64 s[14:15], s[34:35]
	s_cbranch_execz .LBB32_544
; %bb.543:                              ;   in Loop: Header=BB32_12 Depth=1
	scratch_load_dword v6, off, off offset:84 ; 4-byte Folded Reload
	v_mad_u64_u32 v[2:3], s[34:35], v3, s37, v[140:141]
	v_lshl_add_u32 v2, v2, 7, v239
	s_waitcnt vmcnt(0)
	v_add_u32_e32 v8, 0, v6
	v_add_u32_e32 v3, v194, v6
	ds_read2_b32 v[4:5], v8 offset0:64 offset1:65
	ds_read2st64_b32 v[6:7], v3 offset1:17
	ds_read_b32 v8, v8 offset:4608
	v_ashrrev_i32_e32 v3, 31, v2
	v_lshl_add_u64 v[2:3], v[2:3], 3, v[162:163]
	s_waitcnt lgkmcnt(1)
	v_cvt_f32_f16_e32 v10, v6
	v_cvt_f32_f16_sdwa v11, v6 dst_sel:DWORD dst_unused:UNUSED_PAD src0_sel:WORD_1
	v_cvt_f32_f16_e32 v6, v7
	v_cvt_f32_f16_sdwa v7, v7 dst_sel:DWORD dst_unused:UNUSED_PAD src0_sel:WORD_1
	v_pk_fma_f32 v[10:11], v[4:5], v[10:11], 0 op_sel_hi:[0,1,0]
	s_waitcnt lgkmcnt(0)
	v_pk_fma_f32 v[6:7], v[8:9], v[6:7], v[10:11] op_sel_hi:[0,1,1]
	v_div_scale_f32 v4, s[34:35], v5, v5, v7
	v_rcp_f32_e32 v8, v4
	s_nop 0
	v_fma_f32 v9, -v4, v8, 1.0
	v_fmac_f32_e32 v8, v9, v8
	v_div_scale_f32 v9, vcc, v7, v5, v7
	v_mul_f32_e32 v10, v9, v8
	v_fma_f32 v11, -v4, v10, v9
	v_fmac_f32_e32 v10, v11, v8
	v_fma_f32 v4, -v4, v10, v9
	v_div_fmas_f32 v4, v4, v8, v10
	v_div_fixup_f32 v7, v4, v5, v7
	v_div_scale_f32 v4, s[34:35], v5, v5, v6
	v_rcp_f32_e32 v8, v4
	s_nop 0
	v_fma_f32 v9, -v4, v8, 1.0
	v_fmac_f32_e32 v8, v9, v8
	v_div_scale_f32 v9, vcc, v6, v5, v6
	v_mul_f32_e32 v10, v9, v8
	v_fma_f32 v11, -v4, v10, v9
	v_fmac_f32_e32 v10, v11, v8
	v_fma_f32 v4, -v4, v10, v9
	v_div_fmas_f32 v4, v4, v8, v10
	v_div_fixup_f32 v6, v4, v5, v6
	global_store_dwordx2 v[2:3], v[6:7], off
	v_mov_b32_e32 v2, 0
.LBB32_544:                             ;   in Loop: Header=BB32_12 Depth=1
	s_or_b64 exec, exec, s[14:15]
	v_cmp_gt_i32_e32 vcc, s99, v2
	s_mov_b64 s[14:15], -1
	s_and_saveexec_b64 s[78:79], vcc
; %bb.545:                              ;   in Loop: Header=BB32_12 Depth=1
	v_cmp_eq_u32_e32 vcc, 0, v2
	s_orn2_b64 s[14:15], vcc, exec
; %bb.546:                              ;   in Loop: Header=BB32_12 Depth=1
	s_or_b64 exec, exec, s[78:79]
	s_and_b64 exec, exec, s[14:15]
	s_cbranch_execz .LBB32_10
; %bb.547:                              ;   in Loop: Header=BB32_12 Depth=1
	scratch_load_dword v2, off, off offset:88 ; 4-byte Folded Reload
	scratch_load_dwordx2 v[4:5], off, off offset:76 ; 8-byte Folded Reload
	s_waitcnt vmcnt(1)
	v_add_u32_e32 v3, v2, v143
	s_waitcnt vmcnt(0)
	v_or_b32_e32 v2, v4, v97
	v_cmp_gt_i32_e32 vcc, s36, v3
	v_cmp_gt_i32_e64 s[14:15], s80, v2
	s_and_b64 s[34:35], vcc, s[14:15]
	v_mov_b32_e32 v2, 0x47
	s_and_saveexec_b64 s[14:15], s[34:35]
	s_cbranch_execz .LBB32_549
; %bb.548:                              ;   in Loop: Header=BB32_12 Depth=1
	scratch_load_dword v6, off, off offset:92 ; 4-byte Folded Reload
	scratch_load_dwordx2 v[10:11], off, off offset:76 ; 8-byte Folded Reload
	s_waitcnt vmcnt(1)
	v_add_u32_e32 v8, 0, v6
	s_waitcnt vmcnt(0)
	v_mad_u64_u32 v[2:3], s[34:35], v3, s37, v[10:11]
	v_add_u32_e32 v3, v194, v6
	ds_read2_b32 v[4:5], v8 offset0:64 offset1:65
	ds_read2st64_b32 v[6:7], v3 offset1:17
	ds_read_b32 v8, v8 offset:4608
	v_lshl_add_u32 v2, v2, 7, v239
	v_ashrrev_i32_e32 v3, 31, v2
	v_lshl_add_u64 v[2:3], v[2:3], 3, v[162:163]
	s_waitcnt lgkmcnt(1)
	v_cvt_f32_f16_e32 v10, v6
	v_cvt_f32_f16_sdwa v11, v6 dst_sel:DWORD dst_unused:UNUSED_PAD src0_sel:WORD_1
	v_cvt_f32_f16_e32 v6, v7
	v_cvt_f32_f16_sdwa v7, v7 dst_sel:DWORD dst_unused:UNUSED_PAD src0_sel:WORD_1
	v_pk_fma_f32 v[10:11], v[4:5], v[10:11], 0 op_sel_hi:[0,1,0]
	s_waitcnt lgkmcnt(0)
	v_pk_fma_f32 v[6:7], v[8:9], v[6:7], v[10:11] op_sel_hi:[0,1,1]
	v_div_scale_f32 v4, s[34:35], v5, v5, v7
	v_rcp_f32_e32 v8, v4
	s_nop 0
	v_fma_f32 v9, -v4, v8, 1.0
	v_fmac_f32_e32 v8, v9, v8
	v_div_scale_f32 v9, vcc, v7, v5, v7
	v_mul_f32_e32 v10, v9, v8
	v_fma_f32 v11, -v4, v10, v9
	v_fmac_f32_e32 v10, v11, v8
	v_fma_f32 v4, -v4, v10, v9
	v_div_fmas_f32 v4, v4, v8, v10
	v_div_fixup_f32 v7, v4, v5, v7
	v_div_scale_f32 v4, s[34:35], v5, v5, v6
	v_rcp_f32_e32 v8, v4
	s_nop 0
	v_fma_f32 v9, -v4, v8, 1.0
	v_fmac_f32_e32 v8, v9, v8
	v_div_scale_f32 v9, vcc, v6, v5, v6
	v_mul_f32_e32 v10, v9, v8
	v_fma_f32 v11, -v4, v10, v9
	v_fmac_f32_e32 v10, v11, v8
	v_fma_f32 v4, -v4, v10, v9
	v_div_fmas_f32 v4, v4, v8, v10
	v_div_fixup_f32 v6, v4, v5, v6
	global_store_dwordx2 v[2:3], v[6:7], off
	v_mov_b32_e32 v2, 0
.LBB32_549:                             ;   in Loop: Header=BB32_12 Depth=1
	s_or_b64 exec, exec, s[14:15]
	v_cmp_gt_i32_e32 vcc, s99, v2
	s_mov_b64 s[14:15], -1
	s_and_saveexec_b64 s[78:79], vcc
; %bb.550:                              ;   in Loop: Header=BB32_12 Depth=1
	v_cmp_eq_u32_e32 vcc, 0, v2
	s_orn2_b64 s[14:15], vcc, exec
; %bb.551:                              ;   in Loop: Header=BB32_12 Depth=1
	s_or_b64 exec, exec, s[78:79]
	s_and_b64 exec, exec, s[14:15]
	s_cbranch_execz .LBB32_10
; %bb.552:                              ;   in Loop: Header=BB32_12 Depth=1
	scratch_load_dword v2, off, off offset:96 ; 4-byte Folded Reload
	v_mov_b32_e32 v3, 0x47
	s_waitcnt vmcnt(0)
	v_add_u32_e32 v2, v2, v143
	v_cmp_gt_i32_e32 vcc, s36, v2
	s_and_b64 s[14:15], vcc, s[10:11]
	s_and_saveexec_b64 s[10:11], s[14:15]
	s_cbranch_execz .LBB32_554
; %bb.553:                              ;   in Loop: Header=BB32_12 Depth=1
	scratch_load_dword v6, off, off offset:108 ; 4-byte Folded Reload
	s_waitcnt vmcnt(0)
	v_add_u32_e32 v3, v194, v6
	ds_read2st64_b32 v[4:5], v3 offset1:17
	v_add_u32_e32 v3, 0, v6
	ds_read2_b32 v[6:7], v3 offset0:64 offset1:65
	ds_read_b32 v8, v3 offset:4608
	v_mad_u64_u32 v[2:3], s[14:15], v2, s37, v[140:141]
	s_waitcnt lgkmcnt(2)
	v_cvt_f32_f16_e32 v10, v4
	v_cvt_f32_f16_sdwa v11, v4 dst_sel:DWORD dst_unused:UNUSED_PAD src0_sel:WORD_1
	v_cvt_f32_f16_e32 v4, v5
	v_cvt_f32_f16_sdwa v5, v5 dst_sel:DWORD dst_unused:UNUSED_PAD src0_sel:WORD_1
	v_lshl_add_u32 v2, v2, 7, v239
	s_waitcnt lgkmcnt(1)
	v_pk_fma_f32 v[10:11], v[6:7], v[10:11], 0 op_sel_hi:[0,1,0]
	v_ashrrev_i32_e32 v3, 31, v2
	s_waitcnt lgkmcnt(0)
	v_pk_fma_f32 v[4:5], v[8:9], v[4:5], v[10:11] op_sel_hi:[0,1,1]
	v_div_scale_f32 v6, s[14:15], v7, v7, v5
	v_rcp_f32_e32 v8, v6
	v_lshl_add_u64 v[2:3], v[2:3], 3, v[162:163]
	v_fma_f32 v9, -v6, v8, 1.0
	v_fmac_f32_e32 v8, v9, v8
	v_div_scale_f32 v9, vcc, v5, v7, v5
	v_mul_f32_e32 v10, v9, v8
	v_fma_f32 v11, -v6, v10, v9
	v_fmac_f32_e32 v10, v11, v8
	v_fma_f32 v6, -v6, v10, v9
	v_div_scale_f32 v9, s[14:15], v7, v7, v4
	v_rcp_f32_e32 v11, v9
	v_div_fmas_f32 v6, v6, v8, v10
	v_div_fixup_f32 v5, v6, v7, v5
	v_fma_f32 v6, -v9, v11, 1.0
	v_fmac_f32_e32 v11, v6, v11
	v_div_scale_f32 v6, vcc, v4, v7, v4
	v_mul_f32_e32 v8, v6, v11
	v_fma_f32 v10, -v9, v8, v6
	v_fmac_f32_e32 v8, v10, v11
	v_fma_f32 v6, -v9, v8, v6
	v_div_fmas_f32 v6, v6, v11, v8
	v_div_fixup_f32 v4, v6, v7, v4
	global_store_dwordx2 v[2:3], v[4:5], off
	v_mov_b32_e32 v3, 0
.LBB32_554:                             ;   in Loop: Header=BB32_12 Depth=1
	s_or_b64 exec, exec, s[10:11]
	v_cmp_gt_i32_e32 vcc, s99, v3
	s_mov_b64 s[10:11], -1
	s_and_saveexec_b64 s[14:15], vcc
; %bb.555:                              ;   in Loop: Header=BB32_12 Depth=1
	v_cmp_eq_u32_e32 vcc, 0, v3
	s_orn2_b64 s[10:11], vcc, exec
; %bb.556:                              ;   in Loop: Header=BB32_12 Depth=1
	s_or_b64 exec, exec, s[14:15]
	s_and_b64 exec, exec, s[10:11]
	s_cbranch_execz .LBB32_10
; %bb.557:                              ;   in Loop: Header=BB32_12 Depth=1
	scratch_load_dword v2, off, off offset:112 ; 4-byte Folded Reload
	scratch_load_dwordx2 v[4:5], off, off offset:100 ; 8-byte Folded Reload
	s_waitcnt vmcnt(1)
	v_add_u32_e32 v2, v2, v143
	s_waitcnt vmcnt(0)
	v_or_b32_e32 v3, v4, v97
	v_cmp_gt_i32_e32 vcc, s36, v2
	v_cmp_gt_i32_e64 s[10:11], s80, v3
	s_and_b64 s[10:11], vcc, s[10:11]
	s_and_b64 exec, exec, s[10:11]
	s_cbranch_execz .LBB32_10
; %bb.558:                              ;   in Loop: Header=BB32_12 Depth=1
	scratch_load_dword v6, off, off offset:116 ; 4-byte Folded Reload
	s_waitcnt vmcnt(0)
	v_add_u32_e32 v3, v194, v6
	ds_read2st64_b32 v[4:5], v3 offset1:17
	v_add_u32_e32 v3, 0, v6
	ds_read2_b32 v[6:7], v3 offset0:64 offset1:65
	ds_read_b32 v8, v3 offset:4608
	scratch_load_dwordx2 v[12:13], off, off offset:100 ; 8-byte Folded Reload
	s_waitcnt lgkmcnt(2)
	v_cvt_f32_f16_e32 v10, v4
	v_cvt_f32_f16_sdwa v11, v4 dst_sel:DWORD dst_unused:UNUSED_PAD src0_sel:WORD_1
	v_cvt_f32_f16_e32 v4, v5
	v_cvt_f32_f16_sdwa v5, v5 dst_sel:DWORD dst_unused:UNUSED_PAD src0_sel:WORD_1
	s_waitcnt lgkmcnt(1)
	v_pk_fma_f32 v[10:11], v[6:7], v[10:11], 0 op_sel_hi:[0,1,0]
	s_waitcnt lgkmcnt(0)
	v_pk_fma_f32 v[4:5], v[8:9], v[4:5], v[10:11] op_sel_hi:[0,1,1]
	v_div_scale_f32 v6, s[10:11], v7, v7, v5
	v_rcp_f32_e32 v8, v6
	s_waitcnt vmcnt(0)
	v_mad_u64_u32 v[2:3], s[10:11], v2, s37, v[12:13]
	v_fma_f32 v9, -v6, v8, 1.0
	v_fmac_f32_e32 v8, v9, v8
	v_div_scale_f32 v9, vcc, v5, v7, v5
	v_mul_f32_e32 v10, v9, v8
	v_fma_f32 v11, -v6, v10, v9
	v_fmac_f32_e32 v10, v11, v8
	v_fma_f32 v6, -v6, v10, v9
	v_div_scale_f32 v9, s[10:11], v7, v7, v4
	v_rcp_f32_e32 v11, v9
	v_div_fmas_f32 v6, v6, v8, v10
	v_div_fixup_f32 v5, v6, v7, v5
	v_lshl_add_u32 v2, v2, 7, v239
	v_fma_f32 v6, -v9, v11, 1.0
	v_fmac_f32_e32 v11, v6, v11
	v_div_scale_f32 v6, vcc, v4, v7, v4
	v_mul_f32_e32 v8, v6, v11
	v_fma_f32 v10, -v9, v8, v6
	v_fmac_f32_e32 v8, v10, v11
	v_fma_f32 v6, -v9, v8, v6
	v_ashrrev_i32_e32 v3, 31, v2
	v_div_fmas_f32 v6, v6, v11, v8
	v_lshl_add_u64 v[2:3], v[2:3], 3, v[162:163]
	v_div_fixup_f32 v4, v6, v7, v4
	global_store_dwordx2 v[2:3], v[4:5], off
	s_branch .LBB32_10
.LBB32_559:
	v_readlane_b32 s66, v255, 0
	v_readlane_b32 s67, v255, 1
	s_andn2_b64 vcc, exec, s[10:11]
	s_cbranch_vccnz .LBB32_8
.LBB32_560:
	s_abs_i32 s0, s84
	v_cvt_f32_u32_e32 v2, s0
	s_sub_i32 s5, 0, s0
	s_abs_i32 s4, s58
	s_xor_b32 s1, s58, s84
	v_rcp_iflag_f32_e32 v2, v2
	s_ashr_i32 s1, s1, 31
	v_mov_b32_e32 v32, s34
	v_mul_f32_e32 v2, 0x4f7ffffe, v2
	v_cvt_u32_f32_e32 v2, v2
	s_nop 0
	v_readfirstlane_b32 s6, v2
	s_mul_i32 s5, s5, s6
	s_mul_hi_u32 s5, s6, s5
	s_add_i32 s6, s6, s5
	s_mul_hi_u32 s5, s4, s6
	s_mul_i32 s6, s5, s0
	s_sub_i32 s4, s4, s6
	s_add_i32 s7, s5, 1
	s_sub_i32 s6, s4, s0
	s_cmp_ge_u32 s4, s0
	s_cselect_b32 s5, s7, s5
	s_cselect_b32 s4, s6, s4
	s_add_i32 s6, s5, 1
	s_cmp_ge_u32 s4, s0
	s_cselect_b32 s0, s6, s5
	s_abs_i32 s4, s83
	v_cvt_f32_u32_e32 v2, s4
	s_xor_b32 s0, s0, s1
	s_sub_i32 s5, 0, s4
	s_sub_i32 s8, s0, s1
	v_rcp_iflag_f32_e32 v2, v2
	s_mul_i32 s0, s8, s84
	s_sub_i32 s0, s58, s0
	s_abs_i32 s6, s0
	v_mul_f32_e32 v2, 0x4f7ffffe, v2
	v_cvt_u32_f32_e32 v2, v2
	s_xor_b32 s1, s0, s83
	s_ashr_i32 s1, s1, 31
	v_readfirstlane_b32 s7, v2
	s_mul_i32 s5, s5, s7
	s_mul_hi_u32 s5, s7, s5
	s_add_i32 s7, s7, s5
	s_mul_hi_u32 s5, s6, s7
	s_mul_i32 s7, s5, s4
	s_sub_i32 s6, s6, s7
	s_add_i32 s9, s5, 1
	s_sub_i32 s7, s6, s4
	s_cmp_ge_u32 s6, s4
	s_cselect_b32 s5, s9, s5
	s_cselect_b32 s6, s7, s6
	s_add_i32 s7, s5, 1
	s_cmp_ge_u32 s6, s4
	s_cselect_b32 s4, s7, s5
	s_abs_i32 s5, s82
	v_cvt_f32_u32_e32 v2, s5
	s_xor_b32 s4, s4, s1
	s_sub_i32 s6, 0, s5
	s_sub_i32 s9, s4, s1
	v_rcp_iflag_f32_e32 v2, v2
	s_mul_i32 s1, s9, s83
	s_sub_i32 s1, s0, s1
	s_abs_i32 s4, s1
	v_mul_f32_e32 v2, 0x4f7ffffe, v2
	v_cvt_u32_f32_e32 v2, v2
	s_xor_b32 s0, s1, s82
	s_ashr_i32 s0, s0, 31
	v_readfirstlane_b32 s7, v2
	s_mul_i32 s6, s6, s7
	s_mul_hi_u32 s6, s7, s6
	s_add_i32 s7, s7, s6
	s_mul_hi_u32 s6, s4, s7
	s_mul_i32 s7, s6, s5
	s_sub_i32 s4, s4, s7
	s_add_i32 s10, s6, 1
	s_sub_i32 s7, s4, s5
	s_cmp_ge_u32 s4, s5
	s_cselect_b32 s6, s10, s6
	s_cselect_b32 s4, s7, s4
	s_add_i32 s7, s6, 1
	s_cmp_ge_u32 s4, s5
	s_cselect_b32 s4, s7, s6
	s_xor_b32 s4, s4, s0
	s_sub_i32 s0, s4, s0
	s_mul_i32 s4, s0, s82
	s_sub_i32 s1, s1, s4
	s_ashr_i32 s4, s1, 31
	s_abs_i32 s1, s1
	s_mul_hi_u32 s5, s1, s54
	s_mul_i32 s6, s5, s86
	s_sub_i32 s1, s1, s6
	s_xor_b32 s4, s4, s42
	s_add_i32 s6, s5, 1
	s_sub_i32 s7, s1, s86
	s_cmp_ge_u32 s1, s86
	s_cselect_b32 s5, s6, s5
	s_cselect_b32 s1, s7, s1
	s_add_i32 s6, s5, 1
	s_cmp_ge_u32 s1, s86
	s_cselect_b32 s1, s6, s5
	s_abs_i32 s10, s60
	v_cvt_f32_u32_e32 v2, s10
	s_xor_b32 s1, s1, s4
	s_sub_i32 s1, s1, s4
	s_cmp_eq_u64 s[26:27], 0
	v_rcp_iflag_f32_e32 v2, v2
	s_nop 0
	v_mul_f32_e32 v2, 0x4f7ffffe, v2
	v_cvt_u32_f32_e32 v2, v2
	s_nop 0
	v_readfirstlane_b32 s11, v2
	s_cbranch_scc1 .LBB32_562
; %bb.561:
	s_mul_i32 s4, s8, s81
	s_add_i32 s4, s1, s4
	s_ashr_i32 s5, s4, 31
	s_lshl_b64 s[4:5], s[4:5], 2
	s_add_u32 s4, s26, s4
	s_addc_u32 s5, s27, s5
	v_mov_b32_e32 v2, 0
	global_load_dword v2, v2, s[4:5]
	s_waitcnt vmcnt(0)
	v_ashrrev_i32_e32 v3, 31, v2
	v_lshrrev_b32_e32 v3, 26, v3
	v_add_u32_e32 v2, v2, v3
	v_ashrrev_i32_e32 v2, 6, v2
	v_min_i32_e32 v32, s34, v2
.LBB32_562:
	s_mul_i32 s4, s9, s80
	s_lshl_b32 s5, s0, 3
	s_add_i32 s0, s5, s4
	s_mul_i32 s4, s8, s57
	s_ashr_i32 s6, s4, 31
	s_add_u32 s4, s16, s4
	s_mul_i32 s0, s0, s56
	s_addc_u32 s7, s17, s6
	s_ashr_i32 s12, s0, 31
	s_add_u32 s6, s4, s0
	s_addc_u32 s7, s7, s12
	v_and_b32_e32 v92, 0x3ff, v0
	s_lshl_b32 s12, s1, 3
	v_bfe_u32 v0, v141, 3, 7
	v_add_u32_e32 v2, s12, v0
	v_or_b32_e32 v0, s5, v123
	v_cmp_le_i32_e64 s[0:1], s36, v2
	v_cmp_le_i32_e64 s[4:5], s80, v0
	s_mov_b32 s13, 0x10001
	v_lshl_add_u32 v93, v92, 2, 0
	v_cmp_gt_i32_e32 vcc, s80, v0
	s_or_b64 s[0:1], s[0:1], s[4:5]
	s_and_saveexec_b64 s[4:5], s[0:1]
	s_xor_b64 s[0:1], exec, s[4:5]
; %bb.563:
	s_movk_i32 s4, 0x210
	v_mad_u32_u24 v0, v95, s4, v93
	v_mov_b32_e32 v2, 0
	ds_write2st64_b32 v0, v2, v2 offset1:1
                                        ; implicit-def: $vgpr2
; %bb.564:
	s_or_saveexec_b64 s[0:1], s[0:1]
	v_mul_lo_u32 v0, v137, s13
	v_lshlrev_b32_e32 v117, 2, v92
	s_xor_b64 exec, exec, s[0:1]
	s_cbranch_execz .LBB32_566
; %bb.565:
	v_mul_lo_u32 v2, v2, s59
	v_mul_lo_u32 v3, v123, s63
	v_add3_u32 v2, v2, v3, v92
	v_ashrrev_i32_e32 v3, 31, v2
	v_lshl_add_u64 v[2:3], v[2:3], 3, s[6:7]
	global_load_dwordx2 v[4:5], v[2:3], off
	global_load_dwordx2 v[6:7], v[2:3], off offset:512
	v_mul_u32_u24_e32 v2, 0x210, v95
	v_add3_u32 v2, 0, v2, v117
	s_waitcnt vmcnt(1)
	v_cvt_pk_f16_f32 v3, v4, v5
	s_waitcnt vmcnt(0)
	v_cvt_pk_f16_f32 v4, v6, v7
	v_pk_mul_f16 v3, v3, v0
	v_pk_mul_f16 v4, v4, v0
	ds_write2st64_b32 v2, v3, v4 offset1:1
.LBB32_566:
	s_or_b64 exec, exec, s[0:1]
	v_lshrrev_b32_e32 v2, 3, v135
	v_add_u32_e32 v2, s12, v2
	v_cmp_le_i32_e64 s[0:1], s36, v2
	s_xor_b64 s[4:5], vcc, -1
	s_or_b64 s[0:1], s[0:1], s[4:5]
	s_and_saveexec_b64 s[14:15], s[0:1]
	s_xor_b64 s[0:1], exec, s[14:15]
; %bb.567:
	s_movk_i32 s13, 0x210
	v_mad_u32_u24 v2, v135, s13, v93
	v_mov_b32_e32 v3, 0
	ds_write2st64_b32 v2, v3, v3 offset1:1
                                        ; implicit-def: $vgpr2
                                        ; implicit-def: $vgpr135
; %bb.568:
	s_andn2_saveexec_b64 s[0:1], s[0:1]
	s_cbranch_execz .LBB32_570
; %bb.569:
	v_mul_lo_u32 v2, v2, s59
	v_mul_lo_u32 v3, v123, s63
	v_add3_u32 v2, v2, v3, v92
	v_ashrrev_i32_e32 v3, 31, v2
	v_lshl_add_u64 v[2:3], v[2:3], 3, s[6:7]
	global_load_dwordx2 v[4:5], v[2:3], off
	global_load_dwordx2 v[6:7], v[2:3], off offset:512
	v_mul_u32_u24_e32 v2, 0x210, v135
	v_add3_u32 v2, 0, v2, v117
	s_waitcnt vmcnt(1)
	v_cvt_pk_f16_f32 v3, v4, v5
	s_waitcnt vmcnt(0)
	v_cvt_pk_f16_f32 v4, v6, v7
	v_pk_mul_f16 v3, v3, v0
	v_pk_mul_f16 v4, v4, v0
	ds_write2st64_b32 v2, v3, v4 offset1:1
.LBB32_570:
	s_or_b64 exec, exec, s[0:1]
	v_lshrrev_b32_e32 v2, 3, v133
	v_add_u32_e32 v2, s12, v2
	v_cmp_le_i32_e32 vcc, s36, v2
	s_or_b64 s[0:1], vcc, s[4:5]
	s_and_saveexec_b64 s[14:15], s[0:1]
	s_xor_b64 s[0:1], exec, s[14:15]
; %bb.571:
	s_movk_i32 s13, 0x210
	v_mad_u32_u24 v2, v133, s13, v93
	v_mov_b32_e32 v3, 0
	ds_write2st64_b32 v2, v3, v3 offset1:1
                                        ; implicit-def: $vgpr2
                                        ; implicit-def: $vgpr133
; %bb.572:
	s_andn2_saveexec_b64 s[0:1], s[0:1]
	s_cbranch_execz .LBB32_574
; %bb.573:
	v_mul_lo_u32 v2, v2, s59
	v_mul_lo_u32 v3, v123, s63
	v_add3_u32 v2, v2, v3, v92
	v_ashrrev_i32_e32 v3, 31, v2
	v_lshl_add_u64 v[2:3], v[2:3], 3, s[6:7]
	global_load_dwordx2 v[4:5], v[2:3], off
	global_load_dwordx2 v[6:7], v[2:3], off offset:512
	v_mul_u32_u24_e32 v2, 0x210, v133
	v_add3_u32 v2, 0, v2, v117
	s_waitcnt vmcnt(1)
	v_cvt_pk_f16_f32 v3, v4, v5
	s_waitcnt vmcnt(0)
	v_cvt_pk_f16_f32 v4, v6, v7
	v_pk_mul_f16 v3, v3, v0
	v_pk_mul_f16 v4, v4, v0
	ds_write2st64_b32 v2, v3, v4 offset1:1
.LBB32_574:
	s_or_b64 exec, exec, s[0:1]
	v_lshrrev_b32_e32 v2, 3, v131
	v_add_u32_e32 v2, s12, v2
	v_cmp_le_i32_e32 vcc, s36, v2
	s_or_b64 s[0:1], vcc, s[4:5]
	s_and_saveexec_b64 s[14:15], s[0:1]
	s_xor_b64 s[0:1], exec, s[14:15]
; %bb.575:
	s_movk_i32 s13, 0x210
	v_mad_u32_u24 v2, v131, s13, v93
	v_mov_b32_e32 v3, 0
	ds_write2st64_b32 v2, v3, v3 offset1:1
                                        ; implicit-def: $vgpr2
                                        ; implicit-def: $vgpr131
; %bb.576:
	s_andn2_saveexec_b64 s[0:1], s[0:1]
	s_cbranch_execz .LBB32_578
; %bb.577:
	v_mul_lo_u32 v2, v2, s59
	v_mul_lo_u32 v3, v123, s63
	v_add3_u32 v2, v2, v3, v92
	v_ashrrev_i32_e32 v3, 31, v2
	v_lshl_add_u64 v[2:3], v[2:3], 3, s[6:7]
	global_load_dwordx2 v[4:5], v[2:3], off
	global_load_dwordx2 v[6:7], v[2:3], off offset:512
	v_mul_u32_u24_e32 v2, 0x210, v131
	v_add3_u32 v2, 0, v2, v117
	s_waitcnt vmcnt(1)
	v_cvt_pk_f16_f32 v3, v4, v5
	s_waitcnt vmcnt(0)
	v_cvt_pk_f16_f32 v4, v6, v7
	v_pk_mul_f16 v3, v3, v0
	v_pk_mul_f16 v4, v4, v0
	ds_write2st64_b32 v2, v3, v4 offset1:1
.LBB32_578:
	s_or_b64 exec, exec, s[0:1]
	v_lshrrev_b32_e32 v2, 3, v129
	v_add_u32_e32 v2, s12, v2
	v_cmp_le_i32_e32 vcc, s36, v2
	s_or_b64 s[0:1], vcc, s[4:5]
	s_and_saveexec_b64 s[14:15], s[0:1]
	s_xor_b64 s[0:1], exec, s[14:15]
; %bb.579:
	s_movk_i32 s13, 0x210
	v_mad_u32_u24 v2, v129, s13, v93
	v_mov_b32_e32 v3, 0
	ds_write2st64_b32 v2, v3, v3 offset1:1
                                        ; implicit-def: $vgpr2
                                        ; implicit-def: $vgpr129
; %bb.580:
	s_andn2_saveexec_b64 s[0:1], s[0:1]
	s_cbranch_execz .LBB32_582
; %bb.581:
	v_mul_lo_u32 v2, v2, s59
	v_mul_lo_u32 v3, v123, s63
	v_add3_u32 v2, v2, v3, v92
	v_ashrrev_i32_e32 v3, 31, v2
	v_lshl_add_u64 v[2:3], v[2:3], 3, s[6:7]
	global_load_dwordx2 v[4:5], v[2:3], off
	global_load_dwordx2 v[6:7], v[2:3], off offset:512
	v_mul_u32_u24_e32 v2, 0x210, v129
	v_add3_u32 v2, 0, v2, v117
	s_waitcnt vmcnt(1)
	v_cvt_pk_f16_f32 v3, v4, v5
	s_waitcnt vmcnt(0)
	v_cvt_pk_f16_f32 v4, v6, v7
	v_pk_mul_f16 v3, v3, v0
	v_pk_mul_f16 v4, v4, v0
	ds_write2st64_b32 v2, v3, v4 offset1:1
.LBB32_582:
	s_or_b64 exec, exec, s[0:1]
	v_lshrrev_b32_e32 v2, 3, v127
	v_add_u32_e32 v2, s12, v2
	v_cmp_le_i32_e32 vcc, s36, v2
	s_sub_i32 s13, 0, s10
	s_or_b64 s[0:1], vcc, s[4:5]
	s_and_saveexec_b64 s[14:15], s[0:1]
	s_xor_b64 s[0:1], exec, s[14:15]
; %bb.583:
	s_movk_i32 s14, 0x210
	v_mad_u32_u24 v2, v127, s14, v93
	v_mov_b32_e32 v3, 0
	ds_write2st64_b32 v2, v3, v3 offset1:1
                                        ; implicit-def: $vgpr2
                                        ; implicit-def: $vgpr127
; %bb.584:
	s_or_saveexec_b64 s[0:1], s[0:1]
	s_mul_i32 s13, s13, s11
	s_xor_b64 exec, exec, s[0:1]
	s_cbranch_execz .LBB32_586
; %bb.585:
	v_mul_lo_u32 v2, v2, s59
	v_mul_lo_u32 v3, v123, s63
	v_add3_u32 v2, v2, v3, v92
	v_ashrrev_i32_e32 v3, 31, v2
	v_lshl_add_u64 v[2:3], v[2:3], 3, s[6:7]
	global_load_dwordx2 v[4:5], v[2:3], off
	global_load_dwordx2 v[6:7], v[2:3], off offset:512
	v_mul_u32_u24_e32 v2, 0x210, v127
	v_add3_u32 v2, 0, v2, v117
	s_waitcnt vmcnt(1)
	v_cvt_pk_f16_f32 v3, v4, v5
	s_waitcnt vmcnt(0)
	v_cvt_pk_f16_f32 v4, v6, v7
	v_pk_mul_f16 v3, v3, v0
	v_pk_mul_f16 v4, v4, v0
	ds_write2st64_b32 v2, v3, v4 offset1:1
.LBB32_586:
	s_or_b64 exec, exec, s[0:1]
	v_lshrrev_b32_e32 v2, 3, v125
	v_add_u32_e32 v2, s12, v2
	v_cmp_le_i32_e32 vcc, s36, v2
	s_mul_hi_u32 s13, s11, s13
	s_or_b64 s[0:1], vcc, s[4:5]
	s_and_saveexec_b64 s[14:15], s[0:1]
	s_xor_b64 s[0:1], exec, s[14:15]
; %bb.587:
	s_movk_i32 s14, 0x210
	v_mad_u32_u24 v2, v125, s14, v93
	v_mov_b32_e32 v3, 0
	ds_write2st64_b32 v2, v3, v3 offset1:1
                                        ; implicit-def: $vgpr2
                                        ; implicit-def: $vgpr125
; %bb.588:
	s_or_saveexec_b64 s[0:1], s[0:1]
	s_abs_i32 s15, s8
	s_add_i32 s11, s11, s13
	s_xor_b64 exec, exec, s[0:1]
	s_cbranch_execz .LBB32_590
; %bb.589:
	v_mul_lo_u32 v2, v2, s59
	v_mul_lo_u32 v3, v123, s63
	v_add3_u32 v2, v2, v3, v92
	v_ashrrev_i32_e32 v3, 31, v2
	v_lshl_add_u64 v[2:3], v[2:3], 3, s[6:7]
	global_load_dwordx2 v[4:5], v[2:3], off
	global_load_dwordx2 v[6:7], v[2:3], off offset:512
	v_mul_u32_u24_e32 v2, 0x210, v125
	v_add3_u32 v2, 0, v2, v117
	s_waitcnt vmcnt(1)
	v_cvt_pk_f16_f32 v3, v4, v5
	s_waitcnt vmcnt(0)
	v_cvt_pk_f16_f32 v4, v6, v7
	v_pk_mul_f16 v3, v3, v0
	v_pk_mul_f16 v4, v4, v0
	ds_write2st64_b32 v2, v3, v4 offset1:1
.LBB32_590:
	s_or_b64 exec, exec, s[0:1]
	v_lshrrev_b32_e32 v2, 3, v1
	v_add_u32_e32 v2, s12, v2
	v_cmp_le_i32_e32 vcc, s36, v2
	s_mul_hi_u32 s11, s15, s11
	s_or_b64 s[0:1], vcc, s[4:5]
	s_and_saveexec_b64 s[4:5], s[0:1]
	s_xor_b64 s[0:1], exec, s[4:5]
; %bb.591:
	s_movk_i32 s4, 0x210
	v_mad_u32_u24 v0, v1, s4, v93
	v_mov_b32_e32 v1, 0
	ds_write2st64_b32 v0, v1, v1 offset1:1
                                        ; implicit-def: $vgpr2
                                        ; implicit-def: $vgpr123
                                        ; implicit-def: $vgpr1
                                        ; implicit-def: $vgpr0
; %bb.592:
	s_or_saveexec_b64 s[0:1], s[0:1]
	s_ashr_i32 s16, s8, 31
	s_xor_b64 exec, exec, s[0:1]
	s_cbranch_execz .LBB32_594
; %bb.593:
	v_mul_lo_u32 v2, v2, s59
	v_mul_lo_u32 v3, v123, s63
	v_add3_u32 v2, v2, v3, v92
	v_ashrrev_i32_e32 v3, 31, v2
	v_lshl_add_u64 v[2:3], v[2:3], 3, s[6:7]
	global_load_dwordx2 v[4:5], v[2:3], off
	global_load_dwordx2 v[6:7], v[2:3], off offset:512
	v_mul_u32_u24_e32 v1, 0x210, v1
	v_add3_u32 v1, 0, v1, v117
	s_waitcnt vmcnt(1)
	v_cvt_pk_f16_f32 v2, v4, v5
	s_waitcnt vmcnt(0)
	v_cvt_pk_f16_f32 v3, v6, v7
	v_pk_mul_f16 v2, v2, v0
	v_pk_mul_f16 v0, v3, v0
	ds_write2st64_b32 v1, v2, v0 offset1:1
.LBB32_594:
	s_or_b64 exec, exec, s[0:1]
	s_mul_hi_u32 s0, s40, s8
	s_mul_i32 s1, s40, s16
	s_add_i32 s0, s0, s1
	s_mul_i32 s1, s41, s8
	s_add_i32 s0, s0, s1
	s_mul_i32 s1, s40, s8
	s_add_u32 s1, s18, s1
	s_mul_i32 s4, s9, s55
	s_addc_u32 s0, s19, s0
	s_ashr_i32 s5, s4, 31
	s_add_u32 s13, s1, s4
	s_mul_i32 s11, s11, s10
	s_addc_u32 s14, s0, s5
	s_sub_i32 s0, s15, s11
	s_sub_i32 s1, s0, s10
	s_cmp_ge_u32 s0, s10
	s_cselect_b32 s0, s1, s0
	s_sub_i32 s1, s0, s10
	s_cmp_ge_u32 s0, s10
	s_cselect_b32 s0, s1, s0
	s_xor_b32 s0, s0, s16
	s_sub_i32 s0, s0, s16
	s_ashr_i32 s1, s0, 31
	s_mul_i32 s1, s52, s1
	s_mul_hi_u32 s4, s52, s0
	s_add_i32 s1, s4, s1
	s_mul_i32 s4, s53, s0
	s_add_i32 s1, s1, s4
	s_mul_i32 s0, s52, s0
	s_add_u32 s4, s22, s0
	s_addc_u32 s5, s23, s1
	s_mul_hi_u32 s0, s50, s8
	s_mul_i32 s1, s50, s16
	s_add_i32 s0, s0, s1
	s_mul_i32 s1, s51, s8
	s_add_i32 s0, s0, s1
	s_mul_i32 s1, s50, s8
	s_add_u32 s1, s20, s1
	s_mul_i32 s9, s9, s43
	s_addc_u32 s0, s21, s0
	s_ashr_i32 s6, s9, 31
	s_add_u32 s10, s1, s9
	v_lshrrev_b32_e32 v1, 3, v92
	s_addc_u32 s11, s0, s6
	v_and_b32_e32 v33, 0x1ff0, v121
	s_movk_i32 s0, 0x210
	v_and_b32_e32 v94, 15, v92
	v_and_b32_e32 v1, 0x7e, v1
	v_mad_u32_u24 v0, v33, s0, 0
	v_mul_u32_u24_e32 v119, 0x210, v94
	v_lshlrev_b32_e32 v96, 2, v1
	v_add3_u32 v0, v0, v119, v96
	s_waitcnt lgkmcnt(0)
	s_barrier
	ds_read2_b64 v[28:31], v0 offset1:4
	ds_read2_b64 v[24:27], v0 offset0:8 offset1:12
	ds_read2_b64 v[20:23], v0 offset0:16 offset1:20
	;; [unrolled: 1-line block ×7, first 2 shown]
	v_add_u32_e32 v122, -1, v32
	v_lshrrev_b32_e32 v32, 5, v92
	v_lshl_add_u32 v120, v95, 1, v32
	v_cmp_ge_i32_e32 vcc, s35, v122
	v_mul_lo_u32 v70, s46, v120
	v_mul_lo_u32 v68, s38, v120
	s_and_b64 vcc, exec, vcc
	v_cmp_gt_u32_e64 s[0:1], 8, v120
	v_ashrrev_i32_e32 v71, 31, v70
	v_lshrrev_b32_e32 v114, 2, v92
	v_and_or_b32 v116, v92, 8, v33
	v_mbcnt_lo_u32_b32 v115, -1, 0
	v_ashrrev_i32_e32 v69, 31, v68
	v_and_b32_e32 v113, 8, v121
	v_lshlrev_b32_e32 v112, 1, v94
	s_waitcnt lgkmcnt(0)
	s_barrier
	s_cbranch_vccnz .LBB32_633
; %bb.595:
	v_add_u32_e32 v32, s12, v120
	v_mul_hi_u32 v33, s44, v32
	v_add_u32_e32 v33, v32, v33
	v_lshrrev_b32_e32 v33, s45, v33
	v_mul_lo_u32 v33, v33, s36
	v_sub_u32_e32 v32, v32, v33
	v_mad_i64_i32 v[32:33], s[6:7], v32, s48, 0
	s_movk_i32 s8, 0x90
	v_and_b32_e32 v72, 0x7c, v117
	v_lshl_add_u64 v[32:33], v[32:33], 1, s[4:5]
	v_mov_b32_e32 v73, 0
	v_mad_u32_u24 v34, v120, s8, 0
	v_lshl_add_u64 v[74:75], v[32:33], 0, v[72:73]
	v_mul_u32_u24_e32 v32, 0x180, v120
	v_lshlrev_b32_e32 v33, 2, v72
	v_add3_u32 v124, v34, v32, v33
	v_and_b32_e32 v32, 16, v101
	v_and_b32_e32 v35, 0xfc, v114
	v_lshrrev_b32_e32 v37, 3, v116
	v_add_u32_e32 v36, v35, v32
	v_mad_u32_u24 v37, v37, s8, 0
	v_add_u32_e32 v123, v34, v72
	v_mul_u32_u24_e32 v34, 0x210, v32
	v_add_u16_e32 v32, v35, v32
	v_lshl_add_u32 v36, v36, 1, v37
	v_lshrrev_b16_e32 v32, 1, v32
	v_add_u32_e32 v128, 64, v36
	v_add_u32_e32 v129, 0x44, v36
	v_mbcnt_hi_u32_b32 v36, -1, v115
	v_lshl_add_u32 v32, v32, 2, v37
	v_and_b32_e32 v37, 64, v36
	s_lshl_b32 s6, s46, 4
	v_add_u32_e32 v37, 64, v37
	v_xor_b32_e32 v38, 32, v36
	v_add_u32_e32 v76, s6, v70
	v_cmp_lt_i32_e32 vcc, v38, v37
	v_add_u32_e32 v78, s6, v76
	v_add_u32_e32 v80, s6, v78
	v_cndmask_b32_e32 v38, v36, v38, vcc
	v_lshlrev_b32_e32 v130, 2, v38
	v_xor_b32_e32 v38, 16, v36
	s_lshl_b32 s6, s38, 4
	v_cmp_lt_i32_e32 vcc, v38, v37
	v_add_u32_e32 v82, s6, v68
	v_add_u32_e32 v84, s6, v82
	v_cndmask_b32_e32 v36, v36, v38, vcc
	v_lshlrev_b32_e32 v131, 2, v36
	v_add_u32_e32 v86, s6, v84
	v_or_b32_e32 v36, 3, v114
	s_movk_i32 s6, 0x420
	v_add3_u32 v33, 0, v119, v96
	v_mul_u32_u24_e32 v35, 0x210, v35
	v_mul_u32_u24_e32 v36, 0x210, v36
	v_mad_u32_u24 v37, v113, s6, 0
	v_add_u32_e32 v125, 0x2100, v124
	v_ashrrev_i32_e32 v77, 31, v76
	v_add_u32_e32 v126, 0x4200, v124
	v_ashrrev_i32_e32 v79, 31, v78
	;; [unrolled: 2-line block ×3, first 2 shown]
	v_ashrrev_i32_e32 v83, 31, v82
	v_ashrrev_i32_e32 v85, 31, v84
	;; [unrolled: 1-line block ×3, first 2 shown]
	v_add3_u32 v132, v37, v35, v112
	v_add3_u32 v133, v37, v36, v112
	s_lshl_b32 s6, s35, 6
	v_mov_b32_e32 v46, 0xfeffffff
	v_lshlrev_b32_e32 v72, 2, v72
	v_add_u32_e32 v134, v33, v34
	s_mov_b32 s15, 0x3f200000
	s_mov_b32 s16, 0x3fb8aa3b
	;; [unrolled: 1-line block ×4, first 2 shown]
	v_mov_b32_e32 v135, 0x3ca908c9
	s_brev_b32 s19, -2
	v_add_u32_e32 v136, 0x8400, v32
	s_mov_b32 s20, 0xc1a00000
	s_mov_b32 s21, 0x5040100
	v_mov_b32_e32 v137, 0x7f800000
	v_mov_b32_e32 v138, v73
	v_mov_b32_e32 v98, v73
	v_mov_b32_e32 v97, v73
	v_mov_b32_e32 v100, v73
	v_mov_b32_e32 v99, v73
	v_mov_b32_e32 v103, v73
	v_mov_b32_e32 v102, v73
	v_mov_b32_e32 v105, v73
	v_mov_b32_e32 v104, v73
	v_mov_b32_e32 v107, v73
	v_mov_b32_e32 v106, v73
	v_mov_b32_e32 v109, v73
	v_mov_b32_e32 v108, v73
	v_mov_b32_e32 v111, v73
	v_mov_b32_e32 v110, v73
	v_mov_b32_e32 v65, v73
	v_mov_b32_e32 v64, v73
	v_mov_b32_e32 v61, v73
	v_mov_b32_e32 v60, v73
	v_mov_b32_e32 v57, v73
	v_mov_b32_e32 v56, v73
	v_mov_b32_e32 v53, v73
	v_mov_b32_e32 v52, v73
	v_mov_b32_e32 v49, v73
	v_mov_b32_e32 v48, v73
	v_mov_b32_e32 v51, v73
	v_mov_b32_e32 v50, v73
	v_mov_b32_e32 v41, v73
	v_mov_b32_e32 v40, v73
	v_mov_b32_e32 v43, v73
	v_mov_b32_e32 v42, v73
	v_mov_b32_e32 v45, v73
	v_mov_b32_e32 v44, v73
                                        ; implicit-def: $vgpr33
                                        ; implicit-def: $vgpr33
	;; [unrolled: 1-line block ×3, first 2 shown]
	s_ashr_i32 s7, s6, 31
	s_and_saveexec_b64 s[8:9], s[0:1]
	s_cbranch_execz .LBB32_597
.LBB32_596:
	v_lshl_add_u64 v[32:33], s[6:7], 1, v[74:75]
	global_load_dword v32, v[32:33], off
	s_waitcnt vmcnt(0)
	ds_write_b32 v123, v32 offset:33792
.LBB32_597:                             ; =>This Inner Loop Header: Depth=1
	s_or_b64 exec, exec, s[8:9]
	s_mul_hi_i32 s9, s6, s46
	s_mul_i32 s8, s6, s46
	s_lshl_b64 s[8:9], s[8:9], 2
	s_add_u32 s8, s13, s8
	s_addc_u32 s9, s14, s9
	v_lshl_add_u64 v[34:35], v[76:77], 2, s[8:9]
	v_lshl_add_u64 v[32:33], v[70:71], 2, s[8:9]
	;; [unrolled: 1-line block ×8, first 2 shown]
	global_load_dwordx4 v[32:35], v[32:33], off
	s_nop 0
	global_load_dwordx4 v[36:39], v[36:37], off
	s_nop 0
	global_load_dwordx4 v[88:91], v[54:55], off
	global_load_dwordx4 v[140:143], v[58:59], off
	v_add_u32_e32 v47, 0x4000, v134
	s_waitcnt vmcnt(3)
	ds_write_b128 v124, v[32:35]
	s_waitcnt vmcnt(2)
	ds_write_b128 v125, v[36:39]
	;; [unrolled: 2-line block ×4, first 2 shown]
	s_waitcnt lgkmcnt(0)
	s_barrier
	ds_read2_b64 v[32:35], v134 offset1:4
	ds_read2_b64 v[88:91], v47 offset0:64 offset1:68
	s_waitcnt lgkmcnt(1)
	v_mfma_f32_16x16x16_f16 v[36:39], v[32:33], v[28:29], 0
	s_waitcnt lgkmcnt(0)
	v_mfma_f32_16x16x16_f16 v[140:143], v[88:89], v[28:29], 0
	v_mfma_f32_16x16x16_f16 v[32:35], v[34:35], v[30:31], v[36:39]
	;; [unrolled: 1-line block ×3, first 2 shown]
	ds_read2_b64 v[88:91], v134 offset0:8 offset1:12
	s_nop 4
	ds_read2_b64 v[140:143], v47 offset0:72 offset1:76
	s_waitcnt lgkmcnt(1)
	v_mfma_f32_16x16x16_f16 v[32:35], v[88:89], v[24:25], v[32:35]
	s_waitcnt lgkmcnt(0)
	v_mfma_f32_16x16x16_f16 v[36:39], v[140:141], v[24:25], v[36:39]
	v_mfma_f32_16x16x16_f16 v[32:35], v[90:91], v[26:27], v[32:35]
	ds_read2_b64 v[88:91], v134 offset0:16 offset1:20
	v_mfma_f32_16x16x16_f16 v[36:39], v[142:143], v[26:27], v[36:39]
	ds_read2_b64 v[140:143], v47 offset0:80 offset1:84
	s_waitcnt lgkmcnt(1)
	v_mfma_f32_16x16x16_f16 v[32:35], v[88:89], v[20:21], v[32:35]
	s_waitcnt lgkmcnt(0)
	v_mfma_f32_16x16x16_f16 v[36:39], v[140:141], v[20:21], v[36:39]
	v_mfma_f32_16x16x16_f16 v[32:35], v[90:91], v[22:23], v[32:35]
	ds_read2_b64 v[88:91], v134 offset0:24 offset1:28
	v_mfma_f32_16x16x16_f16 v[36:39], v[142:143], v[22:23], v[36:39]
	;; [unrolled: 8-line block ×6, first 2 shown]
	ds_read2_b64 v[140:143], v47 offset0:120 offset1:124
	s_waitcnt lgkmcnt(0)
	s_barrier
	v_mfma_f32_16x16x16_f16 v[32:35], v[88:89], v[0:1], v[32:35]
                                        ; implicit-def: $vgpr47
	v_mfma_f32_16x16x16_f16 v[36:39], v[140:141], v[0:1], v[36:39]
	v_mfma_f32_16x16x16_f16 v[32:35], v[90:91], v[2:3], v[32:35]
	;; [unrolled: 1-line block ×3, first 2 shown]
	s_nop 6
	v_cmp_nlt_f32_e64 s[8:9], |v32|, s15
	s_and_saveexec_b64 s[22:23], s[8:9]
	s_xor_b64 s[8:9], exec, s[22:23]
	s_cbranch_execz .LBB32_599
; %bb.598:                              ;   in Loop: Header=BB32_597 Depth=1
	v_add_f32_e64 v47, |v32|, |v32|
	v_mul_f32_e32 v54, 0x3fb8aa3b, v47
	v_rndne_f32_e32 v55, v54
	v_sub_f32_e32 v58, v54, v55
	v_fma_f32 v54, v47, s16, -v54
	v_fmac_f32_e32 v54, 0x32a5705f, v47
	v_add_f32_e32 v54, v58, v54
	v_cvt_i32_f32_e32 v55, v55
	v_exp_f32_e32 v54, v54
	v_cmp_ngt_f32_e32 vcc, s17, v47
	v_ldexp_f32 v54, v54, v55
	s_nop 0
	v_cndmask_b32_e32 v54, 0, v54, vcc
	v_cmp_nlt_f32_e32 vcc, s18, v47
	s_nop 1
	v_cndmask_b32_e32 v47, v137, v54, vcc
	v_add_f32_e32 v47, 1.0, v47
	v_rcp_f32_e32 v47, v47
	s_nop 0
	v_fma_f32 v47, v47, -2.0, 1.0
.LBB32_599:                             ;   in Loop: Header=BB32_597 Depth=1
	s_andn2_saveexec_b64 s[8:9], s[8:9]
; %bb.600:                              ;   in Loop: Header=BB32_597 Depth=1
	v_mul_f32_e32 v47, v32, v32
	v_fmamk_f32 v54, v47, 0xbbbac73d, v135
	v_fmaak_f32 v54, v47, v54, 0xbd5c1c4e
	v_fmaak_f32 v54, v47, v54, 0x3e088382
	;; [unrolled: 1-line block ×3, first 2 shown]
	v_mul_f32_e64 v54, |v32|, v54
	v_fma_f32 v47, v47, v54, |v32|
; %bb.601:                              ;   in Loop: Header=BB32_597 Depth=1
	s_or_b64 exec, exec, s[8:9]
	v_cmp_nlt_f32_e64 s[8:9], |v33|, s15
                                        ; implicit-def: $vgpr54
	s_and_saveexec_b64 s[22:23], s[8:9]
	s_xor_b64 s[8:9], exec, s[22:23]
	s_cbranch_execz .LBB32_603
; %bb.602:                              ;   in Loop: Header=BB32_597 Depth=1
	v_add_f32_e64 v54, |v33|, |v33|
	v_mul_f32_e32 v55, 0x3fb8aa3b, v54
	v_rndne_f32_e32 v58, v55
	v_sub_f32_e32 v59, v55, v58
	v_fma_f32 v55, v54, s16, -v55
	v_fmac_f32_e32 v55, 0x32a5705f, v54
	v_add_f32_e32 v55, v59, v55
	v_cvt_i32_f32_e32 v58, v58
	v_exp_f32_e32 v55, v55
	v_cmp_ngt_f32_e32 vcc, s17, v54
	v_ldexp_f32 v55, v55, v58
	s_nop 0
	v_cndmask_b32_e32 v55, 0, v55, vcc
	v_cmp_nlt_f32_e32 vcc, s18, v54
	s_nop 1
	v_cndmask_b32_e32 v54, v137, v55, vcc
	v_add_f32_e32 v54, 1.0, v54
	v_rcp_f32_e32 v54, v54
	s_nop 0
	v_fma_f32 v54, v54, -2.0, 1.0
.LBB32_603:                             ;   in Loop: Header=BB32_597 Depth=1
	s_andn2_saveexec_b64 s[8:9], s[8:9]
; %bb.604:                              ;   in Loop: Header=BB32_597 Depth=1
	v_mul_f32_e32 v54, v33, v33
	v_fmamk_f32 v55, v54, 0xbbbac73d, v135
	v_fmaak_f32 v55, v54, v55, 0xbd5c1c4e
	v_fmaak_f32 v55, v54, v55, 0x3e088382
	;; [unrolled: 1-line block ×3, first 2 shown]
	v_mul_f32_e64 v55, |v33|, v55
	v_fma_f32 v54, v54, v55, |v33|
; %bb.605:                              ;   in Loop: Header=BB32_597 Depth=1
	s_or_b64 exec, exec, s[8:9]
	v_cmp_nlt_f32_e64 s[8:9], |v34|, s15
                                        ; implicit-def: $vgpr55
	s_and_saveexec_b64 s[22:23], s[8:9]
	s_xor_b64 s[8:9], exec, s[22:23]
	s_cbranch_execz .LBB32_607
; %bb.606:                              ;   in Loop: Header=BB32_597 Depth=1
	v_add_f32_e64 v55, |v34|, |v34|
	v_mul_f32_e32 v58, 0x3fb8aa3b, v55
	v_rndne_f32_e32 v59, v58
	v_sub_f32_e32 v62, v58, v59
	v_fma_f32 v58, v55, s16, -v58
	v_fmac_f32_e32 v58, 0x32a5705f, v55
	v_add_f32_e32 v58, v62, v58
	v_cvt_i32_f32_e32 v59, v59
	v_exp_f32_e32 v58, v58
	v_cmp_ngt_f32_e32 vcc, s17, v55
	v_ldexp_f32 v58, v58, v59
	s_nop 0
	v_cndmask_b32_e32 v58, 0, v58, vcc
	v_cmp_nlt_f32_e32 vcc, s18, v55
	s_nop 1
	v_cndmask_b32_e32 v55, v137, v58, vcc
	v_add_f32_e32 v55, 1.0, v55
	v_rcp_f32_e32 v55, v55
	s_nop 0
	v_fma_f32 v55, v55, -2.0, 1.0
.LBB32_607:                             ;   in Loop: Header=BB32_597 Depth=1
	s_andn2_saveexec_b64 s[8:9], s[8:9]
; %bb.608:                              ;   in Loop: Header=BB32_597 Depth=1
	v_mul_f32_e32 v55, v34, v34
	v_fmamk_f32 v58, v55, 0xbbbac73d, v135
	v_fmaak_f32 v58, v55, v58, 0xbd5c1c4e
	v_fmaak_f32 v58, v55, v58, 0x3e088382
	;; [unrolled: 1-line block ×3, first 2 shown]
	v_mul_f32_e64 v58, |v34|, v58
	v_fma_f32 v55, v55, v58, |v34|
; %bb.609:                              ;   in Loop: Header=BB32_597 Depth=1
	s_or_b64 exec, exec, s[8:9]
	v_cmp_nlt_f32_e64 s[8:9], |v35|, s15
                                        ; implicit-def: $vgpr58
	s_and_saveexec_b64 s[22:23], s[8:9]
	s_xor_b64 s[8:9], exec, s[22:23]
	s_cbranch_execz .LBB32_611
; %bb.610:                              ;   in Loop: Header=BB32_597 Depth=1
	v_add_f32_e64 v58, |v35|, |v35|
	v_mul_f32_e32 v59, 0x3fb8aa3b, v58
	v_rndne_f32_e32 v62, v59
	v_sub_f32_e32 v63, v59, v62
	v_fma_f32 v59, v58, s16, -v59
	v_fmac_f32_e32 v59, 0x32a5705f, v58
	v_add_f32_e32 v59, v63, v59
	v_cvt_i32_f32_e32 v62, v62
	v_exp_f32_e32 v59, v59
	v_cmp_ngt_f32_e32 vcc, s17, v58
	v_ldexp_f32 v59, v59, v62
	s_nop 0
	v_cndmask_b32_e32 v59, 0, v59, vcc
	v_cmp_nlt_f32_e32 vcc, s18, v58
	s_nop 1
	v_cndmask_b32_e32 v58, v137, v59, vcc
	v_add_f32_e32 v58, 1.0, v58
	v_rcp_f32_e32 v58, v58
	s_nop 0
	v_fma_f32 v58, v58, -2.0, 1.0
.LBB32_611:                             ;   in Loop: Header=BB32_597 Depth=1
	s_andn2_saveexec_b64 s[8:9], s[8:9]
; %bb.612:                              ;   in Loop: Header=BB32_597 Depth=1
	v_mul_f32_e32 v58, v35, v35
	v_fmamk_f32 v59, v58, 0xbbbac73d, v135
	v_fmaak_f32 v59, v58, v59, 0xbd5c1c4e
	v_fmaak_f32 v59, v58, v59, 0x3e088382
	;; [unrolled: 1-line block ×3, first 2 shown]
	v_mul_f32_e64 v59, |v35|, v59
	v_fma_f32 v58, v58, v59, |v35|
; %bb.613:                              ;   in Loop: Header=BB32_597 Depth=1
	s_or_b64 exec, exec, s[8:9]
	v_cmp_nlt_f32_e64 s[8:9], |v36|, s15
                                        ; implicit-def: $vgpr59
	s_and_saveexec_b64 s[22:23], s[8:9]
	s_xor_b64 s[8:9], exec, s[22:23]
	s_cbranch_execz .LBB32_615
; %bb.614:                              ;   in Loop: Header=BB32_597 Depth=1
	v_add_f32_e64 v59, |v36|, |v36|
	v_mul_f32_e32 v62, 0x3fb8aa3b, v59
	v_rndne_f32_e32 v63, v62
	v_sub_f32_e32 v66, v62, v63
	v_fma_f32 v62, v59, s16, -v62
	v_fmac_f32_e32 v62, 0x32a5705f, v59
	v_add_f32_e32 v62, v66, v62
	v_cvt_i32_f32_e32 v63, v63
	v_exp_f32_e32 v62, v62
	v_cmp_ngt_f32_e32 vcc, s17, v59
	v_ldexp_f32 v62, v62, v63
	s_nop 0
	v_cndmask_b32_e32 v62, 0, v62, vcc
	v_cmp_nlt_f32_e32 vcc, s18, v59
	s_nop 1
	v_cndmask_b32_e32 v59, v137, v62, vcc
	v_add_f32_e32 v59, 1.0, v59
	v_rcp_f32_e32 v59, v59
	s_nop 0
	v_fma_f32 v59, v59, -2.0, 1.0
.LBB32_615:                             ;   in Loop: Header=BB32_597 Depth=1
	s_andn2_saveexec_b64 s[8:9], s[8:9]
; %bb.616:                              ;   in Loop: Header=BB32_597 Depth=1
	v_mul_f32_e32 v59, v36, v36
	v_fmamk_f32 v62, v59, 0xbbbac73d, v135
	v_fmaak_f32 v62, v59, v62, 0xbd5c1c4e
	v_fmaak_f32 v62, v59, v62, 0x3e088382
	v_fmaak_f32 v62, v59, v62, 0xbeaaaa99
	v_mul_f32_e64 v62, |v36|, v62
	v_fma_f32 v59, v59, v62, |v36|
; %bb.617:                              ;   in Loop: Header=BB32_597 Depth=1
	s_or_b64 exec, exec, s[8:9]
	v_cmp_nlt_f32_e64 s[8:9], |v37|, s15
                                        ; implicit-def: $vgpr62
	s_and_saveexec_b64 s[22:23], s[8:9]
	s_xor_b64 s[8:9], exec, s[22:23]
	s_cbranch_execz .LBB32_619
; %bb.618:                              ;   in Loop: Header=BB32_597 Depth=1
	v_add_f32_e64 v62, |v37|, |v37|
	v_mul_f32_e32 v63, 0x3fb8aa3b, v62
	v_rndne_f32_e32 v66, v63
	v_sub_f32_e32 v67, v63, v66
	v_fma_f32 v63, v62, s16, -v63
	v_fmac_f32_e32 v63, 0x32a5705f, v62
	v_add_f32_e32 v63, v67, v63
	v_cvt_i32_f32_e32 v66, v66
	v_exp_f32_e32 v63, v63
	v_cmp_ngt_f32_e32 vcc, s17, v62
	v_ldexp_f32 v63, v63, v66
	s_nop 0
	v_cndmask_b32_e32 v63, 0, v63, vcc
	v_cmp_nlt_f32_e32 vcc, s18, v62
	s_nop 1
	v_cndmask_b32_e32 v62, v137, v63, vcc
	v_add_f32_e32 v62, 1.0, v62
	v_rcp_f32_e32 v62, v62
	s_nop 0
	v_fma_f32 v62, v62, -2.0, 1.0
.LBB32_619:                             ;   in Loop: Header=BB32_597 Depth=1
	s_andn2_saveexec_b64 s[8:9], s[8:9]
; %bb.620:                              ;   in Loop: Header=BB32_597 Depth=1
	v_mul_f32_e32 v62, v37, v37
	v_fmamk_f32 v63, v62, 0xbbbac73d, v135
	v_fmaak_f32 v63, v62, v63, 0xbd5c1c4e
	v_fmaak_f32 v63, v62, v63, 0x3e088382
	;; [unrolled: 1-line block ×3, first 2 shown]
	v_mul_f32_e64 v63, |v37|, v63
	v_fma_f32 v62, v62, v63, |v37|
; %bb.621:                              ;   in Loop: Header=BB32_597 Depth=1
	s_or_b64 exec, exec, s[8:9]
	v_cmp_nlt_f32_e64 s[8:9], |v38|, s15
                                        ; implicit-def: $vgpr63
	s_and_saveexec_b64 s[22:23], s[8:9]
	s_xor_b64 s[8:9], exec, s[22:23]
	s_cbranch_execz .LBB32_623
; %bb.622:                              ;   in Loop: Header=BB32_597 Depth=1
	v_add_f32_e64 v63, |v38|, |v38|
	v_mul_f32_e32 v66, 0x3fb8aa3b, v63
	v_rndne_f32_e32 v67, v66
	v_sub_f32_e32 v88, v66, v67
	v_fma_f32 v66, v63, s16, -v66
	v_fmac_f32_e32 v66, 0x32a5705f, v63
	v_add_f32_e32 v66, v88, v66
	v_cvt_i32_f32_e32 v67, v67
	v_exp_f32_e32 v66, v66
	v_cmp_ngt_f32_e32 vcc, s17, v63
	v_ldexp_f32 v66, v66, v67
	s_nop 0
	v_cndmask_b32_e32 v66, 0, v66, vcc
	v_cmp_nlt_f32_e32 vcc, s18, v63
	s_nop 1
	v_cndmask_b32_e32 v63, v137, v66, vcc
	v_add_f32_e32 v63, 1.0, v63
	v_rcp_f32_e32 v63, v63
	s_nop 0
	v_fma_f32 v63, v63, -2.0, 1.0
.LBB32_623:                             ;   in Loop: Header=BB32_597 Depth=1
	s_andn2_saveexec_b64 s[8:9], s[8:9]
; %bb.624:                              ;   in Loop: Header=BB32_597 Depth=1
	v_mul_f32_e32 v63, v38, v38
	v_fmamk_f32 v66, v63, 0xbbbac73d, v135
	v_fmaak_f32 v66, v63, v66, 0xbd5c1c4e
	v_fmaak_f32 v66, v63, v66, 0x3e088382
	;; [unrolled: 1-line block ×3, first 2 shown]
	v_mul_f32_e64 v66, |v38|, v66
	v_fma_f32 v63, v63, v66, |v38|
; %bb.625:                              ;   in Loop: Header=BB32_597 Depth=1
	s_or_b64 exec, exec, s[8:9]
	v_cmp_nlt_f32_e64 s[8:9], |v39|, s15
                                        ; implicit-def: $vgpr66
	s_and_saveexec_b64 s[22:23], s[8:9]
	s_xor_b64 s[8:9], exec, s[22:23]
	s_cbranch_execz .LBB32_627
; %bb.626:                              ;   in Loop: Header=BB32_597 Depth=1
	v_add_f32_e64 v66, |v39|, |v39|
	v_mul_f32_e32 v67, 0x3fb8aa3b, v66
	v_rndne_f32_e32 v88, v67
	v_sub_f32_e32 v89, v67, v88
	v_fma_f32 v67, v66, s16, -v67
	v_fmac_f32_e32 v67, 0x32a5705f, v66
	v_add_f32_e32 v67, v89, v67
	v_cvt_i32_f32_e32 v88, v88
	v_exp_f32_e32 v67, v67
	v_cmp_ngt_f32_e32 vcc, s17, v66
	v_ldexp_f32 v67, v67, v88
	s_nop 0
	v_cndmask_b32_e32 v67, 0, v67, vcc
	v_cmp_nlt_f32_e32 vcc, s18, v66
	s_nop 1
	v_cndmask_b32_e32 v66, v137, v67, vcc
	v_add_f32_e32 v66, 1.0, v66
	v_rcp_f32_e32 v66, v66
	s_nop 0
	v_fma_f32 v66, v66, -2.0, 1.0
.LBB32_627:                             ;   in Loop: Header=BB32_597 Depth=1
	s_andn2_saveexec_b64 s[8:9], s[8:9]
; %bb.628:                              ;   in Loop: Header=BB32_597 Depth=1
	v_mul_f32_e32 v66, v39, v39
	v_fmamk_f32 v67, v66, 0xbbbac73d, v135
	v_fmaak_f32 v67, v66, v67, 0xbd5c1c4e
	v_fmaak_f32 v67, v66, v67, 0x3e088382
	;; [unrolled: 1-line block ×3, first 2 shown]
	v_mul_f32_e64 v67, |v39|, v67
	v_fma_f32 v66, v66, v67, |v39|
; %bb.629:                              ;   in Loop: Header=BB32_597 Depth=1
	s_or_b64 exec, exec, s[8:9]
	v_bfi_b32 v47, s19, v47, v32
	v_bfi_b32 v54, s19, v54, v33
	ds_read2_b32 v[32:33], v136 offset1:1
	v_bfi_b32 v35, s19, v58, v35
	v_bfi_b32 v34, s19, v55, v34
	ds_read_b32 v55, v128 offset:33792
	ds_read_b32 v58, v129 offset:33792
	v_bfi_b32 v36, s19, v59, v36
	v_bfi_b32 v37, s19, v62, v37
	s_waitcnt lgkmcnt(2)
	v_fma_mix_f32 v47, s3, v47, v32 op_sel_hi:[0,0,1]
	v_fma_mix_f32 v32, s3, v54, v32 op_sel:[0,0,1] op_sel_hi:[0,0,1]
	v_bfi_b32 v38, s19, v63, v38
	v_fma_mix_f32 v34, s3, v34, v33 op_sel_hi:[0,0,1]
	v_fma_mix_f32 v33, s3, v35, v33 op_sel:[0,0,1] op_sel_hi:[0,0,1]
	s_waitcnt lgkmcnt(1)
	v_fma_mix_f32 v35, s3, v36, v55 op_sel_hi:[0,0,1]
	v_fma_mix_f32 v62, s3, v37, v55 op_sel:[0,0,1] op_sel_hi:[0,0,1]
	v_add_f32_e32 v36, 0x40051340, v47
	v_add_f32_e32 v37, 0x40051340, v32
	v_bfi_b32 v39, s19, v66, v39
	s_waitcnt lgkmcnt(0)
	v_fma_mix_f32 v63, s3, v38, v58 op_sel_hi:[0,0,1]
	v_max3_f32 v36, v46, v36, v37
	v_add_f32_e32 v37, 0x40051340, v34
	v_add_f32_e32 v38, 0x40051340, v33
	v_fma_mix_f32 v66, s3, v39, v58 op_sel:[0,0,1] op_sel_hi:[0,0,1]
	v_max3_f32 v36, v36, v37, v38
	v_add_f32_e32 v37, 0x40051340, v35
	v_add_f32_e32 v38, 0x40051340, v62
	v_max3_f32 v36, v36, v37, v38
	v_add_f32_e32 v37, 0x40051340, v63
	v_add_f32_e32 v38, 0x40051340, v66
	v_max3_f32 v36, v36, v37, v38
	ds_bpermute_b32 v37, v130, v36
	s_mul_hi_i32 s9, s6, s38
	s_mul_i32 s8, s6, s38
	s_lshl_b64 s[8:9], s[8:9], 2
	s_add_u32 s8, s10, s8
	s_waitcnt lgkmcnt(0)
	v_max_f32_e32 v37, v37, v37
	v_max_f32_e32 v36, v36, v37
	ds_bpermute_b32 v37, v131, v36
	s_addc_u32 s9, s11, s9
	s_add_i32 s35, s35, 1
	s_add_i32 s6, s6, 64
	s_waitcnt lgkmcnt(0)
	v_max_f32_e32 v37, v37, v37
	v_max_f32_e32 v118, v36, v37
	v_sub_f32_e32 v36, v47, v118
	v_mul_f32_e32 v37, 0x3fb8aa3b, v36
	v_fma_f32 v38, v36, s16, -v37
	v_rndne_f32_e32 v39, v37
	v_fmac_f32_e32 v38, 0x32a5705f, v36
	v_sub_f32_e32 v37, v37, v39
	v_add_f32_e32 v37, v37, v38
	v_exp_f32_e32 v37, v37
	v_cvt_i32_f32_e32 v38, v39
	v_sub_f32_e32 v32, v32, v118
	v_cmp_ngt_f32_e32 vcc, s17, v36
	v_sub_f32_e32 v34, v34, v118
	v_ldexp_f32 v37, v37, v38
	v_mul_f32_e32 v38, 0x3fb8aa3b, v32
	v_fma_f32 v39, v32, s16, -v38
	v_rndne_f32_e32 v47, v38
	v_fmac_f32_e32 v39, 0x32a5705f, v32
	v_sub_f32_e32 v38, v38, v47
	v_add_f32_e32 v38, v38, v39
	v_exp_f32_e32 v38, v38
	v_cvt_i32_f32_e32 v39, v47
	v_cndmask_b32_e32 v37, 0, v37, vcc
	v_cmp_nlt_f32_e32 vcc, s18, v36
	v_sub_f32_e32 v47, v33, v118
	v_ldexp_f32 v36, v38, v39
	v_cndmask_b32_e32 v139, v137, v37, vcc
	v_mul_f32_e32 v37, 0x3fb8aa3b, v34
	v_fma_f32 v38, v34, s16, -v37
	v_rndne_f32_e32 v39, v37
	v_fmac_f32_e32 v38, 0x32a5705f, v34
	v_sub_f32_e32 v37, v37, v39
	v_add_f32_e32 v37, v37, v38
	v_exp_f32_e32 v37, v37
	v_cvt_i32_f32_e32 v38, v39
	v_cmp_ngt_f32_e32 vcc, s17, v32
	v_mul_f32_e32 v33, 0x3fb8aa3b, v47
	v_sub_f32_e32 v143, v35, v118
	v_cndmask_b32_e32 v36, 0, v36, vcc
	v_cmp_nlt_f32_e32 vcc, s18, v32
	v_ldexp_f32 v32, v37, v38
	v_rndne_f32_e32 v37, v33
	v_cndmask_b32_e32 v140, v137, v36, vcc
	v_fma_f32 v36, v47, s16, -v33
	v_fmac_f32_e32 v36, 0x32a5705f, v47
	v_sub_f32_e32 v33, v33, v37
	v_add_f32_e32 v33, v33, v36
	v_exp_f32_e32 v33, v33
	v_cvt_i32_f32_e32 v36, v37
	v_cmp_ngt_f32_e32 vcc, s17, v34
	v_mul_f32_e32 v142, 0x3fb8aa3b, v143
	v_fma_f32 v144, v143, s16, -v142
	v_cndmask_b32_e32 v32, 0, v32, vcc
	v_cmp_nlt_f32_e32 vcc, s18, v34
	v_lshl_add_u64 v[34:35], v[82:83], 2, s[8:9]
	v_ldexp_f32 v67, v33, v36
	v_cndmask_b32_e32 v141, v137, v32, vcc
	v_lshl_add_u64 v[32:33], v[68:69], 2, s[8:9]
	v_lshl_add_u64 v[36:37], v[34:35], 0, v[72:73]
	;; [unrolled: 1-line block ×7, first 2 shown]
	global_load_dwordx4 v[32:35], v[32:33], off
	s_nop 0
	global_load_dwordx4 v[36:39], v[36:37], off
	s_nop 0
	global_load_dwordx4 v[88:91], v[54:55], off
	global_load_dwordx4 v[150:153], v[58:59], off
	v_rndne_f32_e32 v54, v142
	v_fmac_f32_e32 v144, 0x32a5705f, v143
	v_sub_f32_e32 v55, v142, v54
	v_add_f32_e32 v55, v55, v144
	v_exp_f32_e32 v55, v55
	v_cvt_i32_f32_e32 v54, v54
	v_cmp_ngt_f32_e32 vcc, s17, v47
	v_sub_f32_e32 v46, v46, v118
	s_waitcnt vmcnt(3)
	ds_write_b128 v124, v[32:35]
	s_waitcnt vmcnt(2)
	ds_write_b128 v125, v[36:39]
	;; [unrolled: 2-line block ×4, first 2 shown]
	v_cndmask_b32_e32 v58, 0, v67, vcc
	v_cmp_nlt_f32_e32 vcc, s18, v47
	v_ldexp_f32 v47, v55, v54
	v_sub_f32_e32 v54, v62, v118
	v_mul_f32_e32 v55, 0x3fb8aa3b, v54
	v_cndmask_b32_e32 v142, v137, v58, vcc
	v_fma_f32 v58, v54, s16, -v55
	v_rndne_f32_e32 v59, v55
	v_fmac_f32_e32 v58, 0x32a5705f, v54
	v_sub_f32_e32 v55, v55, v59
	v_add_f32_e32 v55, v55, v58
	v_exp_f32_e32 v55, v55
	v_cvt_i32_f32_e32 v58, v59
	v_cmp_ngt_f32_e32 vcc, s17, v143
	s_waitcnt lgkmcnt(0)
	s_barrier
	v_cndmask_b32_e32 v47, 0, v47, vcc
	v_cmp_nlt_f32_e32 vcc, s18, v143
	v_cvt_pk_f16_f32 v89, v141, v142
	s_nop 0
	v_cndmask_b32_e32 v143, v137, v47, vcc
	v_ldexp_f32 v47, v55, v58
	v_sub_f32_e32 v55, v63, v118
	v_mul_f32_e32 v58, 0x3fb8aa3b, v55
	v_fma_f32 v59, v55, s16, -v58
	v_rndne_f32_e32 v62, v58
	v_fmac_f32_e32 v59, 0x32a5705f, v55
	v_sub_f32_e32 v58, v58, v62
	v_add_f32_e32 v58, v58, v59
	v_exp_f32_e32 v58, v58
	v_cvt_i32_f32_e32 v59, v62
	v_cmp_ngt_f32_e32 vcc, s17, v54
	v_cvt_pk_f16_f32 v88, v139, v140
	s_nop 0
	v_cndmask_b32_e32 v47, 0, v47, vcc
	v_cmp_nlt_f32_e32 vcc, s18, v54
	v_sub_f32_e32 v54, v66, v118
	s_nop 0
	v_cndmask_b32_e32 v144, v137, v47, vcc
	v_ldexp_f32 v47, v58, v59
	v_mul_f32_e32 v58, 0x3fb8aa3b, v54
	v_fma_f32 v59, v54, s16, -v58
	v_rndne_f32_e32 v62, v58
	v_fmac_f32_e32 v59, 0x32a5705f, v54
	v_sub_f32_e32 v58, v58, v62
	v_add_f32_e32 v58, v58, v59
	v_cvt_i32_f32_e32 v59, v62
	v_mul_f32_e32 v62, 0x3fb8aa3b, v46
	v_fma_f32 v63, v46, s16, -v62
	v_rndne_f32_e32 v66, v62
	v_fmac_f32_e32 v63, 0x32a5705f, v46
	v_sub_f32_e32 v62, v62, v66
	v_add_f32_e32 v62, v62, v63
	v_exp_f32_e32 v62, v62
	v_cvt_i32_f32_e32 v63, v66
	v_cmp_ngt_f32_e32 vcc, s17, v55
	v_exp_f32_e32 v58, v58
	v_cvt_pk_f16_f32 v90, v143, v144
	v_cndmask_b32_e32 v47, 0, v47, vcc
	v_cmp_nlt_f32_e32 vcc, s18, v55
	v_ldexp_f32 v55, v62, v63
	s_nop 0
	v_cndmask_b32_e32 v145, v137, v47, vcc
	v_cmp_ngt_f32_e32 vcc, s17, v46
	v_ldexp_f32 v47, v58, v59
	s_nop 0
	v_cndmask_b32_e32 v55, 0, v55, vcc
	v_cmp_nlt_f32_e32 vcc, s18, v46
	s_nop 1
	v_cndmask_b32_e32 v55, v137, v55, vcc
	v_cmp_le_f32_e32 vcc, s20, v46
	s_nop 1
	v_cndmask_b32_e32 v146, 0, v55, vcc
	v_cvt_f16_f32_e32 v46, v146
	v_cmp_ngt_f32_e32 vcc, s17, v54
	v_mul_u32_u24_e32 v148, 0x10001, v46
	s_nop 0
	v_cndmask_b32_e32 v47, 0, v47, vcc
	v_cmp_nlt_f32_e32 vcc, s18, v54
	v_pk_mul_f16 v45, v45, v148
	v_pk_mul_f16 v44, v44, v148
	v_cndmask_b32_e32 v147, v137, v47, vcc
	v_cvt_f32_f16_e32 v32, v45
	v_cvt_f32_f16_sdwa v33, v45 dst_sel:DWORD dst_unused:UNUSED_PAD src0_sel:WORD_1
	ds_read_u16 v35, v132 offset:1056
	ds_read_u16 v39, v132 offset:1088
	;; [unrolled: 1-line block ×8, first 2 shown]
	ds_read_u16 v36, v133
	ds_read_u16 v46, v133 offset:32
	ds_read_u16 v55, v133 offset:64
	;; [unrolled: 1-line block ×7, first 2 shown]
	s_waitcnt lgkmcnt(7)
	v_perm_b32 v37, v36, v35, s21
	ds_read_u16 v35, v132
	ds_read_u16 v151, v132 offset:32
	ds_read_u16 v152, v132 offset:64
	;; [unrolled: 1-line block ×15, first 2 shown]
	s_waitcnt lgkmcnt(7)
	v_perm_b32 v36, v36, v35, s21
	v_cvt_f32_f16_e32 v34, v44
	v_cvt_f32_f16_sdwa v35, v44 dst_sel:DWORD dst_unused:UNUSED_PAD src0_sel:WORD_1
	v_pk_mul_f16 v38, v43, v148
	v_pk_mul_f16 v192, v42, v148
	v_mfma_f32_16x16x16_f16 v[32:35], v[36:37], v[88:89], v[32:35]
	ds_read_u16 v36, v132 offset:17952
	ds_read_u16 v44, v132 offset:17984
	;; [unrolled: 1-line block ×16, first 2 shown]
	s_waitcnt lgkmcnt(7)
	v_perm_b32 v37, v37, v36, s21
	ds_read_u16 v36, v132 offset:16896
	ds_read_u16 v178, v132 offset:16928
	;; [unrolled: 1-line block ×16, first 2 shown]
	v_cvt_f16_f32_e32 v32, v32
	v_cvt_f16_f32_e32 v33, v33
	;; [unrolled: 1-line block ×4, first 2 shown]
	s_waitcnt lgkmcnt(7)
	v_perm_b32 v36, v43, v36, s21
	v_cvt_f32_f16_e32 v32, v32
	v_cvt_f32_f16_e32 v33, v33
	;; [unrolled: 1-line block ×4, first 2 shown]
	v_cvt_pk_f16_f32 v91, v145, v147
	v_perm_b32 v43, v46, v39, s21
	v_perm_b32 v42, v158, v151, s21
	v_mfma_f32_16x16x16_f16 v[32:35], v[36:37], v[90:91], v[32:35]
	v_cvt_f32_f16_e32 v36, v38
	v_cvt_f32_f16_sdwa v37, v38 dst_sel:DWORD dst_unused:UNUSED_PAD src0_sel:WORD_1
	v_cvt_f32_f16_e32 v38, v192
	v_cvt_f32_f16_sdwa v39, v192 dst_sel:DWORD dst_unused:UNUSED_PAD src0_sel:WORD_1
	v_pk_mul_f16 v41, v41, v148
	v_pk_mul_f16 v46, v40, v148
	v_mfma_f32_16x16x16_f16 v[36:39], v[42:43], v[88:89], v[36:39]
	v_perm_b32 v43, v171, v44, s21
	s_waitcnt lgkmcnt(6)
	v_perm_b32 v42, v185, v178, s21
	v_perm_b32 v45, v55, v45, s21
	v_perm_b32 v44, v159, v152, s21
	s_nop 2
	v_cvt_f16_f32_e32 v36, v36
	v_cvt_f16_f32_e32 v37, v37
	;; [unrolled: 1-line block ×4, first 2 shown]
	v_cvt_f32_f16_e32 v36, v36
	v_cvt_f32_f16_e32 v37, v37
	v_cvt_f32_f16_e32 v38, v38
	v_cvt_f32_f16_e32 v39, v39
	v_cvt_f32_f16_e32 v40, v41
	v_cvt_f32_f16_sdwa v41, v41 dst_sel:DWORD dst_unused:UNUSED_PAD src0_sel:WORD_1
	v_mfma_f32_16x16x16_f16 v[36:39], v[42:43], v[90:91], v[36:39]
	v_cvt_f32_f16_e32 v42, v46
	v_cvt_f32_f16_sdwa v43, v46 dst_sel:DWORD dst_unused:UNUSED_PAD src0_sel:WORD_1
	v_pk_mul_f16 v46, v51, v148
	v_pk_mul_f16 v55, v50, v148
	v_mfma_f32_16x16x16_f16 v[40:43], v[44:45], v[88:89], v[40:43]
	v_perm_b32 v45, v172, v165, s21
	s_waitcnt lgkmcnt(5)
	v_perm_b32 v44, v186, v179, s21
	v_perm_b32 v51, v59, v47, s21
	;; [unrolled: 1-line block ×3, first 2 shown]
	s_nop 2
	v_cvt_f16_f32_e32 v40, v40
	v_cvt_f16_f32_e32 v41, v41
	;; [unrolled: 1-line block ×4, first 2 shown]
	v_cvt_f32_f16_e32 v40, v40
	v_cvt_f32_f16_e32 v41, v41
	;; [unrolled: 1-line block ×4, first 2 shown]
	v_cvt_f32_f16_sdwa v47, v55 dst_sel:DWORD dst_unused:UNUSED_PAD src0_sel:WORD_1
	v_pk_mul_f16 v49, v49, v148
	v_mfma_f32_16x16x16_f16 v[40:43], v[44:45], v[90:91], v[40:43]
	v_cvt_f32_f16_e32 v44, v46
	v_cvt_f32_f16_sdwa v45, v46 dst_sel:DWORD dst_unused:UNUSED_PAD src0_sel:WORD_1
	v_cvt_f32_f16_e32 v46, v55
	v_pk_mul_f16 v59, v48, v148
	v_perm_b32 v55, v63, v54, s21
	v_mfma_f32_16x16x16_f16 v[44:47], v[50:51], v[88:89], v[44:47]
	v_perm_b32 v51, v173, v166, s21
	s_waitcnt lgkmcnt(4)
	v_perm_b32 v50, v187, v180, s21
	v_perm_b32 v54, v161, v154, s21
	v_cvt_f32_f16_e32 v48, v49
	s_nop 2
	v_cvt_f16_f32_e32 v44, v44
	v_cvt_f16_f32_e32 v45, v45
	v_cvt_f16_f32_e32 v46, v46
	v_cvt_f16_f32_e32 v47, v47
	v_cvt_f32_f16_e32 v44, v44
	v_cvt_f32_f16_e32 v45, v45
	v_cvt_f32_f16_e32 v46, v46
	v_cvt_f32_f16_e32 v47, v47
	v_cvt_f32_f16_sdwa v49, v49 dst_sel:DWORD dst_unused:UNUSED_PAD src0_sel:WORD_1
	v_pk_mul_f16 v53, v53, v148
	v_mfma_f32_16x16x16_f16 v[44:47], v[50:51], v[90:91], v[44:47]
	v_cvt_f32_f16_e32 v50, v59
	v_cvt_f32_f16_sdwa v51, v59 dst_sel:DWORD dst_unused:UNUSED_PAD src0_sel:WORD_1
	v_pk_mul_f16 v63, v52, v148
	v_perm_b32 v59, v67, v58, s21
	v_mfma_f32_16x16x16_f16 v[48:51], v[54:55], v[88:89], v[48:51]
	v_perm_b32 v55, v174, v167, s21
	s_waitcnt lgkmcnt(3)
	v_perm_b32 v54, v188, v181, s21
	v_perm_b32 v58, v162, v155, s21
	v_cvt_f32_f16_e32 v52, v53
	s_nop 2
	v_cvt_f16_f32_e32 v48, v48
	v_cvt_f16_f32_e32 v49, v49
	v_cvt_f16_f32_e32 v50, v50
	v_cvt_f16_f32_e32 v51, v51
	v_cvt_f32_f16_e32 v48, v48
	v_cvt_f32_f16_e32 v49, v49
	v_cvt_f32_f16_e32 v50, v50
	v_cvt_f32_f16_e32 v51, v51
	v_cvt_f32_f16_sdwa v53, v53 dst_sel:DWORD dst_unused:UNUSED_PAD src0_sel:WORD_1
	v_pk_mul_f16 v57, v57, v148
	v_mfma_f32_16x16x16_f16 v[48:51], v[54:55], v[90:91], v[48:51]
	v_cvt_f32_f16_e32 v54, v63
	v_cvt_f32_f16_sdwa v55, v63 dst_sel:DWORD dst_unused:UNUSED_PAD src0_sel:WORD_1
	;; [unrolled: 22-line block ×4, first 2 shown]
	v_pk_mul_f16 v149, v64, v148
	v_cvt_f32_f16_e32 v64, v65
	v_mfma_f32_16x16x16_f16 v[60:63], v[66:67], v[88:89], v[60:63]
	v_perm_b32 v67, v177, v170, s21
	s_waitcnt lgkmcnt(0)
	v_perm_b32 v66, v191, v184, s21
	v_cvt_f32_f16_sdwa v65, v65 dst_sel:DWORD dst_unused:UNUSED_PAD src0_sel:WORD_1
	v_pk_mul_f16 v111, v111, v148
	s_nop 2
	v_cvt_f16_f32_e32 v60, v60
	v_cvt_f16_f32_e32 v61, v61
	;; [unrolled: 1-line block ×4, first 2 shown]
	v_cvt_f32_f16_e32 v60, v60
	v_cvt_f32_f16_e32 v61, v61
	;; [unrolled: 1-line block ×4, first 2 shown]
	v_pk_mul_f16 v109, v109, v148
	v_pk_mul_f16 v107, v107, v148
	v_mfma_f32_16x16x16_f16 v[60:63], v[66:67], v[90:91], v[60:63]
	ds_read_u16 v67, v132 offset:1312
	ds_read_u16 v154, v132 offset:1344
	;; [unrolled: 1-line block ×16, first 2 shown]
	s_waitcnt lgkmcnt(7)
	v_perm_b32 v151, v150, v67, s21
	ds_read_u16 v67, v132 offset:256
	ds_read_u16 v156, v132 offset:288
	;; [unrolled: 1-line block ×16, first 2 shown]
	s_waitcnt lgkmcnt(7)
	v_perm_b32 v150, v150, v67, s21
	v_cvt_f32_f16_e32 v66, v149
	v_cvt_f32_f16_sdwa v67, v149 dst_sel:DWORD dst_unused:UNUSED_PAD src0_sel:WORD_1
	v_pk_mul_f16 v105, v105, v148
	v_pk_mul_f16 v103, v103, v148
	v_mfma_f32_16x16x16_f16 v[64:67], v[150:151], v[88:89], v[64:67]
	ds_read_u16 v149, v132 offset:18208
	ds_read_u16 v182, v132 offset:18240
	;; [unrolled: 1-line block ×16, first 2 shown]
	s_waitcnt lgkmcnt(7)
	v_perm_b32 v151, v150, v149, s21
	ds_read_u16 v149, v132 offset:17152
	ds_read_u16 v196, v132 offset:17184
	;; [unrolled: 1-line block ×16, first 2 shown]
	v_cvt_f16_f32_e32 v64, v64
	v_cvt_f16_f32_e32 v65, v65
	;; [unrolled: 1-line block ×4, first 2 shown]
	s_waitcnt lgkmcnt(7)
	v_perm_b32 v150, v150, v149, s21
	v_cvt_f32_f16_e32 v64, v64
	v_cvt_f32_f16_e32 v65, v65
	;; [unrolled: 1-line block ×4, first 2 shown]
	v_pk_mul_f16 v149, v110, v148
	v_perm_b32 v110, v157, v156, s21
	v_mfma_f32_16x16x16_f16 v[150:153], v[150:151], v[90:91], v[64:67]
	v_pk_mul_f16 v100, v100, v148
	v_pk_mul_f16 v99, v99, v148
	s_nop 0
	v_cvt_f32_f16_e32 v64, v111
	v_cvt_f32_f16_sdwa v65, v111 dst_sel:DWORD dst_unused:UNUSED_PAD src0_sel:WORD_1
	v_perm_b32 v111, v155, v154, s21
	v_cvt_f32_f16_e32 v66, v149
	v_cvt_f32_f16_sdwa v67, v149 dst_sel:DWORD dst_unused:UNUSED_PAD src0_sel:WORD_1
	v_pk_mul_f16 v149, v108, v148
	v_perm_b32 v108, v176, v168, s21
	v_mfma_f32_16x16x16_f16 v[64:67], v[110:111], v[88:89], v[64:67]
	v_perm_b32 v111, v189, v182, s21
	s_waitcnt lgkmcnt(6)
	v_perm_b32 v110, v203, v196, s21
	v_pk_mul_f16 v98, v98, v148
	v_pk_mul_f16 v97, v97, v148
	s_nop 2
	v_cvt_f16_f32_e32 v64, v64
	v_cvt_f16_f32_e32 v65, v65
	v_cvt_f16_f32_e32 v66, v66
	v_cvt_f16_f32_e32 v67, v67
	v_cvt_f32_f16_e32 v64, v64
	v_cvt_f32_f16_e32 v65, v65
	;; [unrolled: 1-line block ×4, first 2 shown]
	v_cmp_lt_i32_e32 vcc, s35, v122
	v_cvt_pk_f16_f32 v61, v60, v61
	v_mfma_f32_16x16x16_f16 v[154:157], v[110:111], v[90:91], v[64:67]
	v_cvt_pk_f16_f32 v60, v62, v63
	v_cvt_pk_f16_f32 v57, v56, v57
	s_nop 0
	v_cvt_f32_f16_e32 v64, v109
	v_cvt_f32_f16_sdwa v65, v109 dst_sel:DWORD dst_unused:UNUSED_PAD src0_sel:WORD_1
	v_perm_b32 v109, v160, v158, s21
	v_cvt_f32_f16_e32 v66, v149
	v_cvt_f32_f16_sdwa v67, v149 dst_sel:DWORD dst_unused:UNUSED_PAD src0_sel:WORD_1
	v_pk_mul_f16 v149, v106, v148
	v_perm_b32 v106, v177, v169, s21
	v_mfma_f32_16x16x16_f16 v[64:67], v[108:109], v[88:89], v[64:67]
	v_perm_b32 v109, v190, v183, s21
	s_waitcnt lgkmcnt(5)
	v_perm_b32 v108, v204, v197, s21
	v_cvt_pk_f16_f32 v56, v58, v59
	v_cvt_pk_f16_f32 v53, v52, v53
	s_nop 2
	v_cvt_f16_f32_e32 v64, v64
	v_cvt_f16_f32_e32 v65, v65
	v_cvt_f16_f32_e32 v66, v66
	v_cvt_f16_f32_e32 v67, v67
	v_cvt_f32_f16_e32 v64, v64
	v_cvt_f32_f16_e32 v65, v65
	v_cvt_f32_f16_e32 v66, v66
	v_cvt_f32_f16_e32 v67, v67
	v_cvt_pk_f16_f32 v52, v54, v55
	v_cvt_pk_f16_f32 v49, v48, v49
	v_mfma_f32_16x16x16_f16 v[108:111], v[108:109], v[90:91], v[64:67]
	v_cvt_pk_f16_f32 v48, v50, v51
	v_cvt_pk_f16_f32 v51, v44, v45
	s_nop 0
	v_cvt_f32_f16_e32 v64, v107
	v_cvt_f32_f16_sdwa v65, v107 dst_sel:DWORD dst_unused:UNUSED_PAD src0_sel:WORD_1
	v_perm_b32 v107, v161, v159, s21
	v_cvt_f32_f16_e32 v66, v149
	v_cvt_f32_f16_sdwa v67, v149 dst_sel:DWORD dst_unused:UNUSED_PAD src0_sel:WORD_1
	v_pk_mul_f16 v149, v104, v148
	v_perm_b32 v104, v178, v172, s21
	v_mfma_f32_16x16x16_f16 v[64:67], v[106:107], v[88:89], v[64:67]
	v_perm_b32 v107, v191, v184, s21
	s_waitcnt lgkmcnt(4)
	v_perm_b32 v106, v205, v198, s21
	v_cvt_pk_f16_f32 v109, v108, v109
	v_cvt_pk_f16_f32 v108, v110, v111
	s_nop 2
	v_cvt_f16_f32_e32 v64, v64
	v_cvt_f16_f32_e32 v65, v65
	v_cvt_f16_f32_e32 v66, v66
	v_cvt_f16_f32_e32 v67, v67
	v_cvt_f32_f16_e32 v64, v64
	v_cvt_f32_f16_e32 v65, v65
	v_cvt_f32_f16_e32 v66, v66
	v_cvt_f32_f16_e32 v67, v67
	v_cvt_pk_f16_f32 v111, v154, v155
	;; [unrolled: 28-line block ×3, first 2 shown]
	v_cvt_pk_f16_f32 v45, v32, v33
	v_mfma_f32_16x16x16_f16 v[104:107], v[104:105], v[90:91], v[64:67]
	v_cvt_pk_f16_f32 v44, v34, v35
	s_and_b64 vcc, exec, vcc
	s_nop 0
	v_cvt_f32_f16_e32 v64, v103
	v_cvt_f32_f16_sdwa v65, v103 dst_sel:DWORD dst_unused:UNUSED_PAD src0_sel:WORD_1
	v_perm_b32 v103, v165, v163, s21
	v_cvt_f32_f16_e32 v66, v149
	v_cvt_f32_f16_sdwa v67, v149 dst_sel:DWORD dst_unused:UNUSED_PAD src0_sel:WORD_1
	v_cvt_pk_f16_f32 v105, v104, v105
	v_cvt_pk_f16_f32 v104, v106, v107
	v_mfma_f32_16x16x16_f16 v[64:67], v[102:103], v[88:89], v[64:67]
	v_perm_b32 v103, v193, v186, s21
	s_waitcnt lgkmcnt(2)
	v_perm_b32 v102, v207, v200, s21
	v_cvt_pk_f16_f32 v107, v158, v159
	v_cvt_pk_f16_f32 v106, v160, v161
	s_nop 2
	v_cvt_f16_f32_e32 v64, v64
	v_cvt_f16_f32_e32 v65, v65
	;; [unrolled: 1-line block ×4, first 2 shown]
	v_cvt_f32_f16_e32 v64, v64
	v_cvt_f32_f16_e32 v65, v65
	;; [unrolled: 1-line block ×4, first 2 shown]
	s_waitcnt lgkmcnt(0)
	s_barrier
	v_mfma_f32_16x16x16_f16 v[162:165], v[102:103], v[90:91], v[64:67]
	v_perm_b32 v103, v167, v166, s21
	v_perm_b32 v102, v180, v174, s21
	s_nop 0
	v_cvt_f32_f16_e32 v64, v100
	v_cvt_f32_f16_sdwa v65, v100 dst_sel:DWORD dst_unused:UNUSED_PAD src0_sel:WORD_1
	v_cvt_f32_f16_e32 v66, v99
	v_cvt_f32_f16_sdwa v67, v99 dst_sel:DWORD dst_unused:UNUSED_PAD src0_sel:WORD_1
	v_add_f32_e32 v99, v139, v140
	v_add_f32_e32 v100, v141, v99
	v_mfma_f32_16x16x16_f16 v[64:67], v[102:103], v[88:89], v[64:67]
	v_perm_b32 v103, v194, v187, s21
	v_perm_b32 v102, v208, v201, s21
	;; [unrolled: 1-line block ×3, first 2 shown]
	s_nop 4
	v_cvt_f16_f32_e32 v64, v64
	v_cvt_f16_f32_e32 v65, v65
	;; [unrolled: 1-line block ×4, first 2 shown]
	v_cvt_f32_f16_e32 v64, v64
	v_cvt_f32_f16_e32 v65, v65
	;; [unrolled: 1-line block ×4, first 2 shown]
	s_nop 1
	v_mfma_f32_16x16x16_f16 v[166:169], v[102:103], v[90:91], v[64:67]
	v_cvt_pk_f16_f32 v103, v162, v163
	v_cvt_pk_f16_f32 v102, v164, v165
	s_nop 0
	v_cvt_f32_f16_e32 v64, v98
	v_cvt_f32_f16_sdwa v65, v98 dst_sel:DWORD dst_unused:UNUSED_PAD src0_sel:WORD_1
	v_perm_b32 v98, v181, v175, s21
	v_cvt_f32_f16_e32 v66, v97
	v_cvt_f32_f16_sdwa v67, v97 dst_sel:DWORD dst_unused:UNUSED_PAD src0_sel:WORD_1
	v_add_f32_e32 v97, v142, v100
	v_add_f32_e32 v97, v143, v97
	v_mfma_f32_16x16x16_f16 v[64:67], v[98:99], v[88:89], v[64:67]
	v_add_f32_e32 v97, v144, v97
	v_cvt_pk_f16_f32 v100, v166, v167
	v_cvt_pk_f16_f32 v99, v168, v169
	s_nop 4
	v_cvt_f16_f32_e32 v64, v64
	v_cvt_f16_f32_e32 v65, v65
	;; [unrolled: 1-line block ×4, first 2 shown]
	v_cvt_f32_f16_e32 v140, v64
	v_cvt_f32_f16_e32 v141, v65
	v_perm_b32 v65, v195, v188, s21
	v_perm_b32 v64, v209, v202, s21
	v_cvt_f32_f16_e32 v142, v66
	v_cvt_f32_f16_e32 v143, v67
	v_add_f32_e32 v66, v145, v97
	v_add_f32_e32 v66, v147, v66
	v_mfma_f32_16x16x16_f16 v[88:91], v[64:65], v[90:91], v[140:143]
	v_fmac_f32_e32 v66, v138, v146
	v_cvt_pk_f16_f32 v65, v150, v151
	v_cvt_pk_f16_f32 v64, v152, v153
	s_nop 4
	v_cvt_pk_f16_f32 v98, v88, v89
	v_cvt_pk_f16_f32 v97, v90, v91
	s_cbranch_vccz .LBB32_634
; %bb.630:                              ;   in Loop: Header=BB32_597 Depth=1
	v_mov_b32_e32 v138, v66
	v_mov_b32_e32 v46, v118
	s_ashr_i32 s7, s6, 31
	s_and_saveexec_b64 s[8:9], s[0:1]
	s_cbranch_execnz .LBB32_596
	s_branch .LBB32_597
.LBB32_631:
                                        ; implicit-def: $sgpr58_sgpr59
	s_load_dwordx2 s[56:57], s[0:1], 0x74
	v_cvt_f32_u32_e32 v1, s33
	s_branch .LBB32_2
.LBB32_632:
                                        ; implicit-def: $sgpr62_sgpr63
	s_load_dwordx2 s[44:45], s[0:1], 0x5c
	s_branch .LBB32_5
.LBB32_633:
	v_mov_b32_e32 v118, 0xfeffffff
	v_mov_b32_e32 v66, 0
	;; [unrolled: 1-line block ×34, first 2 shown]
.LBB32_634:
	s_lshl_b32 s0, s35, 6
	s_ashr_i32 s1, s0, 31
	v_cmp_gt_u32_e32 vcc, 8, v120
	s_and_saveexec_b64 s[6:7], vcc
	s_cbranch_execz .LBB32_636
; %bb.635:
	v_or_b32_e32 v32, s12, v120
	v_mul_hi_u32 v33, s44, v32
	v_add_u32_e32 v33, v32, v33
	v_lshrrev_b32_e32 v33, s45, v33
	s_lshl_b64 s[8:9], s[0:1], 1
	v_mul_lo_u32 v33, v33, s36
	s_add_u32 s4, s4, s8
	v_sub_u32_e32 v33, v32, v33
	s_addc_u32 s5, s5, s9
	v_mad_i64_i32 v[34:35], s[8:9], v33, s48, 0
	v_and_b32_e32 v32, 0x7c, v117
	v_lshl_add_u64 v[34:35], v[34:35], 1, s[4:5]
	v_mov_b32_e32 v33, 0
	v_lshl_add_u64 v[34:35], v[34:35], 0, v[32:33]
	global_load_dword v33, v[34:35], off
	v_mul_u32_u24_e32 v34, 0x90, v120
	v_add3_u32 v32, 0, v34, v32
	s_waitcnt vmcnt(0)
	ds_write_b32 v32, v33 offset:33792
.LBB32_636:
	s_or_b64 exec, exec, s[6:7]
	s_mul_hi_i32 s5, s0, s46
	s_mul_i32 s4, s0, s46
	s_lshl_b64 s[4:5], s[4:5], 2
	s_add_u32 s4, s13, s4
	s_addc_u32 s5, s14, s5
	s_lshl_b32 s1, s46, 4
	v_add_u32_e32 v36, s1, v70
	v_ashrrev_i32_e32 v37, 31, v36
	v_lshl_add_u64 v[38:39], v[36:37], 2, s[4:5]
	v_add_u32_e32 v36, s1, v36
	v_ashrrev_i32_e32 v37, 31, v36
	v_and_b32_e32 v32, 0x7c, v117
	v_lshl_add_u64 v[46:47], v[36:37], 2, s[4:5]
	v_add_u32_e32 v36, s1, v36
	v_mov_b32_e32 v33, 0
	v_lshlrev_b32_e32 v32, 2, v32
	v_lshl_add_u64 v[34:35], v[70:71], 2, s[4:5]
	v_ashrrev_i32_e32 v37, 31, v36
	v_lshl_add_u64 v[34:35], v[34:35], 0, v[32:33]
	v_lshl_add_u64 v[36:37], v[36:37], 2, s[4:5]
	;; [unrolled: 1-line block ×5, first 2 shown]
	global_load_dwordx4 v[70:73], v[34:35], off
	global_load_dwordx4 v[74:77], v[38:39], off
	;; [unrolled: 1-line block ×4, first 2 shown]
	v_and_b32_e32 v33, 16, v101
	v_mul_u32_u24_e32 v34, 0x210, v120
	v_add_u32_e32 v35, 0, v119
	v_mul_u32_u24_e32 v37, 0x210, v33
	v_add3_u32 v36, 0, v34, v32
	v_add3_u32 v34, v35, v96, v37
	v_add_u32_e32 v35, 0x4000, v34
	s_mov_b32 s1, 0x3f200000
	s_waitcnt vmcnt(3)
	ds_write_b128 v36, v[70:73]
	s_waitcnt vmcnt(2)
	ds_write_b128 v36, v[74:77] offset:8448
	s_waitcnt vmcnt(1)
	ds_write_b128 v36, v[78:81] offset:16896
	;; [unrolled: 2-line block ×3, first 2 shown]
	s_waitcnt lgkmcnt(0)
	s_barrier
	ds_read2_b64 v[70:73], v34 offset1:4
	ds_read2_b64 v[78:81], v35 offset0:64 offset1:68
	s_waitcnt lgkmcnt(1)
	v_mfma_f32_16x16x16_f16 v[74:77], v[70:71], v[28:29], 0
	s_waitcnt lgkmcnt(0)
	v_mfma_f32_16x16x16_f16 v[82:85], v[78:79], v[28:29], 0
	v_mfma_f32_16x16x16_f16 v[70:73], v[72:73], v[30:31], v[74:77]
	;; [unrolled: 1-line block ×3, first 2 shown]
	s_nop 3
	ds_read2_b64 v[74:77], v34 offset0:8 offset1:12
	ds_read2_b64 v[78:81], v35 offset0:72 offset1:76
	s_waitcnt lgkmcnt(1)
	v_mfma_f32_16x16x16_f16 v[70:73], v[74:75], v[24:25], v[70:73]
	s_waitcnt lgkmcnt(0)
	v_mfma_f32_16x16x16_f16 v[28:31], v[78:79], v[24:25], v[28:31]
	v_mfma_f32_16x16x16_f16 v[70:73], v[76:77], v[26:27], v[70:73]
	ds_read2_b64 v[74:77], v35 offset0:80 offset1:84
	v_mfma_f32_16x16x16_f16 v[24:27], v[80:81], v[26:27], v[28:31]
	s_nop 4
	ds_read2_b64 v[28:31], v34 offset0:16 offset1:20
	s_waitcnt lgkmcnt(0)
	v_mfma_f32_16x16x16_f16 v[70:73], v[28:29], v[20:21], v[70:73]
	v_mfma_f32_16x16x16_f16 v[24:27], v[74:75], v[20:21], v[24:27]
	v_mfma_f32_16x16x16_f16 v[28:31], v[30:31], v[22:23], v[70:73]
	v_mfma_f32_16x16x16_f16 v[20:23], v[76:77], v[22:23], v[24:27]
	s_nop 4
	ds_read2_b64 v[70:73], v35 offset0:88 offset1:92
	ds_read2_b64 v[24:27], v34 offset0:24 offset1:28
	s_waitcnt lgkmcnt(0)
	v_mfma_f32_16x16x16_f16 v[28:31], v[24:25], v[16:17], v[28:31]
	v_mfma_f32_16x16x16_f16 v[20:23], v[70:71], v[16:17], v[20:23]
	v_mfma_f32_16x16x16_f16 v[24:27], v[26:27], v[18:19], v[28:31]
	v_mfma_f32_16x16x16_f16 v[16:19], v[72:73], v[18:19], v[20:23]
	s_nop 4
	ds_read2_b64 v[28:31], v35 offset0:96 offset1:100
	;; [unrolled: 8-line block ×5, first 2 shown]
	ds_read2_b64 v[8:11], v34 offset0:56 offset1:60
	s_waitcnt lgkmcnt(0)
	v_mfma_f32_16x16x16_f16 v[12:15], v[8:9], v[0:1], v[12:15]
	s_barrier
	v_mfma_f32_16x16x16_f16 v[20:23], v[16:17], v[0:1], v[4:7]
                                        ; implicit-def: $vgpr8
	v_mfma_f32_16x16x16_f16 v[4:7], v[10:11], v[2:3], v[12:15]
	v_mfma_f32_16x16x16_f16 v[0:3], v[18:19], v[2:3], v[20:23]
	s_nop 6
	v_cmp_nlt_f32_e64 s[4:5], |v4|, s1
	s_and_saveexec_b64 s[6:7], s[4:5]
	s_xor_b64 s[4:5], exec, s[6:7]
	s_cbranch_execz .LBB32_638
; %bb.637:
	v_add_f32_e64 v8, |v4|, |v4|
	v_mul_f32_e32 v9, 0x3fb8aa3b, v8
	s_mov_b32 s1, 0x3fb8aa3b
	v_rndne_f32_e32 v10, v9
	v_sub_f32_e32 v11, v9, v10
	v_fma_f32 v9, v8, s1, -v9
	v_fmamk_f32 v9, v8, 0x32a5705f, v9
	v_add_f32_e32 v9, v11, v9
	v_exp_f32_e32 v9, v9
	v_cvt_i32_f32_e32 v10, v10
	s_mov_b32 s1, 0xc2ce8ed0
	v_cmp_ngt_f32_e32 vcc, s1, v8
	s_mov_b32 s1, 0x42b17218
	v_ldexp_f32 v9, v9, v10
	v_cndmask_b32_e32 v9, 0, v9, vcc
	v_mov_b32_e32 v10, 0x7f800000
	v_cmp_nlt_f32_e32 vcc, s1, v8
	s_nop 1
	v_cndmask_b32_e32 v8, v10, v9, vcc
	v_add_f32_e32 v8, 1.0, v8
	v_rcp_f32_e32 v8, v8
	s_nop 0
	v_fma_f32 v8, v8, -2.0, 1.0
.LBB32_638:
	s_andn2_saveexec_b64 s[4:5], s[4:5]
; %bb.639:
	v_mul_f32_e32 v8, v4, v4
	v_mov_b32_e32 v9, 0x3ca908c9
	v_fmac_f32_e32 v9, 0xbbbac73d, v8
	v_fmaak_f32 v9, v8, v9, 0xbd5c1c4e
	v_fmaak_f32 v9, v8, v9, 0x3e088382
	;; [unrolled: 1-line block ×3, first 2 shown]
	v_mul_f32_e64 v9, |v4|, v9
	v_fma_f32 v8, v8, v9, |v4|
; %bb.640:
	s_or_b64 exec, exec, s[4:5]
	s_mov_b32 s1, 0x3f200000
	v_cmp_nlt_f32_e64 s[4:5], |v5|, s1
                                        ; implicit-def: $vgpr12
	s_and_saveexec_b64 s[6:7], s[4:5]
	s_xor_b64 s[4:5], exec, s[6:7]
	s_cbranch_execz .LBB32_642
; %bb.641:
	v_add_f32_e64 v9, |v5|, |v5|
	v_mul_f32_e32 v10, 0x3fb8aa3b, v9
	s_mov_b32 s1, 0x3fb8aa3b
	v_rndne_f32_e32 v11, v10
	v_sub_f32_e32 v12, v10, v11
	v_fma_f32 v10, v9, s1, -v10
	v_fmamk_f32 v10, v9, 0x32a5705f, v10
	v_add_f32_e32 v10, v12, v10
	v_exp_f32_e32 v10, v10
	v_cvt_i32_f32_e32 v11, v11
	s_mov_b32 s1, 0xc2ce8ed0
	v_cmp_ngt_f32_e32 vcc, s1, v9
	s_mov_b32 s1, 0x42b17218
	v_ldexp_f32 v10, v10, v11
	v_cndmask_b32_e32 v10, 0, v10, vcc
	v_mov_b32_e32 v11, 0x7f800000
	v_cmp_nlt_f32_e32 vcc, s1, v9
	s_nop 1
	v_cndmask_b32_e32 v9, v11, v10, vcc
	v_add_f32_e32 v9, 1.0, v9
	v_rcp_f32_e32 v9, v9
	s_nop 0
	v_fma_f32 v12, v9, -2.0, 1.0
.LBB32_642:
	s_andn2_saveexec_b64 s[4:5], s[4:5]
; %bb.643:
	v_mul_f32_e32 v9, v5, v5
	v_mov_b32_e32 v10, 0x3ca908c9
	v_fmac_f32_e32 v10, 0xbbbac73d, v9
	v_fmaak_f32 v10, v9, v10, 0xbd5c1c4e
	v_fmaak_f32 v10, v9, v10, 0x3e088382
	;; [unrolled: 1-line block ×3, first 2 shown]
	v_mul_f32_e64 v10, |v5|, v10
	v_fma_f32 v12, v9, v10, |v5|
; %bb.644:
	s_or_b64 exec, exec, s[4:5]
	s_mov_b32 s1, 0x3f200000
	v_cmp_nlt_f32_e64 s[4:5], |v6|, s1
                                        ; implicit-def: $vgpr13
	s_and_saveexec_b64 s[6:7], s[4:5]
	s_xor_b64 s[4:5], exec, s[6:7]
	s_cbranch_execz .LBB32_646
; %bb.645:
	v_add_f32_e64 v9, |v6|, |v6|
	v_mul_f32_e32 v10, 0x3fb8aa3b, v9
	s_mov_b32 s1, 0x3fb8aa3b
	v_rndne_f32_e32 v11, v10
	v_sub_f32_e32 v13, v10, v11
	v_fma_f32 v10, v9, s1, -v10
	v_fmamk_f32 v10, v9, 0x32a5705f, v10
	v_add_f32_e32 v10, v13, v10
	v_exp_f32_e32 v10, v10
	v_cvt_i32_f32_e32 v11, v11
	s_mov_b32 s1, 0xc2ce8ed0
	v_cmp_ngt_f32_e32 vcc, s1, v9
	s_mov_b32 s1, 0x42b17218
	v_ldexp_f32 v10, v10, v11
	v_cndmask_b32_e32 v10, 0, v10, vcc
	v_mov_b32_e32 v11, 0x7f800000
	v_cmp_nlt_f32_e32 vcc, s1, v9
	s_nop 1
	v_cndmask_b32_e32 v9, v11, v10, vcc
	v_add_f32_e32 v9, 1.0, v9
	v_rcp_f32_e32 v9, v9
	s_nop 0
	v_fma_f32 v13, v9, -2.0, 1.0
.LBB32_646:
	s_andn2_saveexec_b64 s[4:5], s[4:5]
; %bb.647:
	v_mul_f32_e32 v9, v6, v6
	v_mov_b32_e32 v10, 0x3ca908c9
	v_fmac_f32_e32 v10, 0xbbbac73d, v9
	v_fmaak_f32 v10, v9, v10, 0xbd5c1c4e
	v_fmaak_f32 v10, v9, v10, 0x3e088382
	;; [unrolled: 1-line block ×3, first 2 shown]
	v_mul_f32_e64 v10, |v6|, v10
	v_fma_f32 v13, v9, v10, |v6|
; %bb.648:
	s_or_b64 exec, exec, s[4:5]
	s_mov_b32 s1, 0x3f200000
	v_cmp_nlt_f32_e64 s[4:5], |v7|, s1
                                        ; implicit-def: $vgpr14
	s_and_saveexec_b64 s[6:7], s[4:5]
	s_xor_b64 s[4:5], exec, s[6:7]
	s_cbranch_execz .LBB32_650
; %bb.649:
	v_add_f32_e64 v9, |v7|, |v7|
	v_mul_f32_e32 v10, 0x3fb8aa3b, v9
	s_mov_b32 s1, 0x3fb8aa3b
	v_rndne_f32_e32 v11, v10
	v_sub_f32_e32 v14, v10, v11
	v_fma_f32 v10, v9, s1, -v10
	v_fmamk_f32 v10, v9, 0x32a5705f, v10
	v_add_f32_e32 v10, v14, v10
	v_exp_f32_e32 v10, v10
	v_cvt_i32_f32_e32 v11, v11
	s_mov_b32 s1, 0xc2ce8ed0
	v_cmp_ngt_f32_e32 vcc, s1, v9
	s_mov_b32 s1, 0x42b17218
	v_ldexp_f32 v10, v10, v11
	v_cndmask_b32_e32 v10, 0, v10, vcc
	v_mov_b32_e32 v11, 0x7f800000
	v_cmp_nlt_f32_e32 vcc, s1, v9
	s_nop 1
	v_cndmask_b32_e32 v9, v11, v10, vcc
	v_add_f32_e32 v9, 1.0, v9
	v_rcp_f32_e32 v9, v9
	s_nop 0
	v_fma_f32 v14, v9, -2.0, 1.0
.LBB32_650:
	s_andn2_saveexec_b64 s[4:5], s[4:5]
; %bb.651:
	v_mul_f32_e32 v9, v7, v7
	v_mov_b32_e32 v10, 0x3ca908c9
	v_fmac_f32_e32 v10, 0xbbbac73d, v9
	v_fmaak_f32 v10, v9, v10, 0xbd5c1c4e
	v_fmaak_f32 v10, v9, v10, 0x3e088382
	;; [unrolled: 1-line block ×3, first 2 shown]
	v_mul_f32_e64 v10, |v7|, v10
	v_fma_f32 v14, v9, v10, |v7|
; %bb.652:
	s_or_b64 exec, exec, s[4:5]
	s_mov_b32 s1, 0x3f200000
	v_cmp_nlt_f32_e64 s[4:5], |v0|, s1
                                        ; implicit-def: $vgpr15
	s_and_saveexec_b64 s[6:7], s[4:5]
	s_xor_b64 s[4:5], exec, s[6:7]
	s_cbranch_execz .LBB32_654
; %bb.653:
	v_add_f32_e64 v9, |v0|, |v0|
	v_mul_f32_e32 v10, 0x3fb8aa3b, v9
	s_mov_b32 s1, 0x3fb8aa3b
	v_rndne_f32_e32 v11, v10
	v_sub_f32_e32 v15, v10, v11
	v_fma_f32 v10, v9, s1, -v10
	v_fmamk_f32 v10, v9, 0x32a5705f, v10
	v_add_f32_e32 v10, v15, v10
	v_exp_f32_e32 v10, v10
	v_cvt_i32_f32_e32 v11, v11
	s_mov_b32 s1, 0xc2ce8ed0
	v_cmp_ngt_f32_e32 vcc, s1, v9
	s_mov_b32 s1, 0x42b17218
	v_ldexp_f32 v10, v10, v11
	v_cndmask_b32_e32 v10, 0, v10, vcc
	v_mov_b32_e32 v11, 0x7f800000
	v_cmp_nlt_f32_e32 vcc, s1, v9
	s_nop 1
	v_cndmask_b32_e32 v9, v11, v10, vcc
	v_add_f32_e32 v9, 1.0, v9
	v_rcp_f32_e32 v9, v9
	s_nop 0
	v_fma_f32 v15, v9, -2.0, 1.0
.LBB32_654:
	s_andn2_saveexec_b64 s[4:5], s[4:5]
; %bb.655:
	v_mul_f32_e32 v9, v0, v0
	v_mov_b32_e32 v10, 0x3ca908c9
	v_fmac_f32_e32 v10, 0xbbbac73d, v9
	v_fmaak_f32 v10, v9, v10, 0xbd5c1c4e
	v_fmaak_f32 v10, v9, v10, 0x3e088382
	;; [unrolled: 1-line block ×3, first 2 shown]
	v_mul_f32_e64 v10, |v0|, v10
	v_fma_f32 v15, v9, v10, |v0|
; %bb.656:
	s_or_b64 exec, exec, s[4:5]
	s_mov_b32 s1, 0x3f200000
	v_cmp_nlt_f32_e64 s[4:5], |v1|, s1
                                        ; implicit-def: $vgpr16
	s_and_saveexec_b64 s[6:7], s[4:5]
	s_xor_b64 s[4:5], exec, s[6:7]
	s_cbranch_execz .LBB32_658
; %bb.657:
	v_add_f32_e64 v9, |v1|, |v1|
	v_mul_f32_e32 v10, 0x3fb8aa3b, v9
	s_mov_b32 s1, 0x3fb8aa3b
	v_rndne_f32_e32 v11, v10
	v_sub_f32_e32 v16, v10, v11
	v_fma_f32 v10, v9, s1, -v10
	v_fmamk_f32 v10, v9, 0x32a5705f, v10
	v_add_f32_e32 v10, v16, v10
	v_exp_f32_e32 v10, v10
	v_cvt_i32_f32_e32 v11, v11
	s_mov_b32 s1, 0xc2ce8ed0
	v_cmp_ngt_f32_e32 vcc, s1, v9
	s_mov_b32 s1, 0x42b17218
	v_ldexp_f32 v10, v10, v11
	v_cndmask_b32_e32 v10, 0, v10, vcc
	v_mov_b32_e32 v11, 0x7f800000
	v_cmp_nlt_f32_e32 vcc, s1, v9
	s_nop 1
	v_cndmask_b32_e32 v9, v11, v10, vcc
	v_add_f32_e32 v9, 1.0, v9
	v_rcp_f32_e32 v9, v9
	s_nop 0
	v_fma_f32 v16, v9, -2.0, 1.0
.LBB32_658:
	s_andn2_saveexec_b64 s[4:5], s[4:5]
; %bb.659:
	v_mul_f32_e32 v9, v1, v1
	v_mov_b32_e32 v10, 0x3ca908c9
	v_fmac_f32_e32 v10, 0xbbbac73d, v9
	v_fmaak_f32 v10, v9, v10, 0xbd5c1c4e
	v_fmaak_f32 v10, v9, v10, 0x3e088382
	v_fmaak_f32 v10, v9, v10, 0xbeaaaa99
	v_mul_f32_e64 v10, |v1|, v10
	v_fma_f32 v16, v9, v10, |v1|
; %bb.660:
	s_or_b64 exec, exec, s[4:5]
	s_mov_b32 s1, 0x3f200000
	v_cmp_nlt_f32_e64 s[4:5], |v2|, s1
                                        ; implicit-def: $vgpr17
	s_and_saveexec_b64 s[6:7], s[4:5]
	s_xor_b64 s[4:5], exec, s[6:7]
	s_cbranch_execz .LBB32_662
; %bb.661:
	v_add_f32_e64 v9, |v2|, |v2|
	v_mul_f32_e32 v10, 0x3fb8aa3b, v9
	s_mov_b32 s1, 0x3fb8aa3b
	v_rndne_f32_e32 v11, v10
	v_sub_f32_e32 v17, v10, v11
	v_fma_f32 v10, v9, s1, -v10
	v_fmamk_f32 v10, v9, 0x32a5705f, v10
	v_add_f32_e32 v10, v17, v10
	v_exp_f32_e32 v10, v10
	v_cvt_i32_f32_e32 v11, v11
	s_mov_b32 s1, 0xc2ce8ed0
	v_cmp_ngt_f32_e32 vcc, s1, v9
	s_mov_b32 s1, 0x42b17218
	v_ldexp_f32 v10, v10, v11
	v_cndmask_b32_e32 v10, 0, v10, vcc
	v_mov_b32_e32 v11, 0x7f800000
	v_cmp_nlt_f32_e32 vcc, s1, v9
	s_nop 1
	v_cndmask_b32_e32 v9, v11, v10, vcc
	v_add_f32_e32 v9, 1.0, v9
	v_rcp_f32_e32 v9, v9
	s_nop 0
	v_fma_f32 v17, v9, -2.0, 1.0
.LBB32_662:
	s_andn2_saveexec_b64 s[4:5], s[4:5]
; %bb.663:
	v_mul_f32_e32 v9, v2, v2
	v_mov_b32_e32 v10, 0x3ca908c9
	v_fmac_f32_e32 v10, 0xbbbac73d, v9
	v_fmaak_f32 v10, v9, v10, 0xbd5c1c4e
	v_fmaak_f32 v10, v9, v10, 0x3e088382
	;; [unrolled: 1-line block ×3, first 2 shown]
	v_mul_f32_e64 v10, |v2|, v10
	v_fma_f32 v17, v9, v10, |v2|
; %bb.664:
	s_or_b64 exec, exec, s[4:5]
	s_mov_b32 s1, 0x3f200000
	v_cmp_nlt_f32_e64 s[4:5], |v3|, s1
                                        ; implicit-def: $vgpr18
	s_and_saveexec_b64 s[6:7], s[4:5]
	s_xor_b64 s[4:5], exec, s[6:7]
	s_cbranch_execz .LBB32_666
; %bb.665:
	v_add_f32_e64 v9, |v3|, |v3|
	v_mul_f32_e32 v10, 0x3fb8aa3b, v9
	s_mov_b32 s1, 0x3fb8aa3b
	v_rndne_f32_e32 v11, v10
	v_sub_f32_e32 v18, v10, v11
	v_fma_f32 v10, v9, s1, -v10
	v_fmamk_f32 v10, v9, 0x32a5705f, v10
	v_add_f32_e32 v10, v18, v10
	v_exp_f32_e32 v10, v10
	v_cvt_i32_f32_e32 v11, v11
	s_mov_b32 s1, 0xc2ce8ed0
	v_cmp_ngt_f32_e32 vcc, s1, v9
	s_mov_b32 s1, 0x42b17218
	v_ldexp_f32 v10, v10, v11
	v_cndmask_b32_e32 v10, 0, v10, vcc
	v_mov_b32_e32 v11, 0x7f800000
	v_cmp_nlt_f32_e32 vcc, s1, v9
	s_nop 1
	v_cndmask_b32_e32 v9, v11, v10, vcc
	v_add_f32_e32 v9, 1.0, v9
	v_rcp_f32_e32 v9, v9
	s_nop 0
	v_fma_f32 v18, v9, -2.0, 1.0
.LBB32_666:
	s_or_saveexec_b64 s[4:5], s[4:5]
	v_add_u32_e32 v9, 0x2100, v36
	v_add_u32_e32 v10, 0x4200, v36
	;; [unrolled: 1-line block ×3, first 2 shown]
	s_xor_b64 exec, exec, s[4:5]
; %bb.667:
	v_mul_f32_e32 v18, v3, v3
	v_mov_b32_e32 v19, 0x3ca908c9
	v_fmac_f32_e32 v19, 0xbbbac73d, v18
	v_fmaak_f32 v19, v18, v19, 0xbd5c1c4e
	v_fmaak_f32 v19, v18, v19, 0x3e088382
	;; [unrolled: 1-line block ×3, first 2 shown]
	v_mul_f32_e64 v19, |v3|, v19
	v_fma_f32 v18, v18, v19, |v3|
; %bb.668:
	s_or_b64 exec, exec, s[4:5]
	s_brev_b32 s1, -2
	v_bfi_b32 v15, s1, v15, v0
	v_bfi_b32 v16, s1, v16, v1
	;; [unrolled: 1-line block ×8, first 2 shown]
	v_and_b32_e32 v30, 0xfc, v114
	v_lshrrev_b32_e32 v0, 3, v116
	s_movk_i32 s1, 0x90
	v_mad_u32_u24 v2, v0, s1, 0
	v_add_u16_e32 v0, v30, v33
	v_lshrrev_b16_e32 v0, 1, v0
	v_lshlrev_b32_e32 v0, 2, v0
	s_mov_b32 s1, 0x8400
	v_add_u32_e32 v3, v30, v33
	v_add3_u32 v0, v2, v0, s1
	v_lshl_add_u32 v2, v3, 1, v2
	ds_read2_b32 v[0:1], v0 offset1:1
	v_add_u32_e32 v2, 0x8400, v2
	ds_read2_b32 v[2:3], v2 offset0:16 offset1:17
	s_mov_b32 s4, 0x3fb8aa3b
	s_mov_b32 s1, 0xc2ce8ed0
	s_waitcnt lgkmcnt(1)
	v_fma_mix_f32 v4, s3, v4, v0 op_sel_hi:[0,0,1]
	v_fma_mix_f32 v0, s3, v5, v0 op_sel:[0,0,1] op_sel_hi:[0,0,1]
	v_fma_mix_f32 v5, s3, v6, v1 op_sel_hi:[0,0,1]
	v_fma_mix_f32 v1, s3, v7, v1 op_sel:[0,0,1] op_sel_hi:[0,0,1]
	s_waitcnt lgkmcnt(0)
	v_fma_mix_f32 v6, s3, v15, v2 op_sel_hi:[0,0,1]
	v_fma_mix_f32 v31, s3, v16, v2 op_sel:[0,0,1] op_sel_hi:[0,0,1]
	v_fma_mix_f32 v35, s3, v17, v3 op_sel_hi:[0,0,1]
	v_fma_mix_f32 v8, s3, v8, v3 op_sel:[0,0,1] op_sel_hi:[0,0,1]
	v_add_f32_e32 v2, 0x40051340, v4
	v_add_f32_e32 v3, 0x40051340, v0
	v_max3_f32 v2, v118, v2, v3
	v_add_f32_e32 v3, 0x40051340, v5
	v_add_f32_e32 v7, 0x40051340, v1
	v_max3_f32 v2, v2, v3, v7
	;; [unrolled: 3-line block ×4, first 2 shown]
	v_mbcnt_hi_u32_b32 v3, -1, v115
	v_and_b32_e32 v7, 64, v3
	v_add_u32_e32 v7, 64, v7
	v_xor_b32_e32 v12, 32, v3
	v_cmp_lt_i32_e32 vcc, v12, v7
	s_mov_b32 s3, 0x42b17218
	v_mov_b32_e32 v37, 0x7f800000
	v_cndmask_b32_e32 v12, v3, v12, vcc
	v_lshlrev_b32_e32 v71, 2, v12
	ds_bpermute_b32 v12, v71, v2
	s_mul_hi_i32 s7, s0, s38
	s_mul_i32 s6, s0, s38
	s_lshl_b64 s[6:7], s[6:7], 2
	s_add_u32 s6, s10, s6
	s_waitcnt lgkmcnt(0)
	v_max_f32_e32 v12, v12, v12
	v_max_f32_e32 v2, v2, v12
	v_xor_b32_e32 v12, 16, v3
	v_cmp_lt_i32_e32 vcc, v12, v7
	s_addc_u32 s7, s11, s7
	v_mov_b32_e32 v33, 0
	v_cndmask_b32_e32 v3, v3, v12, vcc
	v_lshlrev_b32_e32 v67, 2, v3
	ds_bpermute_b32 v3, v67, v2
	s_lshl_b32 s0, s38, 4
	s_waitcnt lgkmcnt(0)
	v_max_f32_e32 v3, v3, v3
	v_max_f32_e32 v70, v2, v3
	v_sub_f32_e32 v2, v4, v70
	v_mul_f32_e32 v3, 0x3fb8aa3b, v2
	v_fma_f32 v4, v2, s4, -v3
	v_rndne_f32_e32 v7, v3
	v_fmac_f32_e32 v4, 0x32a5705f, v2
	v_sub_f32_e32 v3, v3, v7
	v_add_f32_e32 v3, v3, v4
	v_exp_f32_e32 v3, v3
	v_cvt_i32_f32_e32 v4, v7
	v_sub_f32_e32 v0, v0, v70
	v_cmp_ngt_f32_e32 vcc, s1, v2
	v_sub_f32_e32 v38, v1, v70
	v_ldexp_f32 v3, v3, v4
	v_mul_f32_e32 v4, 0x3fb8aa3b, v0
	v_fma_f32 v7, v0, s4, -v4
	v_rndne_f32_e32 v12, v4
	v_fmac_f32_e32 v7, 0x32a5705f, v0
	v_sub_f32_e32 v4, v4, v12
	v_add_f32_e32 v4, v4, v7
	v_exp_f32_e32 v4, v4
	v_cvt_i32_f32_e32 v7, v12
	v_cndmask_b32_e32 v3, 0, v3, vcc
	v_cmp_nlt_f32_e32 vcc, s3, v2
	v_mul_f32_e32 v1, 0x3fb8aa3b, v38
	v_ldexp_f32 v2, v4, v7
	v_cndmask_b32_e32 v24, v37, v3, vcc
	v_sub_f32_e32 v3, v5, v70
	v_mul_f32_e32 v4, 0x3fb8aa3b, v3
	v_fma_f32 v5, v3, s4, -v4
	v_rndne_f32_e32 v7, v4
	v_fmac_f32_e32 v5, 0x32a5705f, v3
	v_sub_f32_e32 v4, v4, v7
	v_add_f32_e32 v4, v4, v5
	v_exp_f32_e32 v4, v4
	v_cvt_i32_f32_e32 v5, v7
	v_cmp_ngt_f32_e32 vcc, s1, v0
	v_sub_f32_e32 v46, v6, v70
	v_sub_f32_e32 v8, v8, v70
	v_cndmask_b32_e32 v2, 0, v2, vcc
	v_cmp_nlt_f32_e32 vcc, s3, v0
	v_ldexp_f32 v0, v4, v5
	v_rndne_f32_e32 v4, v1
	v_cndmask_b32_e32 v25, v37, v2, vcc
	v_fma_f32 v2, v38, s4, -v1
	v_fmac_f32_e32 v2, 0x32a5705f, v38
	v_sub_f32_e32 v1, v1, v4
	v_add_f32_e32 v1, v1, v2
	v_exp_f32_e32 v1, v1
	v_cvt_i32_f32_e32 v2, v4
	v_cmp_ngt_f32_e32 vcc, s1, v3
	v_ldexp_f32 v39, v1, v2
	s_nop 0
	v_cndmask_b32_e32 v0, 0, v0, vcc
	v_cmp_nlt_f32_e32 vcc, s3, v3
	s_nop 1
	v_cndmask_b32_e32 v34, v37, v0, vcc
	v_mul_f32_e32 v0, 0x3fb8aa3b, v46
	v_fma_f32 v1, v46, s4, -v0
	v_rndne_f32_e32 v47, v0
	v_fmac_f32_e32 v1, 0x32a5705f, v46
	v_sub_f32_e32 v0, v0, v47
	v_add_f32_e32 v0, v0, v1
	v_exp_f32_e32 v54, v0
	v_lshl_add_u64 v[0:1], v[68:69], 2, s[6:7]
	v_lshl_add_u64 v[20:21], v[0:1], 0, v[32:33]
	v_add_u32_e32 v0, s0, v68
	v_ashrrev_i32_e32 v1, 31, v0
	v_lshl_add_u64 v[2:3], v[0:1], 2, s[6:7]
	v_add_u32_e32 v0, s0, v0
	v_ashrrev_i32_e32 v1, 31, v0
	v_lshl_add_u64 v[22:23], v[2:3], 0, v[32:33]
	v_lshl_add_u64 v[2:3], v[0:1], 2, s[6:7]
	v_add_u32_e32 v0, s0, v0
	v_ashrrev_i32_e32 v1, 31, v0
	v_lshl_add_u64 v[0:1], v[0:1], 2, s[6:7]
	v_lshl_add_u64 v[26:27], v[2:3], 0, v[32:33]
	v_lshl_add_u64 v[28:29], v[0:1], 0, v[32:33]
	global_load_dwordx4 v[0:3], v[20:21], off
	global_load_dwordx4 v[4:7], v[22:23], off
	;; [unrolled: 1-line block ×4, first 2 shown]
	v_cmp_ngt_f32_e32 vcc, s1, v38
	v_cvt_i32_f32_e32 v20, v47
	s_mov_b32 s0, 0xc1a00000
	v_cndmask_b32_e32 v21, 0, v39, vcc
	v_cmp_nlt_f32_e32 vcc, s3, v38
	v_ldexp_f32 v20, v54, v20
	s_waitcnt vmcnt(3)
	ds_write_b128 v36, v[0:3]
	s_waitcnt vmcnt(2)
	ds_write_b128 v9, v[4:7]
	;; [unrolled: 2-line block ×4, first 2 shown]
	v_cndmask_b32_e32 v32, v37, v21, vcc
	v_sub_f32_e32 v21, v31, v70
	v_mul_f32_e32 v22, 0x3fb8aa3b, v21
	v_fma_f32 v23, v21, s4, -v22
	v_rndne_f32_e32 v26, v22
	v_fmac_f32_e32 v23, 0x32a5705f, v21
	v_sub_f32_e32 v22, v22, v26
	v_add_f32_e32 v22, v22, v23
	v_exp_f32_e32 v22, v22
	v_cvt_i32_f32_e32 v23, v26
	v_cmp_ngt_f32_e32 vcc, s1, v46
	s_waitcnt lgkmcnt(0)
	s_barrier
	v_cndmask_b32_e32 v20, 0, v20, vcc
	v_cmp_nlt_f32_e32 vcc, s3, v46
	s_nop 1
	v_cndmask_b32_e32 v33, v37, v20, vcc
	v_ldexp_f32 v20, v22, v23
	v_sub_f32_e32 v22, v35, v70
	v_mul_f32_e32 v23, 0x3fb8aa3b, v22
	v_fma_f32 v26, v22, s4, -v23
	v_rndne_f32_e32 v27, v23
	v_fmac_f32_e32 v26, 0x32a5705f, v22
	v_sub_f32_e32 v23, v23, v27
	v_add_f32_e32 v23, v23, v26
	v_exp_f32_e32 v23, v23
	v_cvt_i32_f32_e32 v26, v27
	v_cmp_ngt_f32_e32 vcc, s1, v21
	s_nop 1
	v_cndmask_b32_e32 v20, 0, v20, vcc
	v_cmp_nlt_f32_e32 vcc, s3, v21
	v_mul_f32_e32 v21, 0x3fb8aa3b, v8
	s_nop 0
	v_cndmask_b32_e32 v35, v37, v20, vcc
	v_ldexp_f32 v20, v23, v26
	v_fma_f32 v23, v8, s4, -v21
	v_rndne_f32_e32 v26, v21
	v_fmac_f32_e32 v23, 0x32a5705f, v8
	v_sub_f32_e32 v21, v21, v26
	v_add_f32_e32 v21, v21, v23
	v_cvt_i32_f32_e32 v23, v26
	v_sub_f32_e32 v26, v118, v70
	v_mul_f32_e32 v27, 0x3fb8aa3b, v26
	v_fma_f32 v28, v26, s4, -v27
	v_rndne_f32_e32 v29, v27
	v_fmac_f32_e32 v28, 0x32a5705f, v26
	v_sub_f32_e32 v27, v27, v29
	v_add_f32_e32 v27, v27, v28
	v_exp_f32_e32 v21, v21
	v_exp_f32_e32 v27, v27
	v_cvt_i32_f32_e32 v28, v29
	v_cmp_ngt_f32_e32 vcc, s1, v22
	v_cvt_pk_f16_f32 v46, v33, v35
	s_nop 0
	v_cndmask_b32_e32 v20, 0, v20, vcc
	v_cmp_nlt_f32_e32 vcc, s3, v22
	v_or_b32_e32 v22, 3, v114
	v_mul_u32_u24_e32 v22, 0x210, v22
	v_cndmask_b32_e32 v68, v37, v20, vcc
	v_ldexp_f32 v20, v21, v23
	v_ldexp_f32 v21, v27, v28
	v_cmp_ngt_f32_e32 vcc, s1, v26
	s_nop 1
	v_cndmask_b32_e32 v21, 0, v21, vcc
	v_cmp_nlt_f32_e32 vcc, s3, v26
	s_nop 1
	v_cndmask_b32_e32 v21, v37, v21, vcc
	v_cmp_le_f32_e32 vcc, s0, v26
	s_movk_i32 s0, 0x420
	v_mad_u32_u24 v0, v113, s0, 0
	v_cndmask_b32_e32 v69, 0, v21, vcc
	v_cvt_f16_f32_e32 v21, v69
	v_cmp_ngt_f32_e32 vcc, s1, v8
	v_add3_u32 v5, v0, v22, v112
	s_mov_b32 s0, 0x5040100
	v_mul_u32_u24_e32 v73, 0x10001, v21
	v_mul_u32_u24_e32 v21, 0x210, v30
	v_cndmask_b32_e32 v20, 0, v20, vcc
	v_cmp_nlt_f32_e32 vcc, s3, v8
	v_pk_mul_f16 v8, v45, v73
	v_add3_u32 v4, v0, v21, v112
	v_cvt_f32_f16_e32 v0, v8
	v_cvt_f32_f16_sdwa v1, v8 dst_sel:DWORD dst_unused:UNUSED_PAD src0_sel:WORD_1
	ds_read_u16 v3, v4 offset:1056
	ds_read_u16 v8, v4 offset:1088
	;; [unrolled: 1-line block ×8, first 2 shown]
	ds_read_u16 v6, v5
	ds_read_u16 v15, v5 offset:32
	ds_read_u16 v16, v5 offset:64
	;; [unrolled: 1-line block ×7, first 2 shown]
	v_cndmask_b32_e32 v72, v37, v20, vcc
	s_waitcnt lgkmcnt(7)
	v_perm_b32 v7, v6, v3, s0
	ds_read_u16 v3, v4
	ds_read_u16 v28, v4 offset:32
	ds_read_u16 v36, v4 offset:64
	;; [unrolled: 1-line block ×15, first 2 shown]
	v_pk_mul_f16 v20, v44, v73
	s_waitcnt lgkmcnt(7)
	v_perm_b32 v6, v6, v3, s0
	v_cvt_f32_f16_e32 v2, v20
	v_cvt_f32_f16_sdwa v3, v20 dst_sel:DWORD dst_unused:UNUSED_PAD src0_sel:WORD_1
	v_cvt_pk_f16_f32 v45, v34, v32
	v_cvt_pk_f16_f32 v44, v24, v25
	v_pk_mul_f16 v30, v43, v73
	v_cvt_pk_f16_f32 v47, v68, v72
	v_mfma_f32_16x16x16_f16 v[0:3], v[6:7], v[44:45], v[0:3]
	ds_read_u16 v6, v4 offset:17952
	ds_read_u16 v31, v4 offset:17984
	;; [unrolled: 1-line block ×16, first 2 shown]
	s_waitcnt lgkmcnt(7)
	v_perm_b32 v7, v7, v6, s0
	ds_read_u16 v6, v4 offset:16896
	ds_read_u16 v88, v4 offset:16928
	;; [unrolled: 1-line block ×16, first 2 shown]
	v_cvt_f16_f32_e32 v0, v0
	v_cvt_f16_f32_e32 v1, v1
	;; [unrolled: 1-line block ×4, first 2 shown]
	s_waitcnt lgkmcnt(7)
	v_perm_b32 v6, v20, v6, s0
	v_cvt_f32_f16_e32 v0, v0
	v_cvt_f32_f16_e32 v1, v1
	;; [unrolled: 1-line block ×4, first 2 shown]
	v_pk_mul_f16 v42, v42, v73
	s_nop 0
	v_mfma_f32_16x16x16_f16 v[20:23], v[6:7], v[46:47], v[0:3]
	v_perm_b32 v7, v15, v8, s0
	v_perm_b32 v6, v29, v28, s0
	s_nop 0
	v_cvt_f32_f16_e32 v0, v30
	v_cvt_f32_f16_sdwa v1, v30 dst_sel:DWORD dst_unused:UNUSED_PAD src0_sel:WORD_1
	v_cvt_f32_f16_e32 v2, v42
	v_cvt_f32_f16_sdwa v3, v42 dst_sel:DWORD dst_unused:UNUSED_PAD src0_sel:WORD_1
	v_pk_mul_f16 v8, v41, v73
	v_pk_mul_f16 v15, v40, v73
	v_mfma_f32_16x16x16_f16 v[0:3], v[6:7], v[44:45], v[0:3]
	v_perm_b32 v7, v39, v31, s0
	s_waitcnt lgkmcnt(6)
	v_perm_b32 v6, v115, v88, s0
	s_nop 4
	v_cvt_f16_f32_e32 v0, v0
	v_cvt_f16_f32_e32 v1, v1
	v_cvt_f16_f32_e32 v2, v2
	v_cvt_f16_f32_e32 v3, v3
	v_cvt_f32_f16_e32 v0, v0
	v_cvt_f32_f16_e32 v1, v1
	v_cvt_f32_f16_e32 v2, v2
	v_cvt_f32_f16_e32 v3, v3
	s_nop 1
	v_mfma_f32_16x16x16_f16 v[28:31], v[6:7], v[46:47], v[0:3]
	v_perm_b32 v7, v16, v9, s0
	v_perm_b32 v6, v37, v36, s0
	s_nop 0
	v_cvt_f32_f16_e32 v0, v8
	v_cvt_f32_f16_sdwa v1, v8 dst_sel:DWORD dst_unused:UNUSED_PAD src0_sel:WORD_1
	v_cvt_f32_f16_e32 v2, v15
	v_cvt_f32_f16_sdwa v3, v15 dst_sel:DWORD dst_unused:UNUSED_PAD src0_sel:WORD_1
	v_pk_mul_f16 v8, v51, v73
	v_pk_mul_f16 v9, v50, v73
	v_mfma_f32_16x16x16_f16 v[0:3], v[6:7], v[44:45], v[0:3]
	v_perm_b32 v7, v82, v38, s0
	s_waitcnt lgkmcnt(5)
	v_perm_b32 v6, v116, v89, s0
	s_nop 4
	v_cvt_f16_f32_e32 v0, v0
	v_cvt_f16_f32_e32 v1, v1
	v_cvt_f16_f32_e32 v2, v2
	v_cvt_f16_f32_e32 v3, v3
	v_cvt_f32_f16_e32 v0, v0
	v_cvt_f32_f16_e32 v1, v1
	v_cvt_f32_f16_e32 v2, v2
	v_cvt_f32_f16_e32 v3, v3
	;; [unrolled: 24-line block ×7, first 2 shown]
	s_nop 1
	v_mfma_f32_16x16x16_f16 v[60:63], v[6:7], v[46:47], v[0:3]
	s_nop 2
	v_cvt_f32_f16_e32 v0, v8
	v_cvt_f32_f16_sdwa v1, v8 dst_sel:DWORD dst_unused:UNUSED_PAD src0_sel:WORD_1
	ds_read_u16 v3, v4 offset:1312
	ds_read_u16 v8, v4 offset:1344
	;; [unrolled: 1-line block ×16, first 2 shown]
	s_waitcnt lgkmcnt(7)
	v_perm_b32 v7, v6, v3, s0
	ds_read_u16 v3, v4 offset:256
	ds_read_u16 v13, v4 offset:288
	;; [unrolled: 1-line block ×16, first 2 shown]
	s_waitcnt lgkmcnt(7)
	v_perm_b32 v6, v6, v3, s0
	v_cvt_f32_f16_e32 v2, v9
	v_cvt_f32_f16_sdwa v3, v9 dst_sel:DWORD dst_unused:UNUSED_PAD src0_sel:WORD_1
	v_perm_b32 v9, v10, v8, s0
	s_waitcnt lgkmcnt(6)
	v_perm_b32 v8, v17, v13, s0
	v_mfma_f32_16x16x16_f16 v[0:3], v[6:7], v[44:45], v[0:3]
	ds_read_u16 v6, v4 offset:18208
	ds_read_u16 v87, v4 offset:18240
	;; [unrolled: 1-line block ×16, first 2 shown]
	s_waitcnt lgkmcnt(7)
	v_perm_b32 v5, v7, v6, s0
	ds_read_u16 v6, v4 offset:17152
	ds_read_u16 v122, v4 offset:17184
	;; [unrolled: 1-line block ×16, first 2 shown]
	v_cvt_f16_f32_e32 v0, v0
	v_cvt_f16_f32_e32 v1, v1
	;; [unrolled: 1-line block ×4, first 2 shown]
	s_waitcnt lgkmcnt(7)
	v_perm_b32 v4, v7, v6, s0
	v_cvt_f32_f16_e32 v0, v0
	v_cvt_f32_f16_e32 v1, v1
	;; [unrolled: 1-line block ×4, first 2 shown]
	v_pk_mul_f16 v6, v111, v73
	v_pk_mul_f16 v7, v110, v73
	v_mfma_f32_16x16x16_f16 v[0:3], v[4:5], v[46:47], v[0:3]
	v_cvt_f32_f16_e32 v4, v6
	v_cvt_f32_f16_sdwa v5, v6 dst_sel:DWORD dst_unused:UNUSED_PAD src0_sel:WORD_1
	v_cvt_f32_f16_e32 v6, v7
	v_cvt_f32_f16_sdwa v7, v7 dst_sel:DWORD dst_unused:UNUSED_PAD src0_sel:WORD_1
	v_pk_mul_f16 v10, v109, v73
	v_pk_mul_f16 v17, v108, v73
	v_mfma_f32_16x16x16_f16 v[4:7], v[8:9], v[44:45], v[4:7]
	v_perm_b32 v9, v114, v87, s0
	s_waitcnt lgkmcnt(6)
	v_perm_b32 v8, v129, v122, s0
	v_perm_b32 v13, v12, v11, s0
	;; [unrolled: 1-line block ×3, first 2 shown]
	s_nop 2
	v_cvt_f16_f32_e32 v4, v4
	v_cvt_f16_f32_e32 v5, v5
	v_cvt_f16_f32_e32 v6, v6
	v_cvt_f16_f32_e32 v7, v7
	v_cvt_f32_f16_e32 v4, v4
	v_cvt_f32_f16_e32 v5, v5
	;; [unrolled: 1-line block ×4, first 2 shown]
	v_cvt_f32_f16_sdwa v11, v17 dst_sel:DWORD dst_unused:UNUSED_PAD src0_sel:WORD_1
	v_pk_mul_f16 v14, v107, v73
	v_mfma_f32_16x16x16_f16 v[4:7], v[8:9], v[46:47], v[4:7]
	v_cvt_f32_f16_e32 v8, v10
	v_cvt_f32_f16_sdwa v9, v10 dst_sel:DWORD dst_unused:UNUSED_PAD src0_sel:WORD_1
	v_cvt_f32_f16_e32 v10, v17
	v_pk_mul_f16 v27, v106, v73
	v_perm_b32 v17, v16, v15, s0
	v_mfma_f32_16x16x16_f16 v[8:11], v[12:13], v[44:45], v[8:11]
	v_perm_b32 v13, v115, v88, s0
	s_waitcnt lgkmcnt(5)
	v_perm_b32 v12, v130, v123, s0
	v_perm_b32 v16, v75, v18, s0
	v_cvt_f32_f16_sdwa v15, v27 dst_sel:DWORD dst_unused:UNUSED_PAD src0_sel:WORD_1
	s_nop 2
	v_cvt_f16_f32_e32 v8, v8
	v_cvt_f16_f32_e32 v9, v9
	;; [unrolled: 1-line block ×4, first 2 shown]
	v_cvt_f32_f16_e32 v8, v8
	v_cvt_f32_f16_e32 v9, v9
	;; [unrolled: 1-line block ×4, first 2 shown]
	v_pk_mul_f16 v18, v105, v73
	v_pk_mul_f16 v75, v104, v73
	v_mfma_f32_16x16x16_f16 v[8:11], v[12:13], v[46:47], v[8:11]
	v_cvt_f32_f16_e32 v12, v14
	v_cvt_f32_f16_sdwa v13, v14 dst_sel:DWORD dst_unused:UNUSED_PAD src0_sel:WORD_1
	v_cvt_f32_f16_e32 v14, v27
	v_perm_b32 v27, v26, v19, s0
	v_perm_b32 v26, v76, v74, s0
	v_mfma_f32_16x16x16_f16 v[12:15], v[16:17], v[44:45], v[12:15]
	v_perm_b32 v17, v116, v89, s0
	s_waitcnt lgkmcnt(4)
	v_perm_b32 v16, v131, v124, s0
	v_cvt_f32_f16_sdwa v19, v75 dst_sel:DWORD dst_unused:UNUSED_PAD src0_sel:WORD_1
	v_pk_mul_f16 v87, v102, v73
	s_nop 2
	v_cvt_f16_f32_e32 v12, v12
	v_cvt_f16_f32_e32 v13, v13
	;; [unrolled: 1-line block ×4, first 2 shown]
	v_cvt_f32_f16_e32 v12, v12
	v_cvt_f32_f16_e32 v13, v13
	;; [unrolled: 1-line block ×5, first 2 shown]
	v_perm_b32 v65, v79, v65, s0
	v_mfma_f32_16x16x16_f16 v[12:15], v[16:17], v[46:47], v[12:15]
	v_cvt_f32_f16_e32 v16, v18
	v_cvt_f32_f16_sdwa v17, v18 dst_sel:DWORD dst_unused:UNUSED_PAD src0_sel:WORD_1
	v_cvt_f32_f16_e32 v18, v75
	v_pk_mul_f16 v75, v103, v73
	s_waitcnt lgkmcnt(0)
	v_mfma_f32_16x16x16_f16 v[16:19], v[26:27], v[44:45], v[16:19]
	v_perm_b32 v27, v117, v90, s0
	v_perm_b32 v26, v132, v125, s0
	v_cvt_f32_f16_e32 v74, v75
	v_cvt_f32_f16_sdwa v75, v75 dst_sel:DWORD dst_unused:UNUSED_PAD src0_sel:WORD_1
	s_nop 3
	v_cvt_f16_f32_e32 v16, v16
	v_cvt_f16_f32_e32 v17, v17
	;; [unrolled: 1-line block ×4, first 2 shown]
	v_cvt_f32_f16_e32 v16, v16
	v_cvt_f32_f16_e32 v17, v17
	;; [unrolled: 1-line block ×4, first 2 shown]
	s_barrier
	s_nop 0
	v_mfma_f32_16x16x16_f16 v[16:19], v[26:27], v[46:47], v[16:19]
	v_perm_b32 v27, v77, v64, s0
	v_perm_b32 v26, v84, v81, s0
	v_cvt_f32_f16_sdwa v77, v87 dst_sel:DWORD dst_unused:UNUSED_PAD src0_sel:WORD_1
	v_add_f32_e32 v81, v24, v25
	v_pk_mul_f16 v84, v99, v73
	v_mfma_f32_16x16x16_f16 v[74:77], v[26:27], v[44:45], v[74:77]
	v_add_f32_e32 v34, v34, v81
	v_add_f32_e32 v32, v32, v34
	;; [unrolled: 1-line block ×4, first 2 shown]
	s_nop 3
	v_cvt_f16_f32_e32 v26, v74
	v_cvt_f16_f32_e32 v27, v75
	;; [unrolled: 1-line block ×4, first 2 shown]
	v_cvt_f32_f16_e32 v74, v26
	v_cvt_f32_f16_e32 v75, v27
	v_perm_b32 v27, v118, v91, s0
	v_perm_b32 v26, v133, v126, s0
	v_cvt_f32_f16_e32 v76, v64
	v_cvt_f32_f16_e32 v77, v77
	v_pk_mul_f16 v64, v100, v73
	v_add_f32_e32 v68, v68, v79
	v_mfma_f32_16x16x16_f16 v[24:27], v[26:27], v[46:47], v[74:77]
	v_add_f32_e32 v68, v72, v68
	v_fmac_f32_e32 v68, v66, v69
	s_nop 0
	v_cvt_f32_f16_e32 v74, v64
	v_cvt_f32_f16_sdwa v75, v64 dst_sel:DWORD dst_unused:UNUSED_PAD src0_sel:WORD_1
	v_perm_b32 v64, v85, v82, s0
	v_cvt_f32_f16_e32 v76, v84
	v_cvt_f32_f16_sdwa v77, v84 dst_sel:DWORD dst_unused:UNUSED_PAD src0_sel:WORD_1
	s_nop 1
	v_mfma_f32_16x16x16_f16 v[74:77], v[64:65], v[44:45], v[74:77]
	s_nop 7
	v_cvt_f16_f32_e32 v32, v74
	v_cvt_f16_f32_e32 v33, v75
	;; [unrolled: 1-line block ×4, first 2 shown]
	v_cvt_f32_f16_e32 v74, v32
	v_cvt_f32_f16_e32 v75, v33
	v_perm_b32 v33, v119, v112, s0
	v_perm_b32 v32, v134, v127, s0
	v_cvt_f32_f16_e32 v76, v64
	v_cvt_f32_f16_e32 v77, v65
	v_pk_mul_f16 v64, v98, v73
	v_pk_mul_f16 v73, v97, v73
	v_mfma_f32_16x16x16_f16 v[32:35], v[32:33], v[46:47], v[74:77]
	v_perm_b32 v65, v80, v78, s0
	s_nop 1
	v_cvt_f32_f16_e32 v74, v64
	v_cvt_f32_f16_sdwa v75, v64 dst_sel:DWORD dst_unused:UNUSED_PAD src0_sel:WORD_1
	v_perm_b32 v64, v86, v83, s0
	v_cvt_f32_f16_e32 v76, v73
	v_cvt_f32_f16_sdwa v77, v73 dst_sel:DWORD dst_unused:UNUSED_PAD src0_sel:WORD_1
	s_nop 1
	v_mfma_f32_16x16x16_f16 v[72:75], v[64:65], v[44:45], v[74:77]
	s_nop 7
	v_cvt_f16_f32_e32 v64, v74
	v_cvt_f16_f32_e32 v44, v72
	;; [unrolled: 1-line block ×4, first 2 shown]
	v_cvt_f32_f16_e32 v74, v64
	ds_bpermute_b32 v64, v71, v68
	v_cvt_f32_f16_e32 v72, v44
	v_cvt_f32_f16_e32 v73, v45
	v_perm_b32 v45, v120, v113, s0
	v_perm_b32 v44, v135, v128, s0
	v_cvt_f32_f16_e32 v75, v65
	s_waitcnt lgkmcnt(0)
	v_add_f32_e32 v64, v68, v64
	ds_bpermute_b32 v65, v67, v64
	v_mfma_f32_16x16x16_f16 v[44:47], v[44:45], v[46:47], v[72:75]
	v_cmp_gt_u32_e64 s[0:1], 16, v92
	s_and_saveexec_b64 s[4:5], s[0:1]
	s_cbranch_execz .LBB32_670
; %bb.669:
	s_waitcnt lgkmcnt(0)
	v_add_f32_e32 v64, v64, v65
	v_or_b32_e32 v65, v101, v92
	s_movk_i32 s3, 0x110
	v_mad_u32_u24 v65, v65, s3, 0
	ds_write2_b32 v65, v70, v64 offset0:64 offset1:65
.LBB32_670:
	s_or_b64 exec, exec, s[4:5]
	v_and_b32_e32 v64, 1, v95
	v_cmp_eq_u32_e32 vcc, 0, v64
	v_cmp_eq_u32_e64 s[4:5], 1, v64
	s_waitcnt lgkmcnt(0)
	s_barrier
	s_and_saveexec_b64 s[6:7], s[4:5]
	s_xor_b64 s[4:5], exec, s[6:7]
	s_cbranch_execz .LBB32_672
; %bb.671:
	s_barrier
                                        ; implicit-def: $vgpr121
                                        ; implicit-def: $vgpr67
.LBB32_672:
	s_andn2_saveexec_b64 s[6:7], s[4:5]
	s_cbranch_execz .LBB32_678
; %bb.673:
	v_and_or_b32 v65, v92, 31, v101
	s_movk_i32 s3, 0x110
	v_mad_u32_u24 v64, v65, s3, 0
	ds_read_b64 v[68:69], v64 offset:256
	s_mov_b32 s3, 0x3fb8aa3b
	s_mov_b32 s8, 0x42b17218
	s_waitcnt lgkmcnt(0)
	s_barrier
	ds_bpermute_b32 v64, v67, v68
	v_max_f32_e32 v66, v68, v68
	s_waitcnt lgkmcnt(0)
	v_max_f32_e32 v64, v64, v64
	v_max_f32_e32 v64, v66, v64
	v_sub_f32_e32 v66, v68, v64
	v_mul_f32_e32 v68, 0x3fb8aa3b, v66
	v_fma_f32 v70, v66, s3, -v68
	v_rndne_f32_e32 v71, v68
	v_fmamk_f32 v70, v66, 0x32a5705f, v70
	v_sub_f32_e32 v68, v68, v71
	v_add_f32_e32 v68, v68, v70
	v_cvt_i32_f32_e32 v71, v71
	v_exp_f32_e32 v68, v68
	s_mov_b32 s3, 0xc2ce8ed0
	v_cmp_ngt_f32_e64 s[4:5], s3, v66
	v_mov_b32_e32 v70, 0x7f800000
	v_ldexp_f32 v68, v68, v71
	v_cndmask_b32_e64 v68, 0, v68, s[4:5]
	v_cmp_nlt_f32_e64 s[4:5], s8, v66
	s_nop 1
	v_cndmask_b32_e64 v66, v70, v68, s[4:5]
	v_mul_f32_e32 v68, v69, v66
	ds_bpermute_b32 v67, v67, v68
	v_cmp_gt_u32_e64 s[4:5], 32, v92
	s_waitcnt lgkmcnt(0)
	v_fmac_f32_e32 v67, v69, v66
	s_and_saveexec_b64 s[8:9], s[4:5]
; %bb.674:
	v_mul_u32_u24_e32 v65, 0x110, v65
	v_add_u32_e32 v65, 0, v65
	ds_write_b64 v65, v[66:67] offset:256
; %bb.675:
	s_or_b64 exec, exec, s[8:9]
	s_and_saveexec_b64 s[4:5], s[0:1]
	s_cbranch_execz .LBB32_677
; %bb.676:
	s_add_i32 s0, s33, s2
	s_lshl_b32 s0, s0, 6
	s_mov_b32 s1, 0
	s_lshl_b64 s[0:1], s[0:1], 3
	s_add_u32 s0, s30, s0
	v_or_b32_e32 v65, v121, v92
	s_addc_u32 s1, s31, s1
	v_lshlrev_b32_e32 v66, 3, v65
	v_mov_b32_e32 v65, v67
	global_store_dwordx2 v66, v[64:65], s[0:1]
.LBB32_677:
	s_or_b64 exec, exec, s[4:5]
.LBB32_678:
	s_or_b64 exec, exec, s[6:7]
	s_mov_b32 s3, 0
	s_lshl_b32 s2, s2, 13
	v_cvt_pk_f16_f32 v22, v22, v23
	v_cvt_pk_f16_f32 v23, v20, v21
	v_or_b32_e32 v20, v101, v94
	s_lshl_b64 s[0:1], s[2:3], 3
	v_mul_u32_u24_e32 v20, 0x110, v20
	s_add_u32 s5, s30, s0
	s_movk_i32 s6, 0x110
	v_add3_u32 v21, 0, v20, v96
	s_addc_u32 s4, s31, s1
	v_lshrrev_b32_e32 v20, 1, v95
	v_cvt_pk_f16_f32 v30, v30, v31
	v_cvt_pk_f16_f32 v28, v28, v29
	;; [unrolled: 1-line block ×14, first 2 shown]
	ds_write2_b32 v21, v23, v22 offset1:1
	ds_write2_b32 v21, v28, v30 offset0:8 offset1:9
	ds_write2_b32 v21, v31, v29 offset0:16 offset1:17
	;; [unrolled: 1-line block ×7, first 2 shown]
	s_waitcnt lgkmcnt(0)
	s_barrier
	s_and_saveexec_b64 s[0:1], vcc
	s_cbranch_execz .LBB32_680
; %bb.679:
	v_bfe_u32 v36, v95, 1, 4
	s_movk_i32 s7, 0x3e0
	v_and_or_b32 v28, v95, s7, v36
	v_mad_u32_u24 v22, v28, s6, v93
	ds_read2st64_b32 v[22:23], v22 offset1:17
	s_load_dword s2, s[66:67], 0x10
	v_mad_u32_u24 v28, v28, s6, 0
	ds_read2st64_b32 v[28:29], v28 offset0:1 offset1:18
	s_movk_i32 s7, 0x7e0
	s_waitcnt lgkmcnt(0)
	v_cvt_f32_f16_e32 v30, v22
	v_cvt_f32_f16_sdwa v31, v22 dst_sel:DWORD dst_unused:UNUSED_PAD src0_sel:WORD_1
	v_cvt_f32_f16_e32 v22, v23
	v_cvt_f32_f16_sdwa v23, v23 dst_sel:DWORD dst_unused:UNUSED_PAD src0_sel:WORD_1
	s_lshr_b32 s2, s2, 16
	s_cmp_lg_u32 s2, 0
	v_pk_fma_f32 v[30:31], v[28:29], v[30:31], 0 op_sel_hi:[0,1,0]
	v_mov_b32_e32 v28, v29
	s_cselect_b64 s[8:9], -1, 0
	v_pk_fma_f32 v[22:23], v[28:29], v[22:23], v[30:31] op_sel_hi:[0,1,1]
	v_add_u32_e32 v30, 4, v20
	s_cmp_lg_u64 s[8:9], 0
	v_lshlrev_b32_e32 v28, 1, v30
	v_and_b32_e32 v29, 15, v30
	s_addc_u32 s2, s33, 0
	v_and_or_b32 v31, v28, s7, v29
	s_lshl_b32 s2, s2, 7
	v_mad_u32_u24 v28, v31, s6, v93
	s_lshl_b64 s[2:3], s[2:3], 3
	ds_read2st64_b32 v[28:29], v28 offset1:17
	s_add_u32 s2, s5, s2
	v_lshlrev_b32_e32 v37, 6, v95
	s_addc_u32 s3, s4, s3
	v_add_lshl_u32 v37, v37, v92, 3
	global_store_dwordx2 v37, v[22:23], s[2:3]
	v_mad_u32_u24 v22, v31, s6, 0
	ds_read2st64_b32 v[22:23], v22 offset0:1 offset1:18
	v_lshlrev_b32_e32 v37, 7, v30
	s_waitcnt lgkmcnt(1)
	v_cvt_f32_f16_e32 v30, v28
	v_cvt_f32_f16_sdwa v31, v28 dst_sel:DWORD dst_unused:UNUSED_PAD src0_sel:WORD_1
	v_cvt_f32_f16_e32 v28, v29
	v_cvt_f32_f16_sdwa v29, v29 dst_sel:DWORD dst_unused:UNUSED_PAD src0_sel:WORD_1
	v_add_lshl_u32 v37, v37, v92, 3
	s_waitcnt lgkmcnt(0)
	v_pk_fma_f32 v[30:31], v[22:23], v[30:31], 0 op_sel_hi:[0,1,0]
	v_mov_b32_e32 v22, v23
	v_pk_fma_f32 v[22:23], v[22:23], v[28:29], v[30:31] op_sel_hi:[0,1,1]
	v_add_u32_e32 v30, 8, v20
	v_lshlrev_b32_e32 v28, 1, v30
	v_and_b32_e32 v29, 15, v30
	v_and_or_b32 v31, v28, s7, v29
	v_mad_u32_u24 v28, v31, s6, v93
	ds_read2st64_b32 v[28:29], v28 offset1:17
	global_store_dwordx2 v37, v[22:23], s[2:3]
	v_mad_u32_u24 v22, v31, s6, 0
	ds_read2st64_b32 v[22:23], v22 offset0:1 offset1:18
	v_lshlrev_b32_e32 v37, 7, v30
	s_waitcnt lgkmcnt(1)
	v_cvt_f32_f16_e32 v30, v28
	v_cvt_f32_f16_sdwa v31, v28 dst_sel:DWORD dst_unused:UNUSED_PAD src0_sel:WORD_1
	v_cvt_f32_f16_e32 v28, v29
	v_cvt_f32_f16_sdwa v29, v29 dst_sel:DWORD dst_unused:UNUSED_PAD src0_sel:WORD_1
	v_add_lshl_u32 v37, v37, v92, 3
	s_waitcnt lgkmcnt(0)
	v_pk_fma_f32 v[30:31], v[22:23], v[30:31], 0 op_sel_hi:[0,1,0]
	v_mov_b32_e32 v22, v23
	v_pk_fma_f32 v[22:23], v[22:23], v[28:29], v[30:31] op_sel_hi:[0,1,1]
	v_add_u32_e32 v30, 12, v20
	v_lshlrev_b32_e32 v28, 1, v30
	v_and_b32_e32 v29, 15, v30
	v_and_or_b32 v31, v28, s7, v29
	v_mad_u32_u24 v28, v31, s6, v93
	ds_read2st64_b32 v[28:29], v28 offset1:17
	global_store_dwordx2 v37, v[22:23], s[2:3]
	v_mad_u32_u24 v22, v31, s6, 0
	ds_read2st64_b32 v[22:23], v22 offset0:1 offset1:18
	v_lshlrev_b32_e32 v37, 7, v30
	s_waitcnt lgkmcnt(1)
	v_cvt_f32_f16_e32 v30, v28
	v_cvt_f32_f16_sdwa v31, v28 dst_sel:DWORD dst_unused:UNUSED_PAD src0_sel:WORD_1
	v_cvt_f32_f16_e32 v28, v29
	v_cvt_f32_f16_sdwa v29, v29 dst_sel:DWORD dst_unused:UNUSED_PAD src0_sel:WORD_1
	v_add_lshl_u32 v37, v37, v92, 3
	s_waitcnt lgkmcnt(0)
	v_pk_fma_f32 v[30:31], v[22:23], v[30:31], 0 op_sel_hi:[0,1,0]
	v_mov_b32_e32 v22, v23
	v_pk_fma_f32 v[22:23], v[22:23], v[28:29], v[30:31] op_sel_hi:[0,1,1]
	v_add_u32_e32 v30, 16, v20
	v_lshlrev_b32_e32 v28, 1, v30
	v_and_or_b32 v31, v28, s7, v36
	v_mad_u32_u24 v28, v31, s6, v93
	ds_read2st64_b32 v[28:29], v28 offset1:17
	global_store_dwordx2 v37, v[22:23], s[2:3]
	v_mad_u32_u24 v22, v31, s6, 0
	ds_read2st64_b32 v[22:23], v22 offset0:1 offset1:18
	v_lshlrev_b32_e32 v37, 7, v30
	s_waitcnt lgkmcnt(1)
	v_cvt_f32_f16_e32 v30, v28
	v_cvt_f32_f16_sdwa v31, v28 dst_sel:DWORD dst_unused:UNUSED_PAD src0_sel:WORD_1
	v_cvt_f32_f16_e32 v28, v29
	v_cvt_f32_f16_sdwa v29, v29 dst_sel:DWORD dst_unused:UNUSED_PAD src0_sel:WORD_1
	v_add_lshl_u32 v37, v37, v92, 3
	s_waitcnt lgkmcnt(0)
	v_pk_fma_f32 v[30:31], v[22:23], v[30:31], 0 op_sel_hi:[0,1,0]
	v_mov_b32_e32 v22, v23
	v_pk_fma_f32 v[22:23], v[22:23], v[28:29], v[30:31] op_sel_hi:[0,1,1]
	v_add_u32_e32 v30, 20, v20
	v_lshlrev_b32_e32 v28, 1, v30
	v_and_b32_e32 v29, 15, v30
	v_and_or_b32 v31, v28, s7, v29
	v_mad_u32_u24 v28, v31, s6, v93
	ds_read2st64_b32 v[28:29], v28 offset1:17
	global_store_dwordx2 v37, v[22:23], s[2:3]
	v_mad_u32_u24 v22, v31, s6, 0
	ds_read2st64_b32 v[22:23], v22 offset0:1 offset1:18
	v_lshlrev_b32_e32 v37, 7, v30
	s_waitcnt lgkmcnt(1)
	v_cvt_f32_f16_e32 v30, v28
	v_cvt_f32_f16_sdwa v31, v28 dst_sel:DWORD dst_unused:UNUSED_PAD src0_sel:WORD_1
	v_cvt_f32_f16_e32 v28, v29
	v_cvt_f32_f16_sdwa v29, v29 dst_sel:DWORD dst_unused:UNUSED_PAD src0_sel:WORD_1
	v_add_lshl_u32 v37, v37, v92, 3
	s_waitcnt lgkmcnt(0)
	v_pk_fma_f32 v[30:31], v[22:23], v[30:31], 0 op_sel_hi:[0,1,0]
	v_mov_b32_e32 v22, v23
	v_pk_fma_f32 v[22:23], v[22:23], v[28:29], v[30:31] op_sel_hi:[0,1,1]
	v_add_u32_e32 v30, 24, v20
	v_lshlrev_b32_e32 v28, 1, v30
	v_and_b32_e32 v29, 15, v30
	;; [unrolled: 20-line block ×3, first 2 shown]
	v_and_or_b32 v31, v28, s7, v29
	v_mad_u32_u24 v28, v31, s6, v93
	ds_read2st64_b32 v[28:29], v28 offset1:17
	global_store_dwordx2 v37, v[22:23], s[2:3]
	v_mad_u32_u24 v22, v31, s6, 0
	ds_read2st64_b32 v[22:23], v22 offset0:1 offset1:18
	v_lshlrev_b32_e32 v37, 7, v30
	s_waitcnt lgkmcnt(1)
	v_cvt_f32_f16_e32 v30, v28
	v_cvt_f32_f16_sdwa v31, v28 dst_sel:DWORD dst_unused:UNUSED_PAD src0_sel:WORD_1
	v_cvt_f32_f16_e32 v28, v29
	v_cvt_f32_f16_sdwa v29, v29 dst_sel:DWORD dst_unused:UNUSED_PAD src0_sel:WORD_1
	v_add_lshl_u32 v37, v37, v92, 3
	s_waitcnt lgkmcnt(0)
	v_pk_fma_f32 v[30:31], v[22:23], v[30:31], 0 op_sel_hi:[0,1,0]
	v_mov_b32_e32 v22, v23
	v_pk_fma_f32 v[22:23], v[22:23], v[28:29], v[30:31] op_sel_hi:[0,1,1]
	v_add_u32_e32 v30, 32, v20
	v_lshlrev_b32_e32 v28, 1, v30
	v_and_or_b32 v31, v28, s7, v36
	v_mad_u32_u24 v28, v31, s6, v93
	ds_read2st64_b32 v[28:29], v28 offset1:17
	global_store_dwordx2 v37, v[22:23], s[2:3]
	v_mad_u32_u24 v22, v31, s6, 0
	ds_read2st64_b32 v[22:23], v22 offset0:1 offset1:18
	v_lshlrev_b32_e32 v37, 7, v30
	s_waitcnt lgkmcnt(1)
	v_cvt_f32_f16_e32 v30, v28
	v_cvt_f32_f16_sdwa v31, v28 dst_sel:DWORD dst_unused:UNUSED_PAD src0_sel:WORD_1
	v_cvt_f32_f16_e32 v28, v29
	v_cvt_f32_f16_sdwa v29, v29 dst_sel:DWORD dst_unused:UNUSED_PAD src0_sel:WORD_1
	v_add_lshl_u32 v37, v37, v92, 3
	s_waitcnt lgkmcnt(0)
	v_pk_fma_f32 v[30:31], v[22:23], v[30:31], 0 op_sel_hi:[0,1,0]
	v_mov_b32_e32 v22, v23
	v_pk_fma_f32 v[22:23], v[22:23], v[28:29], v[30:31] op_sel_hi:[0,1,1]
	v_add_u32_e32 v30, 36, v20
	v_lshlrev_b32_e32 v28, 1, v30
	v_and_b32_e32 v29, 15, v30
	v_and_or_b32 v31, v28, s7, v29
	v_mad_u32_u24 v28, v31, s6, v93
	ds_read2st64_b32 v[28:29], v28 offset1:17
	global_store_dwordx2 v37, v[22:23], s[2:3]
	v_mad_u32_u24 v22, v31, s6, 0
	ds_read2st64_b32 v[22:23], v22 offset0:1 offset1:18
	v_lshlrev_b32_e32 v37, 7, v30
	s_waitcnt lgkmcnt(1)
	v_cvt_f32_f16_e32 v30, v28
	v_cvt_f32_f16_sdwa v31, v28 dst_sel:DWORD dst_unused:UNUSED_PAD src0_sel:WORD_1
	v_cvt_f32_f16_e32 v28, v29
	v_cvt_f32_f16_sdwa v29, v29 dst_sel:DWORD dst_unused:UNUSED_PAD src0_sel:WORD_1
	v_add_lshl_u32 v37, v37, v92, 3
	s_waitcnt lgkmcnt(0)
	v_pk_fma_f32 v[30:31], v[22:23], v[30:31], 0 op_sel_hi:[0,1,0]
	v_mov_b32_e32 v22, v23
	v_pk_fma_f32 v[22:23], v[22:23], v[28:29], v[30:31] op_sel_hi:[0,1,1]
	v_add_u32_e32 v30, 40, v20
	v_lshlrev_b32_e32 v28, 1, v30
	v_and_b32_e32 v29, 15, v30
	;; [unrolled: 20-line block ×3, first 2 shown]
	v_and_or_b32 v31, v28, s7, v29
	v_mad_u32_u24 v28, v31, s6, v93
	ds_read2st64_b32 v[28:29], v28 offset1:17
	global_store_dwordx2 v37, v[22:23], s[2:3]
	v_mad_u32_u24 v22, v31, s6, 0
	ds_read2st64_b32 v[22:23], v22 offset0:1 offset1:18
	v_lshlrev_b32_e32 v37, 7, v30
	s_waitcnt lgkmcnt(1)
	v_cvt_f32_f16_e32 v30, v28
	v_cvt_f32_f16_sdwa v31, v28 dst_sel:DWORD dst_unused:UNUSED_PAD src0_sel:WORD_1
	v_cvt_f32_f16_e32 v28, v29
	v_cvt_f32_f16_sdwa v29, v29 dst_sel:DWORD dst_unused:UNUSED_PAD src0_sel:WORD_1
	v_add_lshl_u32 v37, v37, v92, 3
	s_waitcnt lgkmcnt(0)
	v_pk_fma_f32 v[30:31], v[22:23], v[30:31], 0 op_sel_hi:[0,1,0]
	v_mov_b32_e32 v22, v23
	v_pk_fma_f32 v[22:23], v[22:23], v[28:29], v[30:31] op_sel_hi:[0,1,1]
	v_add_u32_e32 v30, 48, v20
	v_lshlrev_b32_e32 v28, 1, v30
	v_and_or_b32 v31, v28, s7, v36
	v_mad_u32_u24 v28, v31, s6, v93
	ds_read2st64_b32 v[28:29], v28 offset1:17
	global_store_dwordx2 v37, v[22:23], s[2:3]
	v_mad_u32_u24 v22, v31, s6, 0
	ds_read2st64_b32 v[22:23], v22 offset0:1 offset1:18
	v_lshlrev_b32_e32 v36, 7, v30
	s_waitcnt lgkmcnt(1)
	v_cvt_f32_f16_e32 v30, v28
	v_cvt_f32_f16_sdwa v31, v28 dst_sel:DWORD dst_unused:UNUSED_PAD src0_sel:WORD_1
	v_cvt_f32_f16_e32 v28, v29
	v_cvt_f32_f16_sdwa v29, v29 dst_sel:DWORD dst_unused:UNUSED_PAD src0_sel:WORD_1
	v_add_lshl_u32 v36, v36, v92, 3
	s_waitcnt lgkmcnt(0)
	v_pk_fma_f32 v[30:31], v[22:23], v[30:31], 0 op_sel_hi:[0,1,0]
	v_mov_b32_e32 v22, v23
	v_pk_fma_f32 v[22:23], v[22:23], v[28:29], v[30:31] op_sel_hi:[0,1,1]
	v_add_u32_e32 v30, 52, v20
	v_lshlrev_b32_e32 v28, 1, v30
	v_and_b32_e32 v29, 15, v30
	v_and_or_b32 v31, v28, s7, v29
	v_mad_u32_u24 v28, v31, s6, v93
	ds_read2st64_b32 v[28:29], v28 offset1:17
	global_store_dwordx2 v36, v[22:23], s[2:3]
	v_mad_u32_u24 v22, v31, s6, 0
	ds_read2st64_b32 v[22:23], v22 offset0:1 offset1:18
	v_lshlrev_b32_e32 v36, 7, v30
	s_waitcnt lgkmcnt(1)
	v_cvt_f32_f16_e32 v30, v28
	v_cvt_f32_f16_sdwa v31, v28 dst_sel:DWORD dst_unused:UNUSED_PAD src0_sel:WORD_1
	v_cvt_f32_f16_e32 v28, v29
	v_cvt_f32_f16_sdwa v29, v29 dst_sel:DWORD dst_unused:UNUSED_PAD src0_sel:WORD_1
	v_add_lshl_u32 v36, v36, v92, 3
	s_waitcnt lgkmcnt(0)
	v_pk_fma_f32 v[30:31], v[22:23], v[30:31], 0 op_sel_hi:[0,1,0]
	v_mov_b32_e32 v22, v23
	v_pk_fma_f32 v[22:23], v[22:23], v[28:29], v[30:31] op_sel_hi:[0,1,1]
	v_add_u32_e32 v30, 56, v20
	v_lshlrev_b32_e32 v28, 1, v30
	v_and_b32_e32 v29, 15, v30
	;; [unrolled: 20-line block ×3, first 2 shown]
	v_and_or_b32 v31, v28, s7, v29
	v_mad_u32_u24 v28, v31, s6, v93
	ds_read2st64_b32 v[28:29], v28 offset1:17
	global_store_dwordx2 v36, v[22:23], s[2:3]
	v_mad_u32_u24 v22, v31, s6, 0
	ds_read2st64_b32 v[22:23], v22 offset0:1 offset1:18
	v_lshlrev_b32_e32 v36, 7, v30
	s_waitcnt lgkmcnt(1)
	v_cvt_f32_f16_e32 v30, v28
	v_cvt_f32_f16_sdwa v31, v28 dst_sel:DWORD dst_unused:UNUSED_PAD src0_sel:WORD_1
	v_cvt_f32_f16_e32 v28, v29
	v_cvt_f32_f16_sdwa v29, v29 dst_sel:DWORD dst_unused:UNUSED_PAD src0_sel:WORD_1
	v_add_lshl_u32 v36, v36, v92, 3
	s_waitcnt lgkmcnt(0)
	v_pk_fma_f32 v[30:31], v[22:23], v[30:31], 0 op_sel_hi:[0,1,0]
	v_mov_b32_e32 v22, v23
	v_pk_fma_f32 v[22:23], v[22:23], v[28:29], v[30:31] op_sel_hi:[0,1,1]
	global_store_dwordx2 v36, v[22:23], s[2:3]
.LBB32_680:
	s_or_b64 exec, exec, s[0:1]
	v_cvt_pk_f16_f32 v2, v2, v3
	v_cvt_pk_f16_f32 v0, v0, v1
	;; [unrolled: 1-line block ×16, first 2 shown]
	s_barrier
	ds_write2_b32 v21, v0, v2 offset1:1
	ds_write2_b32 v21, v3, v1 offset0:8 offset1:9
	ds_write2_b32 v21, v5, v4 offset0:16 offset1:17
	;; [unrolled: 1-line block ×7, first 2 shown]
	s_waitcnt lgkmcnt(0)
	s_barrier
	s_and_saveexec_b64 s[0:1], vcc
	s_cbranch_execz .LBB32_682
; %bb.681:
	s_load_dword s2, s[66:67], 0x10
	v_bfe_u32 v6, v95, 1, 4
	s_movk_i32 s6, 0x3e0
	v_and_or_b32 v2, v95, s6, v6
	s_mov_b32 s3, 0
	s_waitcnt lgkmcnt(0)
	s_lshr_b32 s2, s2, 16
	s_cmp_lg_u32 s2, 0
	s_cselect_b64 s[6:7], -1, 0
	s_cmp_lg_u64 s[6:7], 0
	s_addc_u32 s2, s33, 0
	s_lshl_b32 s2, s2, 7
	s_lshl_b64 s[2:3], s[2:3], 3
	s_add_u32 s2, s5, s2
	s_movk_i32 s5, 0x110
	v_mad_u32_u24 v0, v2, s5, v93
	ds_read2st64_b32 v[0:1], v0 offset1:17
	v_mad_u32_u24 v2, v2, s5, 0
	ds_read2st64_b32 v[2:3], v2 offset0:1 offset1:18
	s_addc_u32 s3, s4, s3
	s_movk_i32 s4, 0x7e0
	s_waitcnt lgkmcnt(1)
	v_cvt_f32_f16_e32 v4, v0
	v_cvt_f32_f16_sdwa v5, v0 dst_sel:DWORD dst_unused:UNUSED_PAD src0_sel:WORD_1
	v_cvt_f32_f16_e32 v0, v1
	v_cvt_f32_f16_sdwa v1, v1 dst_sel:DWORD dst_unused:UNUSED_PAD src0_sel:WORD_1
	v_lshlrev_b32_e32 v7, 6, v95
	s_waitcnt lgkmcnt(0)
	v_pk_fma_f32 v[4:5], v[2:3], v[4:5], 0 op_sel_hi:[0,1,0]
	v_mov_b32_e32 v2, v3
	v_pk_fma_f32 v[0:1], v[2:3], v[0:1], v[4:5] op_sel_hi:[0,1,1]
	v_add_u32_e32 v4, 4, v20
	v_lshlrev_b32_e32 v2, 1, v4
	v_and_b32_e32 v3, 15, v4
	v_and_or_b32 v5, v2, s4, v3
	v_mad_u32_u24 v2, v5, s5, v93
	ds_read2st64_b32 v[2:3], v2 offset1:17
	v_add_lshl_u32 v7, v92, v7, 3
	global_store_dwordx2 v7, v[0:1], s[2:3] offset:512
	v_mad_u32_u24 v0, v5, s5, 0
	ds_read2st64_b32 v[0:1], v0 offset0:1 offset1:18
	v_lshlrev_b32_e32 v7, 7, v4
	s_waitcnt lgkmcnt(1)
	v_cvt_f32_f16_e32 v4, v2
	v_cvt_f32_f16_sdwa v5, v2 dst_sel:DWORD dst_unused:UNUSED_PAD src0_sel:WORD_1
	v_cvt_f32_f16_e32 v2, v3
	v_cvt_f32_f16_sdwa v3, v3 dst_sel:DWORD dst_unused:UNUSED_PAD src0_sel:WORD_1
	v_add_lshl_u32 v7, v92, v7, 3
	s_waitcnt lgkmcnt(0)
	v_pk_fma_f32 v[4:5], v[0:1], v[4:5], 0 op_sel_hi:[0,1,0]
	v_mov_b32_e32 v0, v1
	v_pk_fma_f32 v[0:1], v[0:1], v[2:3], v[4:5] op_sel_hi:[0,1,1]
	v_add_u32_e32 v4, 8, v20
	v_lshlrev_b32_e32 v2, 1, v4
	v_and_b32_e32 v3, 15, v4
	v_and_or_b32 v5, v2, s4, v3
	v_mad_u32_u24 v2, v5, s5, v93
	ds_read2st64_b32 v[2:3], v2 offset1:17
	global_store_dwordx2 v7, v[0:1], s[2:3] offset:512
	v_mad_u32_u24 v0, v5, s5, 0
	ds_read2st64_b32 v[0:1], v0 offset0:1 offset1:18
	v_lshlrev_b32_e32 v7, 7, v4
	s_waitcnt lgkmcnt(1)
	v_cvt_f32_f16_e32 v4, v2
	v_cvt_f32_f16_sdwa v5, v2 dst_sel:DWORD dst_unused:UNUSED_PAD src0_sel:WORD_1
	v_cvt_f32_f16_e32 v2, v3
	v_cvt_f32_f16_sdwa v3, v3 dst_sel:DWORD dst_unused:UNUSED_PAD src0_sel:WORD_1
	v_add_lshl_u32 v7, v92, v7, 3
	s_waitcnt lgkmcnt(0)
	v_pk_fma_f32 v[4:5], v[0:1], v[4:5], 0 op_sel_hi:[0,1,0]
	v_mov_b32_e32 v0, v1
	v_pk_fma_f32 v[0:1], v[0:1], v[2:3], v[4:5] op_sel_hi:[0,1,1]
	v_add_u32_e32 v4, 12, v20
	v_lshlrev_b32_e32 v2, 1, v4
	v_and_b32_e32 v3, 15, v4
	v_and_or_b32 v5, v2, s4, v3
	v_mad_u32_u24 v2, v5, s5, v93
	ds_read2st64_b32 v[2:3], v2 offset1:17
	global_store_dwordx2 v7, v[0:1], s[2:3] offset:512
	v_mad_u32_u24 v0, v5, s5, 0
	ds_read2st64_b32 v[0:1], v0 offset0:1 offset1:18
	v_lshlrev_b32_e32 v7, 7, v4
	s_waitcnt lgkmcnt(1)
	v_cvt_f32_f16_e32 v4, v2
	v_cvt_f32_f16_sdwa v5, v2 dst_sel:DWORD dst_unused:UNUSED_PAD src0_sel:WORD_1
	v_cvt_f32_f16_e32 v2, v3
	v_cvt_f32_f16_sdwa v3, v3 dst_sel:DWORD dst_unused:UNUSED_PAD src0_sel:WORD_1
	v_add_lshl_u32 v7, v92, v7, 3
	s_waitcnt lgkmcnt(0)
	v_pk_fma_f32 v[4:5], v[0:1], v[4:5], 0 op_sel_hi:[0,1,0]
	v_mov_b32_e32 v0, v1
	v_pk_fma_f32 v[0:1], v[0:1], v[2:3], v[4:5] op_sel_hi:[0,1,1]
	v_add_u32_e32 v4, 16, v20
	v_lshlrev_b32_e32 v2, 1, v4
	v_and_or_b32 v5, v2, s4, v6
	v_mad_u32_u24 v2, v5, s5, v93
	ds_read2st64_b32 v[2:3], v2 offset1:17
	global_store_dwordx2 v7, v[0:1], s[2:3] offset:512
	v_mad_u32_u24 v0, v5, s5, 0
	ds_read2st64_b32 v[0:1], v0 offset0:1 offset1:18
	v_lshlrev_b32_e32 v7, 7, v4
	s_waitcnt lgkmcnt(1)
	v_cvt_f32_f16_e32 v4, v2
	v_cvt_f32_f16_sdwa v5, v2 dst_sel:DWORD dst_unused:UNUSED_PAD src0_sel:WORD_1
	v_cvt_f32_f16_e32 v2, v3
	v_cvt_f32_f16_sdwa v3, v3 dst_sel:DWORD dst_unused:UNUSED_PAD src0_sel:WORD_1
	v_add_lshl_u32 v7, v92, v7, 3
	s_waitcnt lgkmcnt(0)
	v_pk_fma_f32 v[4:5], v[0:1], v[4:5], 0 op_sel_hi:[0,1,0]
	v_mov_b32_e32 v0, v1
	v_pk_fma_f32 v[0:1], v[0:1], v[2:3], v[4:5] op_sel_hi:[0,1,1]
	v_add_u32_e32 v4, 20, v20
	v_lshlrev_b32_e32 v2, 1, v4
	v_and_b32_e32 v3, 15, v4
	v_and_or_b32 v5, v2, s4, v3
	v_mad_u32_u24 v2, v5, s5, v93
	ds_read2st64_b32 v[2:3], v2 offset1:17
	global_store_dwordx2 v7, v[0:1], s[2:3] offset:512
	v_mad_u32_u24 v0, v5, s5, 0
	ds_read2st64_b32 v[0:1], v0 offset0:1 offset1:18
	v_lshlrev_b32_e32 v7, 7, v4
	s_waitcnt lgkmcnt(1)
	v_cvt_f32_f16_e32 v4, v2
	v_cvt_f32_f16_sdwa v5, v2 dst_sel:DWORD dst_unused:UNUSED_PAD src0_sel:WORD_1
	v_cvt_f32_f16_e32 v2, v3
	v_cvt_f32_f16_sdwa v3, v3 dst_sel:DWORD dst_unused:UNUSED_PAD src0_sel:WORD_1
	v_add_lshl_u32 v7, v92, v7, 3
	s_waitcnt lgkmcnt(0)
	v_pk_fma_f32 v[4:5], v[0:1], v[4:5], 0 op_sel_hi:[0,1,0]
	v_mov_b32_e32 v0, v1
	v_pk_fma_f32 v[0:1], v[0:1], v[2:3], v[4:5] op_sel_hi:[0,1,1]
	v_add_u32_e32 v4, 24, v20
	v_lshlrev_b32_e32 v2, 1, v4
	v_and_b32_e32 v3, 15, v4
	;; [unrolled: 20-line block ×3, first 2 shown]
	v_and_or_b32 v5, v2, s4, v3
	v_mad_u32_u24 v2, v5, s5, v93
	ds_read2st64_b32 v[2:3], v2 offset1:17
	global_store_dwordx2 v7, v[0:1], s[2:3] offset:512
	v_mad_u32_u24 v0, v5, s5, 0
	ds_read2st64_b32 v[0:1], v0 offset0:1 offset1:18
	v_lshlrev_b32_e32 v7, 7, v4
	s_waitcnt lgkmcnt(1)
	v_cvt_f32_f16_e32 v4, v2
	v_cvt_f32_f16_sdwa v5, v2 dst_sel:DWORD dst_unused:UNUSED_PAD src0_sel:WORD_1
	v_cvt_f32_f16_e32 v2, v3
	v_cvt_f32_f16_sdwa v3, v3 dst_sel:DWORD dst_unused:UNUSED_PAD src0_sel:WORD_1
	v_add_lshl_u32 v7, v92, v7, 3
	s_waitcnt lgkmcnt(0)
	v_pk_fma_f32 v[4:5], v[0:1], v[4:5], 0 op_sel_hi:[0,1,0]
	v_mov_b32_e32 v0, v1
	v_pk_fma_f32 v[0:1], v[0:1], v[2:3], v[4:5] op_sel_hi:[0,1,1]
	v_add_u32_e32 v4, 32, v20
	v_lshlrev_b32_e32 v2, 1, v4
	v_and_or_b32 v5, v2, s4, v6
	v_mad_u32_u24 v2, v5, s5, v93
	ds_read2st64_b32 v[2:3], v2 offset1:17
	global_store_dwordx2 v7, v[0:1], s[2:3] offset:512
	v_mad_u32_u24 v0, v5, s5, 0
	ds_read2st64_b32 v[0:1], v0 offset0:1 offset1:18
	v_lshlrev_b32_e32 v7, 7, v4
	s_waitcnt lgkmcnt(1)
	v_cvt_f32_f16_e32 v4, v2
	v_cvt_f32_f16_sdwa v5, v2 dst_sel:DWORD dst_unused:UNUSED_PAD src0_sel:WORD_1
	v_cvt_f32_f16_e32 v2, v3
	v_cvt_f32_f16_sdwa v3, v3 dst_sel:DWORD dst_unused:UNUSED_PAD src0_sel:WORD_1
	v_add_lshl_u32 v7, v92, v7, 3
	s_waitcnt lgkmcnt(0)
	v_pk_fma_f32 v[4:5], v[0:1], v[4:5], 0 op_sel_hi:[0,1,0]
	v_mov_b32_e32 v0, v1
	v_pk_fma_f32 v[0:1], v[0:1], v[2:3], v[4:5] op_sel_hi:[0,1,1]
	v_add_u32_e32 v4, 36, v20
	v_lshlrev_b32_e32 v2, 1, v4
	v_and_b32_e32 v3, 15, v4
	v_and_or_b32 v5, v2, s4, v3
	v_mad_u32_u24 v2, v5, s5, v93
	ds_read2st64_b32 v[2:3], v2 offset1:17
	global_store_dwordx2 v7, v[0:1], s[2:3] offset:512
	v_mad_u32_u24 v0, v5, s5, 0
	ds_read2st64_b32 v[0:1], v0 offset0:1 offset1:18
	v_lshlrev_b32_e32 v7, 7, v4
	s_waitcnt lgkmcnt(1)
	v_cvt_f32_f16_e32 v4, v2
	v_cvt_f32_f16_sdwa v5, v2 dst_sel:DWORD dst_unused:UNUSED_PAD src0_sel:WORD_1
	v_cvt_f32_f16_e32 v2, v3
	v_cvt_f32_f16_sdwa v3, v3 dst_sel:DWORD dst_unused:UNUSED_PAD src0_sel:WORD_1
	v_add_lshl_u32 v7, v92, v7, 3
	s_waitcnt lgkmcnt(0)
	v_pk_fma_f32 v[4:5], v[0:1], v[4:5], 0 op_sel_hi:[0,1,0]
	v_mov_b32_e32 v0, v1
	v_pk_fma_f32 v[0:1], v[0:1], v[2:3], v[4:5] op_sel_hi:[0,1,1]
	v_add_u32_e32 v4, 40, v20
	v_lshlrev_b32_e32 v2, 1, v4
	v_and_b32_e32 v3, 15, v4
	;; [unrolled: 20-line block ×3, first 2 shown]
	v_and_or_b32 v5, v2, s4, v3
	v_mad_u32_u24 v2, v5, s5, v93
	ds_read2st64_b32 v[2:3], v2 offset1:17
	global_store_dwordx2 v7, v[0:1], s[2:3] offset:512
	v_mad_u32_u24 v0, v5, s5, 0
	ds_read2st64_b32 v[0:1], v0 offset0:1 offset1:18
	v_lshlrev_b32_e32 v7, 7, v4
	s_waitcnt lgkmcnt(1)
	v_cvt_f32_f16_e32 v4, v2
	v_cvt_f32_f16_sdwa v5, v2 dst_sel:DWORD dst_unused:UNUSED_PAD src0_sel:WORD_1
	v_cvt_f32_f16_e32 v2, v3
	v_cvt_f32_f16_sdwa v3, v3 dst_sel:DWORD dst_unused:UNUSED_PAD src0_sel:WORD_1
	v_add_lshl_u32 v7, v92, v7, 3
	s_waitcnt lgkmcnt(0)
	v_pk_fma_f32 v[4:5], v[0:1], v[4:5], 0 op_sel_hi:[0,1,0]
	v_mov_b32_e32 v0, v1
	v_pk_fma_f32 v[0:1], v[0:1], v[2:3], v[4:5] op_sel_hi:[0,1,1]
	v_add_u32_e32 v4, 48, v20
	v_lshlrev_b32_e32 v2, 1, v4
	v_and_or_b32 v5, v2, s4, v6
	v_mad_u32_u24 v2, v5, s5, v93
	ds_read2st64_b32 v[2:3], v2 offset1:17
	global_store_dwordx2 v7, v[0:1], s[2:3] offset:512
	v_mad_u32_u24 v0, v5, s5, 0
	ds_read2st64_b32 v[0:1], v0 offset0:1 offset1:18
	v_lshlrev_b32_e32 v6, 7, v4
	s_waitcnt lgkmcnt(1)
	v_cvt_f32_f16_e32 v4, v2
	v_cvt_f32_f16_sdwa v5, v2 dst_sel:DWORD dst_unused:UNUSED_PAD src0_sel:WORD_1
	v_cvt_f32_f16_e32 v2, v3
	v_cvt_f32_f16_sdwa v3, v3 dst_sel:DWORD dst_unused:UNUSED_PAD src0_sel:WORD_1
	v_add_lshl_u32 v6, v92, v6, 3
	s_waitcnt lgkmcnt(0)
	v_pk_fma_f32 v[4:5], v[0:1], v[4:5], 0 op_sel_hi:[0,1,0]
	v_mov_b32_e32 v0, v1
	v_pk_fma_f32 v[0:1], v[0:1], v[2:3], v[4:5] op_sel_hi:[0,1,1]
	v_add_u32_e32 v4, 52, v20
	v_lshlrev_b32_e32 v2, 1, v4
	v_and_b32_e32 v3, 15, v4
	v_and_or_b32 v5, v2, s4, v3
	v_mad_u32_u24 v2, v5, s5, v93
	ds_read2st64_b32 v[2:3], v2 offset1:17
	global_store_dwordx2 v6, v[0:1], s[2:3] offset:512
	v_mad_u32_u24 v0, v5, s5, 0
	ds_read2st64_b32 v[0:1], v0 offset0:1 offset1:18
	v_lshlrev_b32_e32 v6, 7, v4
	s_waitcnt lgkmcnt(1)
	v_cvt_f32_f16_e32 v4, v2
	v_cvt_f32_f16_sdwa v5, v2 dst_sel:DWORD dst_unused:UNUSED_PAD src0_sel:WORD_1
	v_cvt_f32_f16_e32 v2, v3
	v_cvt_f32_f16_sdwa v3, v3 dst_sel:DWORD dst_unused:UNUSED_PAD src0_sel:WORD_1
	v_add_lshl_u32 v6, v92, v6, 3
	s_waitcnt lgkmcnt(0)
	v_pk_fma_f32 v[4:5], v[0:1], v[4:5], 0 op_sel_hi:[0,1,0]
	v_mov_b32_e32 v0, v1
	v_pk_fma_f32 v[0:1], v[0:1], v[2:3], v[4:5] op_sel_hi:[0,1,1]
	v_add_u32_e32 v4, 56, v20
	v_lshlrev_b32_e32 v2, 1, v4
	v_and_b32_e32 v3, 15, v4
	;; [unrolled: 20-line block ×3, first 2 shown]
	v_and_or_b32 v5, v2, s4, v3
	v_mad_u32_u24 v2, v5, s5, v93
	ds_read2st64_b32 v[2:3], v2 offset1:17
	global_store_dwordx2 v6, v[0:1], s[2:3] offset:512
	v_mad_u32_u24 v0, v5, s5, 0
	ds_read2st64_b32 v[0:1], v0 offset0:1 offset1:18
	v_lshlrev_b32_e32 v6, 7, v4
	s_waitcnt lgkmcnt(1)
	v_cvt_f32_f16_e32 v4, v2
	v_cvt_f32_f16_sdwa v5, v2 dst_sel:DWORD dst_unused:UNUSED_PAD src0_sel:WORD_1
	v_cvt_f32_f16_e32 v2, v3
	v_cvt_f32_f16_sdwa v3, v3 dst_sel:DWORD dst_unused:UNUSED_PAD src0_sel:WORD_1
	v_add_lshl_u32 v6, v92, v6, 3
	s_waitcnt lgkmcnt(0)
	v_pk_fma_f32 v[4:5], v[0:1], v[4:5], 0 op_sel_hi:[0,1,0]
	v_mov_b32_e32 v0, v1
	v_pk_fma_f32 v[0:1], v[0:1], v[2:3], v[4:5] op_sel_hi:[0,1,1]
	global_store_dwordx2 v6, v[0:1], s[2:3] offset:512
.LBB32_682:
	s_or_b64 exec, exec, s[0:1]
	s_barrier
	s_endpgm
	.section	.rodata,"a",@progbits
	.p2align	6, 0x0
	.amdhsa_kernel _ZL18flash_attn_ext_f16ILi256ELi256ELi8ELi8ELb1ELb0EEvPKcS1_S1_S1_S1_PKiPfP15HIP_vector_typeIfLj2EEffffjfiS5_IjLj3EEiiiiiiiiiiiliiliiiiil
		.amdhsa_group_segment_fixed_size 0
		.amdhsa_private_segment_fixed_size 124
		.amdhsa_kernarg_size 464
		.amdhsa_user_sgpr_count 2
		.amdhsa_user_sgpr_dispatch_ptr 0
		.amdhsa_user_sgpr_queue_ptr 0
		.amdhsa_user_sgpr_kernarg_segment_ptr 1
		.amdhsa_user_sgpr_dispatch_id 0
		.amdhsa_user_sgpr_kernarg_preload_length 0
		.amdhsa_user_sgpr_kernarg_preload_offset 0
		.amdhsa_user_sgpr_private_segment_size 0
		.amdhsa_uses_dynamic_stack 0
		.amdhsa_enable_private_segment 1
		.amdhsa_system_sgpr_workgroup_id_x 1
		.amdhsa_system_sgpr_workgroup_id_y 0
		.amdhsa_system_sgpr_workgroup_id_z 0
		.amdhsa_system_sgpr_workgroup_info 0
		.amdhsa_system_vgpr_workitem_id 1
		.amdhsa_next_free_vgpr 256
		.amdhsa_next_free_sgpr 100
		.amdhsa_accum_offset 256
		.amdhsa_reserve_vcc 1
		.amdhsa_float_round_mode_32 0
		.amdhsa_float_round_mode_16_64 0
		.amdhsa_float_denorm_mode_32 3
		.amdhsa_float_denorm_mode_16_64 3
		.amdhsa_dx10_clamp 1
		.amdhsa_ieee_mode 1
		.amdhsa_fp16_overflow 0
		.amdhsa_tg_split 0
		.amdhsa_exception_fp_ieee_invalid_op 0
		.amdhsa_exception_fp_denorm_src 0
		.amdhsa_exception_fp_ieee_div_zero 0
		.amdhsa_exception_fp_ieee_overflow 0
		.amdhsa_exception_fp_ieee_underflow 0
		.amdhsa_exception_fp_ieee_inexact 0
		.amdhsa_exception_int_div_zero 0
	.end_amdhsa_kernel
	.section	.text._ZL18flash_attn_ext_f16ILi256ELi256ELi8ELi8ELb1ELb0EEvPKcS1_S1_S1_S1_PKiPfP15HIP_vector_typeIfLj2EEffffjfiS5_IjLj3EEiiiiiiiiiiiliiliiiiil,"axG",@progbits,_ZL18flash_attn_ext_f16ILi256ELi256ELi8ELi8ELb1ELb0EEvPKcS1_S1_S1_S1_PKiPfP15HIP_vector_typeIfLj2EEffffjfiS5_IjLj3EEiiiiiiiiiiiliiliiiiil,comdat
.Lfunc_end32:
	.size	_ZL18flash_attn_ext_f16ILi256ELi256ELi8ELi8ELb1ELb0EEvPKcS1_S1_S1_S1_PKiPfP15HIP_vector_typeIfLj2EEffffjfiS5_IjLj3EEiiiiiiiiiiiliiliiiiil, .Lfunc_end32-_ZL18flash_attn_ext_f16ILi256ELi256ELi8ELi8ELb1ELb0EEvPKcS1_S1_S1_S1_PKiPfP15HIP_vector_typeIfLj2EEffffjfiS5_IjLj3EEiiiiiiiiiiiliiliiiiil
                                        ; -- End function
	.set _ZL18flash_attn_ext_f16ILi256ELi256ELi8ELi8ELb1ELb0EEvPKcS1_S1_S1_S1_PKiPfP15HIP_vector_typeIfLj2EEffffjfiS5_IjLj3EEiiiiiiiiiiiliiliiiiil.num_vgpr, 256
	.set _ZL18flash_attn_ext_f16ILi256ELi256ELi8ELi8ELb1ELb0EEvPKcS1_S1_S1_S1_PKiPfP15HIP_vector_typeIfLj2EEffffjfiS5_IjLj3EEiiiiiiiiiiiliiliiiiil.num_agpr, 0
	.set _ZL18flash_attn_ext_f16ILi256ELi256ELi8ELi8ELb1ELb0EEvPKcS1_S1_S1_S1_PKiPfP15HIP_vector_typeIfLj2EEffffjfiS5_IjLj3EEiiiiiiiiiiiliiliiiiil.numbered_sgpr, 100
	.set _ZL18flash_attn_ext_f16ILi256ELi256ELi8ELi8ELb1ELb0EEvPKcS1_S1_S1_S1_PKiPfP15HIP_vector_typeIfLj2EEffffjfiS5_IjLj3EEiiiiiiiiiiiliiliiiiil.num_named_barrier, 0
	.set _ZL18flash_attn_ext_f16ILi256ELi256ELi8ELi8ELb1ELb0EEvPKcS1_S1_S1_S1_PKiPfP15HIP_vector_typeIfLj2EEffffjfiS5_IjLj3EEiiiiiiiiiiiliiliiiiil.private_seg_size, 124
	.set _ZL18flash_attn_ext_f16ILi256ELi256ELi8ELi8ELb1ELb0EEvPKcS1_S1_S1_S1_PKiPfP15HIP_vector_typeIfLj2EEffffjfiS5_IjLj3EEiiiiiiiiiiiliiliiiiil.uses_vcc, 1
	.set _ZL18flash_attn_ext_f16ILi256ELi256ELi8ELi8ELb1ELb0EEvPKcS1_S1_S1_S1_PKiPfP15HIP_vector_typeIfLj2EEffffjfiS5_IjLj3EEiiiiiiiiiiiliiliiiiil.uses_flat_scratch, 0
	.set _ZL18flash_attn_ext_f16ILi256ELi256ELi8ELi8ELb1ELb0EEvPKcS1_S1_S1_S1_PKiPfP15HIP_vector_typeIfLj2EEffffjfiS5_IjLj3EEiiiiiiiiiiiliiliiiiil.has_dyn_sized_stack, 0
	.set _ZL18flash_attn_ext_f16ILi256ELi256ELi8ELi8ELb1ELb0EEvPKcS1_S1_S1_S1_PKiPfP15HIP_vector_typeIfLj2EEffffjfiS5_IjLj3EEiiiiiiiiiiiliiliiiiil.has_recursion, 0
	.set _ZL18flash_attn_ext_f16ILi256ELi256ELi8ELi8ELb1ELb0EEvPKcS1_S1_S1_S1_PKiPfP15HIP_vector_typeIfLj2EEffffjfiS5_IjLj3EEiiiiiiiiiiiliiliiiiil.has_indirect_call, 0
	.section	.AMDGPU.csdata,"",@progbits
; Kernel info:
; codeLenInByte = 79480
; TotalNumSgprs: 106
; NumVgprs: 256
; NumAgprs: 0
; TotalNumVgprs: 256
; ScratchSize: 124
; MemoryBound: 0
; FloatMode: 240
; IeeeMode: 1
; LDSByteSize: 0 bytes/workgroup (compile time only)
; SGPRBlocks: 13
; VGPRBlocks: 31
; NumSGPRsForWavesPerEU: 106
; NumVGPRsForWavesPerEU: 256
; AccumOffset: 256
; Occupancy: 2
; WaveLimiterHint : 1
; COMPUTE_PGM_RSRC2:SCRATCH_EN: 1
; COMPUTE_PGM_RSRC2:USER_SGPR: 2
; COMPUTE_PGM_RSRC2:TRAP_HANDLER: 0
; COMPUTE_PGM_RSRC2:TGID_X_EN: 1
; COMPUTE_PGM_RSRC2:TGID_Y_EN: 0
; COMPUTE_PGM_RSRC2:TGID_Z_EN: 0
; COMPUTE_PGM_RSRC2:TIDIG_COMP_CNT: 1
; COMPUTE_PGM_RSRC3_GFX90A:ACCUM_OFFSET: 63
; COMPUTE_PGM_RSRC3_GFX90A:TG_SPLIT: 0
	.section	.text._ZL33flash_attn_stream_k_fixup_uniformILi256ELi8ELi8EEvPfPK15HIP_vector_typeIfLj2EEiiiiiiS1_IjLj3EES5_S5_,"axG",@progbits,_ZL33flash_attn_stream_k_fixup_uniformILi256ELi8ELi8EEvPfPK15HIP_vector_typeIfLj2EEiiiiiiS1_IjLj3EES5_S5_,comdat
	.globl	_ZL33flash_attn_stream_k_fixup_uniformILi256ELi8ELi8EEvPfPK15HIP_vector_typeIfLj2EEiiiiiiS1_IjLj3EES5_S5_ ; -- Begin function _ZL33flash_attn_stream_k_fixup_uniformILi256ELi8ELi8EEvPfPK15HIP_vector_typeIfLj2EEiiiiiiS1_IjLj3EES5_S5_
	.p2align	8
	.type	_ZL33flash_attn_stream_k_fixup_uniformILi256ELi8ELi8EEvPfPK15HIP_vector_typeIfLj2EEiiiiiiS1_IjLj3EES5_S5_,@function
_ZL33flash_attn_stream_k_fixup_uniformILi256ELi8ELi8EEvPfPK15HIP_vector_typeIfLj2EEiiiiiiS1_IjLj3EES5_S5_: ; @_ZL33flash_attn_stream_k_fixup_uniformILi256ELi8ELi8EEvPfPK15HIP_vector_typeIfLj2EEiiiiiiS1_IjLj3EES5_S5_
; %bb.0:
	s_load_dwordx8 s[8:15], s[0:1], 0x1c
	s_load_dwordx2 s[6:7], s[0:1], 0x10
	s_load_dwordx4 s[20:23], s[0:1], 0x3c
	s_waitcnt lgkmcnt(0)
	s_mul_hi_u32 s5, s11, s2
	s_add_i32 s5, s2, s5
	s_lshr_b32 s5, s5, s12
	s_mul_i32 s11, s5, s13
	s_sub_i32 s11, s2, s11
	s_mul_hi_u32 s12, s11, s14
	s_add_i32 s12, s11, s12
	s_lshr_b32 s16, s12, s15
	s_mul_i32 s12, s16, s20
	s_sub_i32 s11, s11, s12
	;; [unrolled: 5-line block ×3, first 2 shown]
	s_lshl_b32 s11, s12, 3
	s_lshl_b32 s12, s17, 3
	s_add_i32 s12, s12, s3
	s_cmp_lt_i32 s12, s6
	s_cselect_b64 s[12:13], -1, 0
	s_add_i32 s14, s11, s4
	s_cmp_lt_i32 s14, s9
	s_cselect_b64 s[14:15], -1, 0
	s_and_b64 s[12:13], s[12:13], s[14:15]
	s_andn2_b64 vcc, exec, s[12:13]
	s_cbranch_vccnz .LBB33_6
; %bb.1:
	s_load_dwordx4 s[12:15], s[0:1], 0x0
	s_mul_i32 s0, s5, s6
	s_add_i32 s0, s0, s3
	s_mul_i32 s0, s0, s7
	s_mul_i32 s16, s16, s9
	s_add_i32 s0, s0, s4
	s_add_i32 s0, s0, s16
	s_mul_i32 s1, s7, s17
	s_add_i32 s0, s0, s11
	s_lshl_b32 s1, s1, 11
	s_lshl_b32 s0, s0, 8
	s_add_i32 s1, s1, s0
	v_or_b32_e32 v4, s1, v0
	s_waitcnt lgkmcnt(0)
	v_mov_b32_e32 v2, s12
	v_mov_b32_e32 v3, s13
	v_ashrrev_i32_e32 v5, 31, v4
	v_lshl_add_u64 v[2:3], v[4:5], 2, v[2:3]
	global_load_dword v5, v[2:3], off
	s_mul_i32 s5, s10, s2
	s_lshl_b32 s11, s3, 3
	s_add_i32 s9, s5, s10
	s_add_i32 s0, s11, s4
	s_lshl_b32 s1, s9, 6
	s_add_i32 s0, s0, s1
	s_sub_i32 s0, s0, 64
	s_ashr_i32 s1, s0, 31
	s_lshl_b64 s[0:1], s[0:1], 3
	s_add_u32 s0, s14, s0
	s_addc_u32 s1, s15, s1
	s_load_dword s12, s[0:1], 0x4
	s_add_i32 s6, s9, -2
	s_cmp_lt_i32 s6, s5
	s_cbranch_scc1 .LBB33_4
; %bb.2:
	s_lshl_b32 s6, s8, 8
	s_ashr_i32 s7, s6, 31
	s_lshl_b64 s[6:7], s[6:7], 2
	s_add_u32 s6, s14, s6
	s_addc_u32 s7, s15, s7
	s_add_i32 s2, s2, 1
	s_load_dword s0, s[0:1], 0x0
	s_mul_i32 s1, s10, s2
	s_lshl_b32 s3, s3, 11
	s_lshl_b32 s10, s4, 8
	;; [unrolled: 1-line block ×3, first 2 shown]
	s_add_i32 s3, s10, s3
	s_lshl_b32 s1, s1, 6
	s_add_i32 s3, s3, s2
	s_add_i32 s1, s4, s1
	s_lshl_b32 s2, s8, 6
	s_add_i32 s1, s1, s2
	v_or_b32_e32 v0, s3, v0
	s_add_i32 s1, s1, s11
	s_add_i32 s9, s9, -1
	v_add_u32_e32 v0, 0xffff8000, v0
	s_add_i32 s2, s1, 0xffffff80
	s_waitcnt lgkmcnt(0)
	v_mov_b32_e32 v7, s0
	v_mov_b32_e32 v4, s12
	s_mov_b32 s4, 0x3fb8aa3b
	s_mov_b32 s8, 0xc2ce8ed0
	;; [unrolled: 1-line block ×3, first 2 shown]
	v_mov_b32_e32 v6, 0x7f800000
	s_mov_b32 s11, 0xc1a00000
.LBB33_3:                               ; =>This Inner Loop Header: Depth=1
	v_ashrrev_i32_e32 v1, 31, v0
	v_lshl_add_u64 v[8:9], v[0:1], 2, s[6:7]
	global_load_dword v9, v[8:9], off
	s_ashr_i32 s3, s2, 31
	s_lshl_b64 s[0:1], s[2:3], 3
	s_add_u32 s0, s14, s0
	s_addc_u32 s1, s15, s1
	s_load_dwordx2 s[0:1], s[0:1], 0x0
	v_max_f32_e32 v1, v7, v7
	s_add_i32 s9, s9, -1
	s_sub_i32 s2, s2, 64
	v_add_u32_e32 v0, 0xffffc000, v0
	s_waitcnt lgkmcnt(0)
	v_max_f32_e64 v10, s0, s0
	v_max_f32_e32 v1, v1, v10
	v_sub_f32_e32 v11, s0, v1
	v_sub_f32_e32 v10, v7, v1
	v_mul_f32_e32 v12, 0x3fb8aa3b, v11
	v_mov_b32_e32 v7, v1
	v_mul_f32_e32 v1, 0x3fb8aa3b, v10
	v_fma_f32 v15, v11, s4, -v12
	v_rndne_f32_e32 v16, v12
	v_fma_f32 v13, v10, s4, -v1
	v_rndne_f32_e32 v14, v1
	v_fmac_f32_e32 v15, 0x32a5705f, v11
	v_sub_f32_e32 v12, v12, v16
	v_fmac_f32_e32 v13, 0x32a5705f, v10
	v_sub_f32_e32 v1, v1, v14
	v_add_f32_e32 v12, v12, v15
	v_cvt_i32_f32_e32 v16, v16
	v_add_f32_e32 v1, v1, v13
	v_exp_f32_e32 v12, v12
	v_cvt_i32_f32_e32 v14, v14
	v_exp_f32_e32 v1, v1
	v_cmp_ngt_f32_e32 vcc, s8, v11
	v_ldexp_f32 v12, v12, v16
	v_mov_b32_e32 v8, s1
	v_ldexp_f32 v1, v1, v14
	v_cmp_ngt_f32_e64 s[0:1], s8, v10
	v_cndmask_b32_e32 v12, 0, v12, vcc
	v_cmp_nlt_f32_e32 vcc, s10, v11
	v_cndmask_b32_e64 v1, 0, v1, s[0:1]
	v_cmp_nlt_f32_e64 s[0:1], s10, v10
	v_cndmask_b32_e32 v12, v6, v12, vcc
	v_cmp_le_f32_e32 vcc, s11, v11
	v_cndmask_b32_e64 v1, v6, v1, s[0:1]
	v_cmp_le_f32_e64 s[0:1], s11, v10
	v_cndmask_b32_e32 v12, 0, v12, vcc
	s_cmp_le_i32 s9, s5
	v_cndmask_b32_e64 v10, 0, v1, s[0:1]
	s_waitcnt vmcnt(0)
	v_pk_mul_f32 v[8:9], v[8:9], v[12:13] op_sel_hi:[1,0]
	s_nop 0
	v_pk_fma_f32 v[4:5], v[4:5], v[10:11], v[8:9] op_sel_hi:[1,0,1]
	s_cbranch_scc0 .LBB33_3
	s_branch .LBB33_5
.LBB33_4:
	s_waitcnt lgkmcnt(0)
	v_mov_b32_e32 v4, s12
.LBB33_5:
	s_waitcnt vmcnt(0)
	v_div_scale_f32 v0, s[0:1], v4, v4, v5
	v_rcp_f32_e32 v1, v0
	v_div_scale_f32 v6, vcc, v5, v4, v5
	v_fma_f32 v7, -v0, v1, 1.0
	v_fmac_f32_e32 v1, v7, v1
	v_mul_f32_e32 v7, v6, v1
	v_fma_f32 v8, -v0, v7, v6
	v_fmac_f32_e32 v7, v8, v1
	v_fma_f32 v0, -v0, v7, v6
	v_div_fmas_f32 v0, v0, v1, v7
	v_div_fixup_f32 v0, v0, v4, v5
	global_store_dword v[2:3], v0, off
.LBB33_6:
	s_endpgm
	.section	.rodata,"a",@progbits
	.p2align	6, 0x0
	.amdhsa_kernel _ZL33flash_attn_stream_k_fixup_uniformILi256ELi8ELi8EEvPfPK15HIP_vector_typeIfLj2EEiiiiiiS1_IjLj3EES5_S5_
		.amdhsa_group_segment_fixed_size 0
		.amdhsa_private_segment_fixed_size 0
		.amdhsa_kernarg_size 76
		.amdhsa_user_sgpr_count 2
		.amdhsa_user_sgpr_dispatch_ptr 0
		.amdhsa_user_sgpr_queue_ptr 0
		.amdhsa_user_sgpr_kernarg_segment_ptr 1
		.amdhsa_user_sgpr_dispatch_id 0
		.amdhsa_user_sgpr_kernarg_preload_length 0
		.amdhsa_user_sgpr_kernarg_preload_offset 0
		.amdhsa_user_sgpr_private_segment_size 0
		.amdhsa_uses_dynamic_stack 0
		.amdhsa_enable_private_segment 0
		.amdhsa_system_sgpr_workgroup_id_x 1
		.amdhsa_system_sgpr_workgroup_id_y 1
		.amdhsa_system_sgpr_workgroup_id_z 1
		.amdhsa_system_sgpr_workgroup_info 0
		.amdhsa_system_vgpr_workitem_id 0
		.amdhsa_next_free_vgpr 17
		.amdhsa_next_free_sgpr 24
		.amdhsa_accum_offset 20
		.amdhsa_reserve_vcc 1
		.amdhsa_float_round_mode_32 0
		.amdhsa_float_round_mode_16_64 0
		.amdhsa_float_denorm_mode_32 3
		.amdhsa_float_denorm_mode_16_64 3
		.amdhsa_dx10_clamp 1
		.amdhsa_ieee_mode 1
		.amdhsa_fp16_overflow 0
		.amdhsa_tg_split 0
		.amdhsa_exception_fp_ieee_invalid_op 0
		.amdhsa_exception_fp_denorm_src 0
		.amdhsa_exception_fp_ieee_div_zero 0
		.amdhsa_exception_fp_ieee_overflow 0
		.amdhsa_exception_fp_ieee_underflow 0
		.amdhsa_exception_fp_ieee_inexact 0
		.amdhsa_exception_int_div_zero 0
	.end_amdhsa_kernel
	.section	.text._ZL33flash_attn_stream_k_fixup_uniformILi256ELi8ELi8EEvPfPK15HIP_vector_typeIfLj2EEiiiiiiS1_IjLj3EES5_S5_,"axG",@progbits,_ZL33flash_attn_stream_k_fixup_uniformILi256ELi8ELi8EEvPfPK15HIP_vector_typeIfLj2EEiiiiiiS1_IjLj3EES5_S5_,comdat
.Lfunc_end33:
	.size	_ZL33flash_attn_stream_k_fixup_uniformILi256ELi8ELi8EEvPfPK15HIP_vector_typeIfLj2EEiiiiiiS1_IjLj3EES5_S5_, .Lfunc_end33-_ZL33flash_attn_stream_k_fixup_uniformILi256ELi8ELi8EEvPfPK15HIP_vector_typeIfLj2EEiiiiiiS1_IjLj3EES5_S5_
                                        ; -- End function
	.set _ZL33flash_attn_stream_k_fixup_uniformILi256ELi8ELi8EEvPfPK15HIP_vector_typeIfLj2EEiiiiiiS1_IjLj3EES5_S5_.num_vgpr, 17
	.set _ZL33flash_attn_stream_k_fixup_uniformILi256ELi8ELi8EEvPfPK15HIP_vector_typeIfLj2EEiiiiiiS1_IjLj3EES5_S5_.num_agpr, 0
	.set _ZL33flash_attn_stream_k_fixup_uniformILi256ELi8ELi8EEvPfPK15HIP_vector_typeIfLj2EEiiiiiiS1_IjLj3EES5_S5_.numbered_sgpr, 24
	.set _ZL33flash_attn_stream_k_fixup_uniformILi256ELi8ELi8EEvPfPK15HIP_vector_typeIfLj2EEiiiiiiS1_IjLj3EES5_S5_.num_named_barrier, 0
	.set _ZL33flash_attn_stream_k_fixup_uniformILi256ELi8ELi8EEvPfPK15HIP_vector_typeIfLj2EEiiiiiiS1_IjLj3EES5_S5_.private_seg_size, 0
	.set _ZL33flash_attn_stream_k_fixup_uniformILi256ELi8ELi8EEvPfPK15HIP_vector_typeIfLj2EEiiiiiiS1_IjLj3EES5_S5_.uses_vcc, 1
	.set _ZL33flash_attn_stream_k_fixup_uniformILi256ELi8ELi8EEvPfPK15HIP_vector_typeIfLj2EEiiiiiiS1_IjLj3EES5_S5_.uses_flat_scratch, 0
	.set _ZL33flash_attn_stream_k_fixup_uniformILi256ELi8ELi8EEvPfPK15HIP_vector_typeIfLj2EEiiiiiiS1_IjLj3EES5_S5_.has_dyn_sized_stack, 0
	.set _ZL33flash_attn_stream_k_fixup_uniformILi256ELi8ELi8EEvPfPK15HIP_vector_typeIfLj2EEiiiiiiS1_IjLj3EES5_S5_.has_recursion, 0
	.set _ZL33flash_attn_stream_k_fixup_uniformILi256ELi8ELi8EEvPfPK15HIP_vector_typeIfLj2EEiiiiiiS1_IjLj3EES5_S5_.has_indirect_call, 0
	.section	.AMDGPU.csdata,"",@progbits
; Kernel info:
; codeLenInByte = 840
; TotalNumSgprs: 30
; NumVgprs: 17
; NumAgprs: 0
; TotalNumVgprs: 17
; ScratchSize: 0
; MemoryBound: 0
; FloatMode: 240
; IeeeMode: 1
; LDSByteSize: 0 bytes/workgroup (compile time only)
; SGPRBlocks: 3
; VGPRBlocks: 2
; NumSGPRsForWavesPerEU: 30
; NumVGPRsForWavesPerEU: 17
; AccumOffset: 20
; Occupancy: 8
; WaveLimiterHint : 0
; COMPUTE_PGM_RSRC2:SCRATCH_EN: 0
; COMPUTE_PGM_RSRC2:USER_SGPR: 2
; COMPUTE_PGM_RSRC2:TRAP_HANDLER: 0
; COMPUTE_PGM_RSRC2:TGID_X_EN: 1
; COMPUTE_PGM_RSRC2:TGID_Y_EN: 1
; COMPUTE_PGM_RSRC2:TGID_Z_EN: 1
; COMPUTE_PGM_RSRC2:TIDIG_COMP_CNT: 0
; COMPUTE_PGM_RSRC3_GFX90A:ACCUM_OFFSET: 4
; COMPUTE_PGM_RSRC3_GFX90A:TG_SPLIT: 0
	.section	.text._ZL33flash_attn_stream_k_fixup_generalILi256ELi8ELi8EEvPfPK15HIP_vector_typeIfLj2EEiiiiS1_IjLj3EES5_S5_S5_,"axG",@progbits,_ZL33flash_attn_stream_k_fixup_generalILi256ELi8ELi8EEvPfPK15HIP_vector_typeIfLj2EEiiiiS1_IjLj3EES5_S5_S5_,comdat
	.globl	_ZL33flash_attn_stream_k_fixup_generalILi256ELi8ELi8EEvPfPK15HIP_vector_typeIfLj2EEiiiiS1_IjLj3EES5_S5_S5_ ; -- Begin function _ZL33flash_attn_stream_k_fixup_generalILi256ELi8ELi8EEvPfPK15HIP_vector_typeIfLj2EEiiiiS1_IjLj3EES5_S5_S5_
	.p2align	8
	.type	_ZL33flash_attn_stream_k_fixup_generalILi256ELi8ELi8EEvPfPK15HIP_vector_typeIfLj2EEiiiiS1_IjLj3EES5_S5_S5_,@function
_ZL33flash_attn_stream_k_fixup_generalILi256ELi8ELi8EEvPfPK15HIP_vector_typeIfLj2EEiiiiS1_IjLj3EES5_S5_S5_: ; @_ZL33flash_attn_stream_k_fixup_generalILi256ELi8ELi8EEvPfPK15HIP_vector_typeIfLj2EEiiiiS1_IjLj3EES5_S5_S5_
; %bb.0:
	s_load_dwordx4 s[8:11], s[0:1], 0x10
	s_load_dword s22, s[0:1], 0x50
	s_mov_b32 s12, 0
	s_waitcnt lgkmcnt(0)
	s_mul_hi_i32 s13, s11, s2
	s_cmp_lg_u64 s[12:13], 0
	s_mul_i32 s5, s11, s2
	s_cbranch_scc0 .LBB34_20
; %bb.1:
	s_add_u32 s6, s22, 0
	s_addc_u32 s7, 0, 0
	s_xor_b64 s[6:7], s[6:7], 0
	v_cvt_f32_u32_e32 v1, s6
	v_cvt_f32_u32_e32 v2, s7
	s_sub_u32 s12, 0, s6
	s_subb_u32 s18, 0, s7
	v_fmamk_f32 v1, v2, 0x4f800000, v1
	v_rcp_f32_e32 v1, v1
	s_nop 0
	v_mul_f32_e32 v1, 0x5f7ffffc, v1
	v_mul_f32_e32 v2, 0x2f800000, v1
	v_trunc_f32_e32 v2, v2
	v_fmamk_f32 v1, v2, 0xcf800000, v1
	v_cvt_u32_f32_e32 v2, v2
	v_cvt_u32_f32_e32 v1, v1
	v_readfirstlane_b32 s19, v2
	v_readfirstlane_b32 s14, v1
	s_mul_i32 s15, s12, s19
	s_mul_hi_u32 s21, s12, s14
	s_mul_i32 s20, s18, s14
	s_add_i32 s15, s21, s15
	s_add_i32 s15, s15, s20
	s_mul_i32 s23, s12, s14
	s_mul_i32 s21, s14, s15
	s_mul_hi_u32 s24, s14, s23
	s_mul_hi_u32 s20, s14, s15
	s_add_u32 s21, s24, s21
	s_addc_u32 s20, 0, s20
	s_mul_hi_u32 s25, s19, s23
	s_mul_i32 s23, s19, s23
	s_add_u32 s21, s21, s23
	s_mul_hi_u32 s24, s19, s15
	s_addc_u32 s20, s20, s25
	s_addc_u32 s21, s24, 0
	s_mul_i32 s15, s19, s15
	s_add_u32 s15, s20, s15
	s_addc_u32 s20, 0, s21
	s_add_u32 s21, s14, s15
	s_cselect_b64 s[14:15], -1, 0
	s_cmp_lg_u64 s[14:15], 0
	s_addc_u32 s19, s19, s20
	s_mul_i32 s14, s12, s19
	s_mul_hi_u32 s15, s12, s21
	s_add_i32 s14, s15, s14
	s_mul_i32 s18, s18, s21
	s_add_i32 s14, s14, s18
	s_mul_i32 s12, s12, s21
	s_mul_hi_u32 s18, s19, s12
	s_mul_i32 s20, s19, s12
	s_mul_i32 s24, s21, s14
	s_mul_hi_u32 s12, s21, s12
	s_mul_hi_u32 s23, s21, s14
	s_add_u32 s12, s12, s24
	s_addc_u32 s23, 0, s23
	s_add_u32 s12, s12, s20
	s_mul_hi_u32 s15, s19, s14
	s_addc_u32 s12, s23, s18
	s_addc_u32 s15, s15, 0
	s_mul_i32 s14, s19, s14
	s_add_u32 s12, s12, s14
	s_addc_u32 s18, 0, s15
	s_add_u32 s20, s21, s12
	s_cselect_b64 s[14:15], -1, 0
	s_cmp_lg_u64 s[14:15], 0
	s_addc_u32 s18, s19, s18
	s_ashr_i32 s14, s13, 31
	s_add_u32 s12, s5, s14
	s_mov_b32 s15, s14
	s_addc_u32 s13, s13, s14
	s_xor_b64 s[12:13], s[12:13], s[14:15]
	s_mul_i32 s21, s12, s18
	s_mul_hi_u32 s23, s12, s20
	s_mul_hi_u32 s19, s12, s18
	s_add_u32 s21, s23, s21
	s_addc_u32 s19, 0, s19
	s_mul_hi_u32 s24, s13, s20
	s_mul_i32 s20, s13, s20
	s_add_u32 s20, s21, s20
	s_mul_hi_u32 s23, s13, s18
	s_addc_u32 s19, s19, s24
	s_addc_u32 s20, s23, 0
	s_mul_i32 s18, s13, s18
	s_add_u32 s23, s19, s18
	s_addc_u32 s24, 0, s20
	s_mul_i32 s18, s6, s24
	s_mul_hi_u32 s19, s6, s23
	s_add_i32 s18, s19, s18
	s_mul_i32 s19, s7, s23
	s_add_i32 s25, s18, s19
	s_sub_i32 s20, s13, s25
	s_mul_i32 s18, s6, s23
	s_sub_u32 s12, s12, s18
	s_cselect_b64 s[18:19], -1, 0
	s_cmp_lg_u64 s[18:19], 0
	s_subb_u32 s26, s20, s7
	s_sub_u32 s27, s12, s6
	s_cselect_b64 s[20:21], -1, 0
	s_cmp_lg_u64 s[20:21], 0
	s_subb_u32 s20, s26, 0
	s_cmp_ge_u32 s20, s7
	s_cselect_b32 s21, -1, 0
	s_cmp_ge_u32 s27, s6
	s_cselect_b32 s26, -1, 0
	s_cmp_eq_u32 s20, s7
	s_cselect_b32 s20, s26, s21
	s_add_u32 s21, s23, 1
	s_addc_u32 s26, s24, 0
	s_add_u32 s27, s23, 2
	s_addc_u32 s28, s24, 0
	s_cmp_lg_u32 s20, 0
	s_cselect_b32 s20, s27, s21
	s_cselect_b32 s21, s28, s26
	s_cmp_lg_u64 s[18:19], 0
	s_subb_u32 s13, s13, s25
	s_cmp_ge_u32 s13, s7
	s_cselect_b32 s18, -1, 0
	s_cmp_ge_u32 s12, s6
	s_cselect_b32 s6, -1, 0
	s_cmp_eq_u32 s13, s7
	s_cselect_b32 s6, s6, s18
	s_cmp_lg_u32 s6, 0
	s_cselect_b32 s7, s21, s24
	s_cselect_b32 s6, s20, s23
	s_xor_b64 s[12:13], s[14:15], 0
	s_xor_b64 s[6:7], s[6:7], s[12:13]
	s_sub_u32 s6, s6, s12
	s_load_dwordx4 s[12:15], s[0:1], 0x44
	s_cbranch_execnz .LBB34_3
.LBB34_2:
	v_cvt_f32_u32_e32 v1, s22
	s_sub_i32 s6, 0, s22
	v_rcp_iflag_f32_e32 v1, v1
	s_nop 0
	v_mul_f32_e32 v1, 0x4f7ffffe, v1
	v_cvt_u32_f32_e32 v1, v1
	s_nop 0
	v_readfirstlane_b32 s7, v1
	s_mul_i32 s6, s6, s7
	s_mul_hi_u32 s6, s7, s6
	s_add_i32 s7, s7, s6
	s_mul_hi_u32 s6, s5, s7
	s_waitcnt lgkmcnt(0)
	s_mul_i32 s15, s6, s22
	s_sub_i32 s5, s5, s15
	s_add_i32 s7, s6, 1
	s_sub_i32 s15, s5, s22
	s_cmp_ge_u32 s5, s22
	s_cselect_b32 s6, s7, s6
	s_cselect_b32 s5, s15, s5
	s_add_i32 s7, s6, 1
	s_cmp_ge_u32 s5, s22
	s_cselect_b32 s6, s7, s6
.LBB34_3:
	s_add_i32 s5, s2, 1
	s_mul_hi_i32 s21, s11, s5
	s_mov_b32 s20, 0
	s_cmp_lg_u64 s[20:21], 0
	s_mul_i32 s5, s11, s5
	s_cbranch_scc0 .LBB34_21
; %bb.4:
	s_add_u32 s16, s22, 0
	s_addc_u32 s17, 0, 0
	s_xor_b64 s[18:19], s[16:17], 0
	v_cvt_f32_u32_e32 v1, s18
	v_cvt_f32_u32_e32 v2, s19
	s_sub_u32 s7, 0, s18
	s_waitcnt lgkmcnt(0)
	s_subb_u32 s15, 0, s19
	v_fmamk_f32 v1, v2, 0x4f800000, v1
	v_rcp_f32_e32 v1, v1
	s_nop 0
	v_mul_f32_e32 v1, 0x5f7ffffc, v1
	v_mul_f32_e32 v2, 0x2f800000, v1
	v_trunc_f32_e32 v2, v2
	v_fmamk_f32 v1, v2, 0xcf800000, v1
	v_cvt_u32_f32_e32 v2, v2
	v_cvt_u32_f32_e32 v1, v1
	v_readfirstlane_b32 s20, v2
	v_readfirstlane_b32 s23, v1
	s_mul_i32 s24, s7, s20
	s_mul_hi_u32 s26, s7, s23
	s_mul_i32 s25, s15, s23
	s_add_i32 s24, s26, s24
	s_add_i32 s24, s24, s25
	s_mul_i32 s27, s7, s23
	s_mul_i32 s26, s23, s24
	s_mul_hi_u32 s28, s23, s27
	s_mul_hi_u32 s25, s23, s24
	s_add_u32 s26, s28, s26
	s_addc_u32 s25, 0, s25
	s_mul_hi_u32 s29, s20, s27
	s_mul_i32 s27, s20, s27
	s_add_u32 s26, s26, s27
	s_mul_hi_u32 s28, s20, s24
	s_addc_u32 s25, s25, s29
	s_addc_u32 s26, s28, 0
	s_mul_i32 s24, s20, s24
	s_add_u32 s24, s25, s24
	s_addc_u32 s26, 0, s26
	s_add_u32 s23, s23, s24
	s_cselect_b64 s[24:25], -1, 0
	s_cmp_lg_u64 s[24:25], 0
	s_addc_u32 s20, s20, s26
	s_mul_i32 s24, s7, s20
	s_mul_hi_u32 s25, s7, s23
	s_add_i32 s24, s25, s24
	s_mul_i32 s15, s15, s23
	s_add_i32 s24, s24, s15
	s_mul_i32 s7, s7, s23
	s_mul_hi_u32 s25, s20, s7
	s_mul_i32 s26, s20, s7
	s_mul_i32 s28, s23, s24
	s_mul_hi_u32 s7, s23, s7
	s_mul_hi_u32 s27, s23, s24
	s_add_u32 s7, s7, s28
	s_addc_u32 s27, 0, s27
	s_add_u32 s7, s7, s26
	s_mul_hi_u32 s15, s20, s24
	s_addc_u32 s7, s27, s25
	s_addc_u32 s15, s15, 0
	s_mul_i32 s24, s20, s24
	s_add_u32 s7, s7, s24
	s_addc_u32 s15, 0, s15
	s_add_u32 s7, s23, s7
	s_cselect_b64 s[24:25], -1, 0
	s_cmp_lg_u64 s[24:25], 0
	s_addc_u32 s15, s20, s15
	s_ashr_i32 s24, s21, 31
	s_add_u32 s20, s5, s24
	s_mov_b32 s25, s24
	s_addc_u32 s21, s21, s24
	s_xor_b64 s[20:21], s[20:21], s[24:25]
	s_mul_i32 s26, s20, s15
	s_mul_hi_u32 s27, s20, s7
	s_mul_hi_u32 s23, s20, s15
	s_add_u32 s26, s27, s26
	s_addc_u32 s23, 0, s23
	s_mul_hi_u32 s28, s21, s7
	s_mul_i32 s7, s21, s7
	s_add_u32 s7, s26, s7
	s_mul_hi_u32 s27, s21, s15
	s_addc_u32 s7, s23, s28
	s_addc_u32 s23, s27, 0
	s_mul_i32 s15, s21, s15
	s_add_u32 s7, s7, s15
	s_addc_u32 s15, 0, s23
	s_mul_i32 s23, s18, s15
	s_mul_hi_u32 s26, s18, s7
	s_add_i32 s23, s26, s23
	s_mul_i32 s26, s19, s7
	s_add_i32 s23, s23, s26
	s_sub_i32 s28, s21, s23
	s_mul_i32 s26, s18, s7
	s_sub_u32 s20, s20, s26
	s_cselect_b64 s[26:27], -1, 0
	s_cmp_lg_u64 s[26:27], 0
	s_subb_u32 s30, s28, s19
	s_sub_u32 s31, s20, s18
	s_cselect_b64 s[28:29], -1, 0
	s_cmp_lg_u64 s[28:29], 0
	s_subb_u32 s28, s30, 0
	s_cmp_ge_u32 s28, s19
	s_cselect_b32 s29, -1, 0
	s_cmp_ge_u32 s31, s18
	s_cselect_b32 s30, -1, 0
	s_cmp_eq_u32 s28, s19
	s_cselect_b32 s28, s30, s29
	s_add_u32 s29, s7, 1
	s_addc_u32 s30, s15, 0
	s_add_u32 s31, s7, 2
	s_addc_u32 s33, s15, 0
	s_cmp_lg_u32 s28, 0
	s_cselect_b32 s28, s31, s29
	s_cselect_b32 s29, s33, s30
	s_cmp_lg_u64 s[26:27], 0
	s_subb_u32 s21, s21, s23
	s_cmp_ge_u32 s21, s19
	s_cselect_b32 s23, -1, 0
	s_cmp_ge_u32 s20, s18
	s_cselect_b32 s18, -1, 0
	s_cmp_eq_u32 s21, s19
	s_cselect_b32 s18, s18, s23
	s_cmp_lg_u32 s18, 0
	s_cselect_b32 s19, s29, s15
	s_cselect_b32 s18, s28, s7
	s_xor_b64 s[20:21], s[24:25], 0
	s_xor_b64 s[18:19], s[18:19], s[20:21]
	s_sub_u32 s18, s18, s20
	s_cbranch_execnz .LBB34_6
.LBB34_5:
	v_cvt_f32_u32_e32 v1, s22
	s_sub_i32 s7, 0, s22
	v_rcp_iflag_f32_e32 v1, v1
	s_nop 0
	v_mul_f32_e32 v1, 0x4f7ffffe, v1
	v_cvt_u32_f32_e32 v1, v1
	s_waitcnt lgkmcnt(0)
	v_readfirstlane_b32 s15, v1
	s_mul_i32 s7, s7, s15
	s_mul_hi_u32 s7, s15, s7
	s_add_i32 s15, s15, s7
	s_mul_hi_u32 s7, s5, s15
	s_mul_i32 s16, s7, s22
	s_sub_i32 s5, s5, s16
	s_add_i32 s15, s7, 1
	s_sub_i32 s16, s5, s22
	s_cmp_ge_u32 s5, s22
	s_cselect_b32 s7, s15, s7
	s_cselect_b32 s5, s16, s5
	s_add_i32 s15, s7, 1
	s_cmp_ge_u32 s5, s22
	s_cselect_b32 s18, s15, s7
.LBB34_6:
	s_cmp_eq_u32 s6, s18
	s_waitcnt lgkmcnt(0)
	s_mul_hi_u32 s5, s6, s12
	s_cselect_b64 s[16:17], -1, 0
	s_add_i32 s5, s5, s6
	s_lshr_b32 s7, s5, s13
	s_mul_i32 s5, s7, s14
	s_cmp_eq_u32 s5, s6
	s_mul_hi_u32 s5, s18, s12
	s_cselect_b64 s[20:21], -1, 0
	s_add_i32 s5, s5, s18
	s_lshr_b32 s5, s5, s13
	s_cmp_eq_u32 s7, s5
	s_mul_i32 s5, s5, s14
	s_cselect_b64 s[24:25], -1, 0
	s_cmp_lg_u32 s5, s18
	s_cselect_b64 s[18:19], -1, 0
	s_and_b64 s[18:19], s[24:25], s[18:19]
	s_or_b64 s[16:17], s[16:17], s[20:21]
	s_or_b64 s[16:17], s[16:17], s[18:19]
	s_and_b64 vcc, exec, s[16:17]
	s_cbranch_vccnz .LBB34_23
; %bb.7:
	s_load_dwordx8 s[24:31], s[0:1], 0x20
	s_load_dword s15, s[0:1], 0x40
	s_waitcnt lgkmcnt(0)
	s_mul_hi_u32 s5, s6, s24
	s_add_i32 s5, s5, s6
	s_lshr_b32 s5, s5, s25
	s_mul_i32 s16, s5, s26
	s_sub_i32 s16, s6, s16
	s_mul_hi_u32 s17, s16, s27
	s_add_i32 s17, s16, s17
	s_lshr_b32 s20, s17, s28
	s_mul_i32 s17, s20, s29
	s_sub_i32 s16, s16, s17
	;; [unrolled: 5-line block ×3, first 2 shown]
	s_mul_hi_u32 s16, s15, s12
	s_add_i32 s15, s15, s16
	s_lshr_b32 s23, s15, s13
	s_lshl_b32 s15, s23, 3
	s_lshl_b32 s21, s17, 3
	s_add_i32 s15, s15, s3
	s_cmp_lt_i32 s15, s8
	s_cselect_b64 s[16:17], -1, 0
	s_add_i32 s15, s21, s4
	s_cmp_lt_i32 s15, s10
	s_cselect_b64 s[18:19], -1, 0
	s_and_b64 s[16:17], s[16:17], s[18:19]
	s_andn2_b64 vcc, exec, s[16:17]
	s_cbranch_vccnz .LBB34_23
; %bb.8:
	s_load_dwordx4 s[16:19], s[0:1], 0x0
	s_mov_b32 s0, 0
	s_lshl_b32 s15, s3, 3
	s_lshl_b32 s24, s22, 8
	s_mov_b32 s25, s0
	s_add_i32 s15, s15, s4
	s_waitcnt lgkmcnt(0)
	v_mov_b32_e32 v2, s16
	v_mov_b32_e32 v3, s17
	s_lshl_b64 s[16:17], s[24:25], 2
	s_add_u32 s16, s18, s16
	s_mul_i32 s1, s5, s8
	s_addc_u32 s17, s19, s17
	s_add_i32 s1, s1, s3
	s_mul_i32 s1, s1, s9
	s_mul_i32 s20, s20, s10
	s_add_i32 s1, s1, s4
	s_add_i32 s1, s1, s20
	s_mul_i32 s5, s9, s23
	s_add_i32 s1, s1, s21
	s_lshl_b32 s5, s5, 11
	s_lshl_b32 s1, s1, 8
	s_add_i32 s5, s5, s1
	v_or_b32_e32 v4, s5, v0
	v_ashrrev_i32_e32 v5, 31, v4
	v_lshl_add_u64 v[2:3], v[4:5], 2, v[2:3]
	global_load_dword v1, v[2:3], off
	v_cvt_f32_u32_e32 v4, s22
	s_lshl_b32 s1, s2, 6
	s_add_i32 s4, s15, s1
	s_ashr_i32 s5, s4, 31
	s_lshl_b64 s[4:5], s[4:5], 3
	v_rcp_iflag_f32_e32 v4, v4
	s_add_u32 s4, s18, s4
	s_addc_u32 s5, s19, s5
	s_load_dwordx2 s[4:5], s[4:5], 0x0
	v_mul_f32_e32 v4, 0x4f7ffffe, v4
	v_cvt_u32_f32_e32 v7, v4
	s_add_i32 s24, s2, -1
	v_lshl_or_b32 v6, s15, 8, v0
	s_waitcnt lgkmcnt(0)
	v_mov_b32_e32 v0, s5
	v_mov_b32_e32 v9, s4
	s_mov_b32 s10, 0x3fb8aa3b
	s_mov_b32 s20, 0xc2ce8ed0
	;; [unrolled: 1-line block ×4, first 2 shown]
	v_mov_b32_e32 v8, 0x7f800000
	s_mul_hi_i32 s1, s24, s11
	s_cmp_lg_u64 s[0:1], 0
	s_mul_i32 s8, s24, s11
	s_cbranch_scc0 .LBB34_19
.LBB34_9:
	s_add_u32 s2, s22, 0
	s_addc_u32 s3, 0, 0
	s_xor_b64 s[2:3], s[2:3], 0
	v_cvt_f32_u32_e32 v4, s2
	v_cvt_f32_u32_e32 v5, s3
	s_sub_u32 s9, 0, s2
	s_subb_u32 s25, 0, s3
	v_fmac_f32_e32 v4, 0x4f800000, v5
	v_rcp_f32_e32 v4, v4
	s_nop 0
	v_mul_f32_e32 v4, 0x5f7ffffc, v4
	v_mul_f32_e32 v5, 0x2f800000, v4
	v_trunc_f32_e32 v5, v5
	v_fmac_f32_e32 v4, 0xcf800000, v5
	v_cvt_u32_f32_e32 v5, v5
	v_cvt_u32_f32_e32 v4, v4
	v_readfirstlane_b32 s26, v5
	v_readfirstlane_b32 s4, v4
	s_mul_i32 s5, s9, s26
	s_mul_hi_u32 s28, s9, s4
	s_mul_i32 s27, s25, s4
	s_add_i32 s5, s28, s5
	s_mul_i32 s29, s9, s4
	s_add_i32 s5, s5, s27
	s_mul_i32 s28, s4, s5
	s_mul_hi_u32 s30, s4, s29
	s_mul_hi_u32 s27, s4, s5
	s_add_u32 s28, s30, s28
	s_addc_u32 s27, 0, s27
	s_mul_hi_u32 s31, s26, s29
	s_mul_i32 s29, s26, s29
	s_add_u32 s28, s28, s29
	s_mul_hi_u32 s30, s26, s5
	s_addc_u32 s27, s27, s31
	s_addc_u32 s28, s30, 0
	s_mul_i32 s5, s26, s5
	s_add_u32 s5, s27, s5
	s_addc_u32 s27, 0, s28
	s_add_u32 s28, s4, s5
	s_cselect_b64 s[4:5], -1, 0
	s_cmp_lg_u64 s[4:5], 0
	s_addc_u32 s26, s26, s27
	s_mul_i32 s4, s9, s26
	s_mul_hi_u32 s5, s9, s28
	s_add_i32 s4, s5, s4
	s_mul_i32 s25, s25, s28
	s_add_i32 s4, s4, s25
	s_mul_i32 s9, s9, s28
	s_mul_hi_u32 s25, s26, s9
	s_mul_i32 s27, s26, s9
	s_mul_i32 s30, s28, s4
	s_mul_hi_u32 s9, s28, s9
	s_mul_hi_u32 s29, s28, s4
	s_add_u32 s9, s9, s30
	s_addc_u32 s29, 0, s29
	s_add_u32 s9, s9, s27
	s_mul_hi_u32 s5, s26, s4
	s_addc_u32 s9, s29, s25
	s_addc_u32 s5, s5, 0
	s_mul_i32 s4, s26, s4
	s_add_u32 s4, s9, s4
	s_addc_u32 s9, 0, s5
	s_add_u32 s25, s28, s4
	s_cselect_b64 s[4:5], -1, 0
	s_cmp_lg_u64 s[4:5], 0
	s_addc_u32 s9, s26, s9
	s_ashr_i32 s4, s1, 31
	s_add_u32 s26, s8, s4
	s_mov_b32 s5, s4
	s_addc_u32 s27, s1, s4
	s_xor_b64 s[26:27], s[26:27], s[4:5]
	s_mul_i32 s28, s26, s9
	s_mul_hi_u32 s29, s26, s25
	s_mul_hi_u32 s1, s26, s9
	s_add_u32 s28, s29, s28
	s_addc_u32 s1, 0, s1
	s_mul_hi_u32 s30, s27, s25
	s_mul_i32 s25, s27, s25
	s_add_u32 s25, s28, s25
	s_mul_hi_u32 s29, s27, s9
	s_addc_u32 s1, s1, s30
	s_addc_u32 s25, s29, 0
	s_mul_i32 s9, s27, s9
	s_add_u32 s1, s1, s9
	s_addc_u32 s9, 0, s25
	s_mul_i32 s25, s2, s9
	s_mul_hi_u32 s28, s2, s1
	s_add_i32 s25, s28, s25
	s_mul_i32 s28, s3, s1
	s_add_i32 s25, s25, s28
	s_sub_i32 s30, s27, s25
	s_mul_i32 s28, s2, s1
	s_sub_u32 s26, s26, s28
	s_cselect_b64 s[28:29], -1, 0
	s_cmp_lg_u64 s[28:29], 0
	s_subb_u32 s33, s30, s3
	s_sub_u32 s34, s26, s2
	s_cselect_b64 s[30:31], -1, 0
	s_cmp_lg_u64 s[30:31], 0
	s_subb_u32 s30, s33, 0
	s_cmp_ge_u32 s30, s3
	s_cselect_b32 s31, -1, 0
	s_cmp_ge_u32 s34, s2
	s_cselect_b32 s33, -1, 0
	s_cmp_eq_u32 s30, s3
	s_cselect_b32 s30, s33, s31
	s_add_u32 s31, s1, 1
	s_addc_u32 s33, s9, 0
	s_add_u32 s34, s1, 2
	s_addc_u32 s35, s9, 0
	s_cmp_lg_u32 s30, 0
	s_cselect_b32 s30, s34, s31
	s_cselect_b32 s31, s35, s33
	s_cmp_lg_u64 s[28:29], 0
	s_subb_u32 s25, s27, s25
	s_cmp_ge_u32 s25, s3
	s_cselect_b32 s27, -1, 0
	s_cmp_ge_u32 s26, s2
	s_cselect_b32 s2, -1, 0
	s_cmp_eq_u32 s25, s3
	s_cselect_b32 s2, s2, s27
	s_cmp_lg_u32 s2, 0
	s_cselect_b32 s3, s31, s9
	s_cselect_b32 s2, s30, s1
	s_xor_b64 s[4:5], s[4:5], 0
	s_xor_b64 s[2:3], s[2:3], s[4:5]
	s_sub_u32 s4, s2, s4
	s_cbranch_execnz .LBB34_11
.LBB34_10:
	s_sub_i32 s1, 0, s22
	v_readfirstlane_b32 s2, v7
	s_mul_i32 s1, s1, s2
	s_mul_hi_u32 s1, s2, s1
	s_add_i32 s2, s2, s1
	s_mul_hi_u32 s1, s8, s2
	s_mul_i32 s3, s1, s22
	s_sub_i32 s3, s8, s3
	s_add_i32 s2, s1, 1
	s_sub_i32 s4, s3, s22
	s_cmp_ge_u32 s3, s22
	s_cselect_b32 s1, s2, s1
	s_cselect_b32 s3, s4, s3
	s_add_i32 s2, s1, 1
	s_cmp_ge_u32 s3, s22
	s_cselect_b32 s4, s2, s1
.LBB34_11:
	s_cmp_lg_u32 s6, s4
	s_cbranch_scc0 .LBB34_15
; %bb.12:
	s_add_i32 s1, s24, s22
	s_lshl_b32 s1, s1, 6
	s_add_i32 s2, s1, s15
	s_mov_b32 s3, s0
	s_lshl_b64 s[2:3], s[2:3], 3
	s_add_u32 s8, s18, s2
	s_mul_hi_u32 s1, s4, s12
	s_addc_u32 s9, s19, s3
	s_add_i32 s1, s1, s4
	s_lshr_b32 s1, s1, s13
	s_mul_i32 s2, s1, s14
	s_cmp_eq_u32 s2, s4
	s_cselect_b64 s[2:3], -1, 0
	s_cmp_lt_u32 s1, s7
	s_cselect_b64 s[26:27], -1, 0
	s_or_b64 s[26:27], s[26:27], s[2:3]
	s_mov_b64 s[2:3], -1
	s_and_b64 vcc, exec, s[26:27]
	s_mov_b32 s1, s24
	s_mov_b32 s25, s6
	s_cbranch_vccnz .LBB34_14
; %bb.13:
	s_add_i32 s1, s24, -1
	s_mov_b64 s[2:3], 0
	s_mov_b32 s25, s4
.LBB34_14:
	v_lshl_add_u32 v4, s24, 14, v6
	v_ashrrev_i32_e32 v5, 31, v4
	v_lshl_add_u64 v[4:5], v[4:5], 2, s[16:17]
	global_load_dword v5, v[4:5], off
	s_load_dwordx2 s[4:5], s[8:9], 0x0
	v_max_f32_e32 v4, v9, v9
	s_waitcnt lgkmcnt(0)
	v_max_f32_e64 v10, s4, s4
	v_max_f32_e32 v10, v4, v10
	v_sub_f32_e32 v11, v9, v10
	v_sub_f32_e32 v13, s4, v10
	v_mul_f32_e32 v4, 0x3fb8aa3b, v11
	v_mul_f32_e32 v12, 0x3fb8aa3b, v13
	v_fma_f32 v14, v11, s10, -v4
	v_rndne_f32_e32 v15, v4
	v_fma_f32 v16, v13, s10, -v12
	v_rndne_f32_e32 v17, v12
	v_fmac_f32_e32 v14, 0x32a5705f, v11
	v_sub_f32_e32 v4, v4, v15
	v_fmac_f32_e32 v16, 0x32a5705f, v13
	v_sub_f32_e32 v12, v12, v17
	v_add_f32_e32 v4, v4, v14
	v_cvt_i32_f32_e32 v15, v15
	v_add_f32_e32 v12, v12, v16
	v_exp_f32_e32 v14, v4
	v_cvt_i32_f32_e32 v17, v17
	v_exp_f32_e32 v12, v12
	v_cmp_ngt_f32_e32 vcc, s20, v11
	v_ldexp_f32 v14, v14, v15
	v_mov_b32_e32 v4, s5
	v_ldexp_f32 v12, v12, v17
	v_cndmask_b32_e32 v14, 0, v14, vcc
	v_cmp_ngt_f32_e32 vcc, s20, v13
	s_nop 1
	v_cndmask_b32_e32 v12, 0, v12, vcc
	v_cmp_nlt_f32_e32 vcc, s21, v11
	s_nop 1
	v_cndmask_b32_e32 v14, v8, v14, vcc
	v_cmp_nlt_f32_e32 vcc, s21, v13
	s_nop 1
	v_cndmask_b32_e32 v15, v8, v12, vcc
	v_cmp_le_f32_e32 vcc, s23, v11
	s_nop 1
	v_cndmask_b32_e32 v12, 0, v14, vcc
	v_cmp_le_f32_e32 vcc, s23, v13
	s_nop 1
	v_cndmask_b32_e32 v14, 0, v15, vcc
	s_waitcnt vmcnt(0)
	v_pk_mul_f32 v[4:5], v[4:5], v[14:15] op_sel_hi:[1,0]
	s_nop 0
	v_pk_fma_f32 v[4:5], v[0:1], v[12:13], v[4:5] op_sel_hi:[1,0,1]
	s_cbranch_execz .LBB34_16
	s_branch .LBB34_17
.LBB34_15:
                                        ; implicit-def: $vgpr4_vgpr5
                                        ; implicit-def: $sgpr2_sgpr3
                                        ; implicit-def: $vgpr10
                                        ; implicit-def: $sgpr1
                                        ; implicit-def: $sgpr25
.LBB34_16:
	s_add_i32 s1, s24, -1
	s_mov_b64 s[2:3], 0
	s_mov_b32 s25, s6
	v_mov_b32_e32 v10, v9
	s_waitcnt vmcnt(0)
	v_mov_b64_e32 v[4:5], v[0:1]
.LBB34_17:
	s_andn2_b64 vcc, exec, s[2:3]
	s_cbranch_vccz .LBB34_22
; %bb.18:
	s_mov_b32 s6, s25
	s_mov_b32 s24, s1
	v_mov_b32_e32 v9, v10
	s_waitcnt vmcnt(0)
	v_mov_b64_e32 v[0:1], v[4:5]
	s_mul_hi_i32 s1, s24, s11
	s_cmp_lg_u64 s[0:1], 0
	s_mul_i32 s8, s24, s11
	s_cbranch_scc1 .LBB34_9
.LBB34_19:
                                        ; implicit-def: $sgpr4_sgpr5
	s_branch .LBB34_10
.LBB34_20:
                                        ; implicit-def: $sgpr6_sgpr7
	s_load_dwordx4 s[12:15], s[0:1], 0x44
	s_branch .LBB34_2
.LBB34_21:
                                        ; implicit-def: $sgpr18_sgpr19
	s_branch .LBB34_5
.LBB34_22:
	v_div_scale_f32 v0, s[0:1], v4, v4, v5
	s_waitcnt vmcnt(0)
	v_rcp_f32_e32 v1, v0
	v_div_scale_f32 v6, vcc, v5, v4, v5
	v_fma_f32 v7, -v0, v1, 1.0
	v_fmac_f32_e32 v1, v7, v1
	v_mul_f32_e32 v7, v6, v1
	v_fma_f32 v8, -v0, v7, v6
	v_fmac_f32_e32 v7, v8, v1
	v_fma_f32 v0, -v0, v7, v6
	v_div_fmas_f32 v0, v0, v1, v7
	v_div_fixup_f32 v0, v0, v4, v5
	global_store_dword v[2:3], v0, off
.LBB34_23:
	s_endpgm
	.section	.rodata,"a",@progbits
	.p2align	6, 0x0
	.amdhsa_kernel _ZL33flash_attn_stream_k_fixup_generalILi256ELi8ELi8EEvPfPK15HIP_vector_typeIfLj2EEiiiiS1_IjLj3EES5_S5_S5_
		.amdhsa_group_segment_fixed_size 0
		.amdhsa_private_segment_fixed_size 0
		.amdhsa_kernarg_size 336
		.amdhsa_user_sgpr_count 2
		.amdhsa_user_sgpr_dispatch_ptr 0
		.amdhsa_user_sgpr_queue_ptr 0
		.amdhsa_user_sgpr_kernarg_segment_ptr 1
		.amdhsa_user_sgpr_dispatch_id 0
		.amdhsa_user_sgpr_kernarg_preload_length 0
		.amdhsa_user_sgpr_kernarg_preload_offset 0
		.amdhsa_user_sgpr_private_segment_size 0
		.amdhsa_uses_dynamic_stack 0
		.amdhsa_enable_private_segment 0
		.amdhsa_system_sgpr_workgroup_id_x 1
		.amdhsa_system_sgpr_workgroup_id_y 1
		.amdhsa_system_sgpr_workgroup_id_z 1
		.amdhsa_system_sgpr_workgroup_info 0
		.amdhsa_system_vgpr_workitem_id 0
		.amdhsa_next_free_vgpr 18
		.amdhsa_next_free_sgpr 36
		.amdhsa_accum_offset 20
		.amdhsa_reserve_vcc 1
		.amdhsa_float_round_mode_32 0
		.amdhsa_float_round_mode_16_64 0
		.amdhsa_float_denorm_mode_32 3
		.amdhsa_float_denorm_mode_16_64 3
		.amdhsa_dx10_clamp 1
		.amdhsa_ieee_mode 1
		.amdhsa_fp16_overflow 0
		.amdhsa_tg_split 0
		.amdhsa_exception_fp_ieee_invalid_op 0
		.amdhsa_exception_fp_denorm_src 0
		.amdhsa_exception_fp_ieee_div_zero 0
		.amdhsa_exception_fp_ieee_overflow 0
		.amdhsa_exception_fp_ieee_underflow 0
		.amdhsa_exception_fp_ieee_inexact 0
		.amdhsa_exception_int_div_zero 0
	.end_amdhsa_kernel
	.section	.text._ZL33flash_attn_stream_k_fixup_generalILi256ELi8ELi8EEvPfPK15HIP_vector_typeIfLj2EEiiiiS1_IjLj3EES5_S5_S5_,"axG",@progbits,_ZL33flash_attn_stream_k_fixup_generalILi256ELi8ELi8EEvPfPK15HIP_vector_typeIfLj2EEiiiiS1_IjLj3EES5_S5_S5_,comdat
.Lfunc_end34:
	.size	_ZL33flash_attn_stream_k_fixup_generalILi256ELi8ELi8EEvPfPK15HIP_vector_typeIfLj2EEiiiiS1_IjLj3EES5_S5_S5_, .Lfunc_end34-_ZL33flash_attn_stream_k_fixup_generalILi256ELi8ELi8EEvPfPK15HIP_vector_typeIfLj2EEiiiiS1_IjLj3EES5_S5_S5_
                                        ; -- End function
	.set _ZL33flash_attn_stream_k_fixup_generalILi256ELi8ELi8EEvPfPK15HIP_vector_typeIfLj2EEiiiiS1_IjLj3EES5_S5_S5_.num_vgpr, 18
	.set _ZL33flash_attn_stream_k_fixup_generalILi256ELi8ELi8EEvPfPK15HIP_vector_typeIfLj2EEiiiiS1_IjLj3EES5_S5_S5_.num_agpr, 0
	.set _ZL33flash_attn_stream_k_fixup_generalILi256ELi8ELi8EEvPfPK15HIP_vector_typeIfLj2EEiiiiS1_IjLj3EES5_S5_S5_.numbered_sgpr, 36
	.set _ZL33flash_attn_stream_k_fixup_generalILi256ELi8ELi8EEvPfPK15HIP_vector_typeIfLj2EEiiiiS1_IjLj3EES5_S5_S5_.num_named_barrier, 0
	.set _ZL33flash_attn_stream_k_fixup_generalILi256ELi8ELi8EEvPfPK15HIP_vector_typeIfLj2EEiiiiS1_IjLj3EES5_S5_S5_.private_seg_size, 0
	.set _ZL33flash_attn_stream_k_fixup_generalILi256ELi8ELi8EEvPfPK15HIP_vector_typeIfLj2EEiiiiS1_IjLj3EES5_S5_S5_.uses_vcc, 1
	.set _ZL33flash_attn_stream_k_fixup_generalILi256ELi8ELi8EEvPfPK15HIP_vector_typeIfLj2EEiiiiS1_IjLj3EES5_S5_S5_.uses_flat_scratch, 0
	.set _ZL33flash_attn_stream_k_fixup_generalILi256ELi8ELi8EEvPfPK15HIP_vector_typeIfLj2EEiiiiS1_IjLj3EES5_S5_S5_.has_dyn_sized_stack, 0
	.set _ZL33flash_attn_stream_k_fixup_generalILi256ELi8ELi8EEvPfPK15HIP_vector_typeIfLj2EEiiiiS1_IjLj3EES5_S5_S5_.has_recursion, 0
	.set _ZL33flash_attn_stream_k_fixup_generalILi256ELi8ELi8EEvPfPK15HIP_vector_typeIfLj2EEiiiiS1_IjLj3EES5_S5_S5_.has_indirect_call, 0
	.section	.AMDGPU.csdata,"",@progbits
; Kernel info:
; codeLenInByte = 2940
; TotalNumSgprs: 42
; NumVgprs: 18
; NumAgprs: 0
; TotalNumVgprs: 18
; ScratchSize: 0
; MemoryBound: 0
; FloatMode: 240
; IeeeMode: 1
; LDSByteSize: 0 bytes/workgroup (compile time only)
; SGPRBlocks: 5
; VGPRBlocks: 2
; NumSGPRsForWavesPerEU: 42
; NumVGPRsForWavesPerEU: 18
; AccumOffset: 20
; Occupancy: 8
; WaveLimiterHint : 0
; COMPUTE_PGM_RSRC2:SCRATCH_EN: 0
; COMPUTE_PGM_RSRC2:USER_SGPR: 2
; COMPUTE_PGM_RSRC2:TRAP_HANDLER: 0
; COMPUTE_PGM_RSRC2:TGID_X_EN: 1
; COMPUTE_PGM_RSRC2:TGID_Y_EN: 1
; COMPUTE_PGM_RSRC2:TGID_Z_EN: 1
; COMPUTE_PGM_RSRC2:TIDIG_COMP_CNT: 0
; COMPUTE_PGM_RSRC3_GFX90A:ACCUM_OFFSET: 4
; COMPUTE_PGM_RSRC3_GFX90A:TG_SPLIT: 0
	.section	.text._ZL26flash_attn_combine_resultsILi256EEvPKfPK15HIP_vector_typeIfLj2EEPfi,"axG",@progbits,_ZL26flash_attn_combine_resultsILi256EEvPKfPK15HIP_vector_typeIfLj2EEPfi,comdat
	.globl	_ZL26flash_attn_combine_resultsILi256EEvPKfPK15HIP_vector_typeIfLj2EEPfi ; -- Begin function _ZL26flash_attn_combine_resultsILi256EEvPKfPK15HIP_vector_typeIfLj2EEPfi
	.p2align	8
	.type	_ZL26flash_attn_combine_resultsILi256EEvPKfPK15HIP_vector_typeIfLj2EEPfi,@function
_ZL26flash_attn_combine_resultsILi256EEvPKfPK15HIP_vector_typeIfLj2EEPfi: ; @_ZL26flash_attn_combine_resultsILi256EEvPKfPK15HIP_vector_typeIfLj2EEPfi
; %bb.0:
	s_load_dwordx2 s[6:7], s[0:1], 0x20
	s_load_dword s19, s[0:1], 0x18
	s_load_dwordx4 s[8:11], s[0:1], 0x0
	s_load_dwordx2 s[14:15], s[0:1], 0x10
	s_waitcnt lgkmcnt(0)
	s_mul_i32 s0, s6, s4
	s_add_i32 s0, s0, s2
	s_mul_i32 s18, s0, s7
	s_add_i32 s18, s18, s3
	s_lshl_b32 s20, s19, 1
	s_mul_i32 s2, s18, s19
	v_cmp_gt_i32_e32 vcc, s20, v0
	s_and_saveexec_b64 s[0:1], vcc
	s_cbranch_execz .LBB35_13
; %bb.1:
	v_xad_u32 v1, v0, -1, s20
	s_movk_i32 s4, 0xff
	s_ashr_i32 s3, s2, 31
	v_cmp_lt_u32_e32 vcc, s4, v1
	s_mov_b64 s[6:7], -1
	v_mov_b32_e32 v2, v0
	s_and_saveexec_b64 s[4:5], vcc
	s_cbranch_execz .LBB35_10
; %bb.2:
	v_lshrrev_b32_e32 v6, 8, v1
	s_lshl_b64 s[6:7], s[2:3], 3
	v_add_u32_e32 v2, -1, v6
	s_add_u32 s6, s10, s6
	v_or_b32_e32 v1, 0x100, v0
	v_lshrrev_b32_e32 v3, 1, v2
	s_addc_u32 s7, s11, s7
	s_mov_b32 s21, 0
	v_add_u32_e32 v7, 1, v3
	v_cmp_lt_u32_e32 vcc, 13, v2
	v_mov_b32_e32 v4, 0
	v_mov_b64_e32 v[2:3], v[0:1]
	s_and_saveexec_b64 s[12:13], vcc
	s_cbranch_execz .LBB35_6
; %bb.3:
	v_and_b32_e32 v8, -8, v7
	v_lshl_add_u32 v9, v0, 2, 0
	s_mov_b64 s[16:17], 0
	v_mov_b32_e32 v5, 0
	v_mov_b64_e32 v[2:3], v[0:1]
.LBB35_4:                               ; =>This Inner Loop Header: Depth=1
	v_mov_b32_e32 v4, v2
	v_lshl_add_u64 v[24:25], v[4:5], 2, s[6:7]
	v_mov_b32_e32 v4, v3
	v_add_u32_e32 v10, 0x200, v3
	v_mov_b32_e32 v11, v5
	v_lshl_add_u64 v[26:27], v[4:5], 2, s[6:7]
	v_add_u32_e32 v4, 0x200, v2
	v_lshl_add_u64 v[10:11], v[10:11], 2, s[6:7]
	global_load_dword v1, v[24:25], off
	v_lshl_add_u64 v[24:25], v[4:5], 2, s[6:7]
	v_add_u32_e32 v4, 0x400, v2
	global_load_dword v28, v[26:27], off
	global_load_dword v29, v[24:25], off
	;; [unrolled: 1-line block ×3, first 2 shown]
	v_lshl_add_u64 v[10:11], v[4:5], 2, s[6:7]
	v_add_u32_e32 v4, 0x600, v2
	v_add_u32_e32 v12, 0x400, v3
	v_mov_b32_e32 v13, v5
	v_add_u32_e32 v14, 0x600, v3
	v_mov_b32_e32 v15, v5
	v_lshl_add_u64 v[24:25], v[4:5], 2, s[6:7]
	v_add_u32_e32 v4, 0x800, v2
	v_lshl_add_u64 v[12:13], v[12:13], 2, s[6:7]
	v_lshl_add_u64 v[14:15], v[14:15], 2, s[6:7]
	global_load_dword v26, v[10:11], off
	global_load_dword v27, v[12:13], off
	global_load_dword v31, v[24:25], off
	global_load_dword v32, v[14:15], off
	v_lshl_add_u64 v[10:11], v[4:5], 2, s[6:7]
	v_add_u32_e32 v4, 0xa00, v2
	v_add_u32_e32 v16, 0x800, v3
	v_mov_b32_e32 v17, v5
	v_add_u32_e32 v18, 0xa00, v3
	v_mov_b32_e32 v19, v5
	v_lshl_add_u64 v[12:13], v[4:5], 2, s[6:7]
	v_add_u32_e32 v4, 0xc00, v2
	v_add_u32_e32 v20, 0xc00, v3
	v_mov_b32_e32 v21, v5
	v_add_u32_e32 v22, 0xe00, v3
	v_mov_b32_e32 v23, v5
	v_lshl_add_u64 v[16:17], v[16:17], 2, s[6:7]
	v_lshl_add_u64 v[18:19], v[18:19], 2, s[6:7]
	global_load_dword v14, v[10:11], off
	global_load_dword v15, v[16:17], off
	;; [unrolled: 1-line block ×4, first 2 shown]
	v_lshl_add_u64 v[10:11], v[4:5], 2, s[6:7]
	v_add_u32_e32 v4, 0xe00, v2
	v_lshl_add_u64 v[20:21], v[20:21], 2, s[6:7]
	v_lshl_add_u64 v[22:23], v[22:23], 2, s[6:7]
	;; [unrolled: 1-line block ×3, first 2 shown]
	global_load_dword v16, v[10:11], off
	global_load_dword v17, v[20:21], off
	;; [unrolled: 1-line block ×4, first 2 shown]
	v_add_u32_e32 v8, -8, v8
	s_add_i32 s21, s21, 16
	v_cmp_eq_u32_e32 vcc, 0, v8
	v_add_u32_e32 v3, 0x1000, v3
	v_mov_b32_e32 v4, s21
	s_or_b64 s[16:17], vcc, s[16:17]
	v_add_u32_e32 v2, 0x1000, v2
	s_waitcnt vmcnt(14)
	ds_write2st64_b32 v9, v1, v28 offset1:4
	s_waitcnt vmcnt(12)
	ds_write2st64_b32 v9, v29, v30 offset0:8 offset1:12
	s_waitcnt vmcnt(10)
	ds_write2st64_b32 v9, v26, v27 offset0:16 offset1:20
	;; [unrolled: 2-line block ×7, first 2 shown]
	v_add_u32_e32 v9, 0x4000, v9
	s_andn2_b64 exec, exec, s[16:17]
	s_cbranch_execnz .LBB35_4
; %bb.5:
	s_or_b64 exec, exec, s[16:17]
.LBB35_6:
	s_or_b64 exec, exec, s[12:13]
	v_and_b32_e32 v1, 7, v7
	v_cmp_ne_u32_e32 vcc, 0, v1
	s_and_saveexec_b64 s[12:13], vcc
	s_cbranch_execz .LBB35_9
; %bb.7:
	v_lshlrev_b32_e32 v5, 2, v0
	v_lshl_or_b32 v4, v4, 10, v5
	v_add_u32_e32 v7, 0, v4
	s_mov_b64 s[16:17], 0
	v_mov_b32_e32 v5, 0
.LBB35_8:                               ; =>This Inner Loop Header: Depth=1
	v_mov_b32_e32 v4, v2
	v_lshl_add_u64 v[8:9], v[4:5], 2, s[6:7]
	v_mov_b32_e32 v4, v3
	v_lshl_add_u64 v[10:11], v[4:5], 2, s[6:7]
	global_load_dword v4, v[8:9], off
	global_load_dword v12, v[10:11], off
	v_add_u32_e32 v1, -1, v1
	v_cmp_eq_u32_e32 vcc, 0, v1
	v_add_u32_e32 v2, 0x200, v2
	v_add_u32_e32 v3, 0x200, v3
	s_or_b64 s[16:17], vcc, s[16:17]
	s_waitcnt vmcnt(0)
	ds_write2st64_b32 v7, v4, v12 offset1:4
	v_add_u32_e32 v7, 0x800, v7
	s_andn2_b64 exec, exec, s[16:17]
	s_cbranch_execnz .LBB35_8
.LBB35_9:
	s_or_b64 exec, exec, s[12:13]
	v_add_u32_e32 v1, 1, v6
	v_and_b32_e32 v3, 0x1fffffe, v1
	v_cmp_ne_u32_e32 vcc, v1, v3
	v_lshl_or_b32 v2, v3, 8, v0
	s_orn2_b64 s[6:7], vcc, exec
.LBB35_10:
	s_or_b64 exec, exec, s[4:5]
	s_and_b64 exec, exec, s[6:7]
	s_cbranch_execz .LBB35_13
; %bb.11:
	s_lshl_b64 s[4:5], s[2:3], 3
	s_add_u32 s4, s10, s4
	v_mov_b32_e32 v3, 0
	s_addc_u32 s5, s11, s5
	v_lshl_add_u64 v[4:5], v[2:3], 2, s[4:5]
	v_lshl_add_u32 v1, v2, 2, 0
	s_mov_b64 s[4:5], 0
	s_mov_b64 s[6:7], 0x400
.LBB35_12:                              ; =>This Inner Loop Header: Depth=1
	global_load_dword v3, v[4:5], off
	v_add_u32_e32 v2, 0x100, v2
	v_cmp_le_i32_e32 vcc, s20, v2
	v_lshl_add_u64 v[4:5], v[4:5], 0, s[6:7]
	s_or_b64 s[4:5], vcc, s[4:5]
	s_waitcnt vmcnt(0)
	ds_write_b32 v1, v3
	v_add_u32_e32 v1, 0x400, v1
	s_andn2_b64 exec, exec, s[4:5]
	s_cbranch_execnz .LBB35_12
.LBB35_13:
	s_or_b64 exec, exec, s[0:1]
	v_mov_b32_e32 v1, 0
	s_waitcnt lgkmcnt(0)
	s_barrier
	ds_read_b32 v1, v1
	s_cmp_lt_i32 s19, 2
	s_cbranch_scc1 .LBB35_21
; %bb.14:
	s_cmp_eq_u32 s19, 2
	s_cbranch_scc1 .LBB35_18
; %bb.15:
	s_add_i32 s3, s19, -1
	s_and_b32 s4, s3, -2
	s_add_i32 s6, 0, 8
	s_mov_b32 s5, 2
	s_waitcnt lgkmcnt(0)
	v_mov_b32_e32 v4, v1
.LBB35_16:                              ; =>This Inner Loop Header: Depth=1
	v_mov_b32_e32 v2, v1
	v_mov_b32_e32 v1, s6
	;; [unrolled: 1-line block ×3, first 2 shown]
	ds_read2_b32 v[4:5], v1 offset1:2
	s_cmp_lg_u32 s4, s5
	s_cselect_b64 s[10:11], -1, 0
	v_max_f32_e32 v1, v3, v3
	v_max_f32_e32 v6, v2, v2
	s_waitcnt lgkmcnt(0)
	v_cmp_u_f32_e32 vcc, v5, v5
	v_max_f32_e32 v7, v5, v5
	v_max_f32_e32 v8, v4, v4
	v_cndmask_b32_e64 v5, 0, 1, vcc
	v_cmp_u_f32_e32 vcc, v4, v4
	v_readfirstlane_b32 s0, v5
	s_lshl_b32 s0, s0, 1
	v_cndmask_b32_e64 v9, 0, 1, vcc
	v_max_f32_e32 v4, v1, v7
	v_readfirstlane_b32 s1, v9
	s_or_b32 s0, s1, s0
	s_and_b32 s7, s0, 3
	s_cmp_lg_u32 s7, 0
	s_cselect_b64 s[0:1], -1, 0
	s_cmp_eq_u32 s7, 0
	s_cselect_b64 s[12:13], -1, 0
	s_and_b64 s[10:11], s[12:13], s[10:11]
	v_max_f32_e32 v1, v6, v8
	s_add_i32 s5, s5, 2
	s_add_i32 s6, s6, 16
	s_and_b64 vcc, exec, s[10:11]
	s_cbranch_vccnz .LBB35_16
; %bb.17:
	s_add_i32 s5, s5, -4
	s_and_b64 s[6:7], s[0:1], exec
	s_cselect_b32 s5, s5, s3
	s_or_b32 s5, s5, 1
	v_cndmask_b32_e64 v1, v1, v2, s[0:1]
	v_cndmask_b32_e64 v2, v4, v3, s[0:1]
	s_cmp_lg_u32 s3, s4
	v_max_f32_e32 v2, v2, v2
	v_max_f32_e32 v1, v1, v1
	s_cselect_b64 s[6:7], -1, 0
	v_max_f32_e32 v1, v1, v2
	s_or_b64 s[0:1], s[6:7], s[0:1]
	s_and_b64 vcc, exec, s[0:1]
	s_cbranch_vccnz .LBB35_19
	s_branch .LBB35_21
.LBB35_18:
	s_mov_b32 s5, 1
	s_cbranch_execz .LBB35_21
.LBB35_19:
	s_lshl_b32 s1, s5, 3
	s_sub_i32 s0, s19, s5
	s_add_i32 s1, s1, 0
.LBB35_20:                              ; =>This Inner Loop Header: Depth=1
	v_mov_b32_e32 v2, s1
	ds_read_b32 v2, v2
	s_waitcnt lgkmcnt(1)
	v_max_f32_e32 v1, v1, v1
	s_add_i32 s0, s0, -1
	s_add_i32 s1, s1, 8
	s_cmp_eq_u32 s0, 0
	s_waitcnt lgkmcnt(0)
	v_max_f32_e32 v2, v2, v2
	v_max_f32_e32 v1, v1, v2
	s_cbranch_scc0 .LBB35_20
.LBB35_21:
	s_cmp_lt_i32 s19, 1
	s_cbranch_scc1 .LBB35_26
; %bb.22:
	s_lshl_b32 s0, s2, 8
	s_ashr_i32 s1, s0, 31
	s_lshl_b64 s[0:1], s[0:1], 2
	s_add_u32 s16, s8, s0
	s_addc_u32 s17, s9, s1
	s_cmp_lt_u32 s19, 8
	s_cbranch_scc1 .LBB35_27
; %bb.23:
	v_mov_b32_e32 v7, 0
	s_and_b32 s20, s19, 0x7ffffff8
	v_or_b32_e32 v4, 0x700, v0
	s_mov_b32 s21, 0
	s_mov_b32 s22, 0x3fb8aa3b
	;; [unrolled: 1-line block ×4, first 2 shown]
	v_mov_b32_e32 v8, 0x7f800000
	s_mov_b32 s25, 0
	v_mov_b32_e32 v2, v7
	v_mov_b32_e32 v3, v7
.LBB35_24:                              ; =>This Inner Loop Header: Depth=1
	v_add_u32_e32 v6, 0xfffff900, v4
	v_lshl_add_u64 v[26:27], v[6:7], 2, s[16:17]
	v_add_u32_e32 v6, 0xfffffa00, v4
	v_mov_b32_e32 v9, s21
	v_lshl_add_u64 v[30:31], v[6:7], 2, s[16:17]
	v_add_u32_e32 v6, 0xfffffb00, v4
	ds_read2_b64 v[10:13], v9 offset1:1
	ds_read2_b64 v[14:17], v9 offset0:2 offset1:3
	ds_read2_b64 v[18:21], v9 offset0:4 offset1:5
	;; [unrolled: 1-line block ×3, first 2 shown]
	global_load_dword v33, v[26:27], off
	global_load_dword v35, v[30:31], off
	v_lshl_add_u64 v[26:27], v[6:7], 2, s[16:17]
	v_add_u32_e32 v6, 0xfffffc00, v4
	v_lshl_add_u64 v[30:31], v[6:7], 2, s[16:17]
	v_add_u32_e32 v6, 0xfffffd00, v4
	global_load_dword v37, v[26:27], off
	global_load_dword v39, v[30:31], off
	v_lshl_add_u64 v[26:27], v[6:7], 2, s[16:17]
	v_add_u32_e32 v6, 0xfffffe00, v4
	s_waitcnt lgkmcnt(3)
	v_mov_b32_e32 v32, v11
	v_sub_f32_e32 v9, v12, v1
	v_mov_b32_e32 v34, v13
	global_load_dword v11, v[26:27], off
	v_lshl_add_u64 v[12:13], v[6:7], 2, s[16:17]
	s_waitcnt lgkmcnt(2)
	v_mov_b32_e32 v36, v15
	v_add_u32_e32 v6, 0xffffff00, v4
	global_load_dword v15, v[12:13], off
	v_mov_b32_e32 v5, v7
	v_lshl_add_u64 v[12:13], v[6:7], 2, s[16:17]
	v_lshl_add_u64 v[28:29], v[4:5], 2, s[16:17]
	v_sub_f32_e32 v5, v10, v1
	v_mov_b32_e32 v38, v17
	s_waitcnt lgkmcnt(1)
	v_mov_b32_e32 v10, v19
	global_load_dword v17, v[12:13], off
	global_load_dword v19, v[28:29], off
	v_sub_f32_e32 v30, v14, v1
	v_sub_f32_e32 v31, v16, v1
	;; [unrolled: 1-line block ×3, first 2 shown]
	v_mov_b32_e32 v14, v21
	s_waitcnt lgkmcnt(0)
	v_sub_f32_e32 v21, v22, v1
	v_mov_b32_e32 v16, v23
	v_sub_f32_e32 v22, v24, v1
	v_mul_f32_e32 v23, 0x3fb8aa3b, v5
	v_mov_b32_e32 v18, v25
	v_mul_f32_e32 v24, 0x3fb8aa3b, v9
	v_mul_f32_e32 v25, 0x3fb8aa3b, v30
	;; [unrolled: 1-line block ×5, first 2 shown]
	v_fma_f32 v43, v5, s22, -v23
	v_rndne_f32_e32 v44, v23
	v_sub_f32_e32 v20, v20, v1
	v_fma_f32 v45, v9, s22, -v24
	v_rndne_f32_e32 v46, v24
	v_fma_f32 v47, v30, s22, -v25
	v_rndne_f32_e32 v48, v25
	;; [unrolled: 2-line block ×5, first 2 shown]
	v_fmac_f32_e32 v43, 0x32a5705f, v5
	v_sub_f32_e32 v12, v23, v44
	v_mul_f32_e32 v26, 0x3fb8aa3b, v31
	v_mul_f32_e32 v41, 0x3fb8aa3b, v20
	v_fmac_f32_e32 v45, 0x32a5705f, v9
	v_sub_f32_e32 v23, v24, v46
	v_fmac_f32_e32 v47, 0x32a5705f, v30
	v_sub_f32_e32 v25, v25, v48
	;; [unrolled: 2-line block ×5, first 2 shown]
	v_add_f32_e32 v12, v12, v43
	v_fma_f32 v49, v31, s22, -v26
	v_rndne_f32_e32 v50, v26
	v_fma_f32 v53, v20, s22, -v41
	v_rndne_f32_e32 v54, v41
	v_cvt_i32_f32_e32 v13, v44
	v_add_f32_e32 v23, v23, v45
	v_add_f32_e32 v25, v25, v47
	;; [unrolled: 1-line block ×5, first 2 shown]
	v_exp_f32_e32 v12, v12
	v_cvt_i32_f32_e32 v24, v46
	v_cvt_i32_f32_e32 v28, v48
	v_fmac_f32_e32 v49, 0x32a5705f, v31
	v_sub_f32_e32 v26, v26, v50
	v_cvt_i32_f32_e32 v29, v50
	v_cvt_i32_f32_e32 v44, v52
	v_fmac_f32_e32 v53, 0x32a5705f, v20
	v_sub_f32_e32 v41, v41, v54
	v_cvt_i32_f32_e32 v48, v56
	v_cvt_i32_f32_e32 v50, v58
	v_exp_f32_e32 v23, v23
	v_exp_f32_e32 v25, v25
	;; [unrolled: 1-line block ×5, first 2 shown]
	v_add_f32_e32 v26, v26, v49
	v_add_f32_e32 v41, v41, v53
	v_cvt_i32_f32_e32 v46, v54
	v_exp_f32_e32 v26, v26
	v_exp_f32_e32 v41, v41
	v_ldexp_f32 v12, v12, v13
	v_cmp_ngt_f32_e64 s[12:13], s23, v5
	v_ldexp_f32 v13, v23, v24
	v_cmp_ngt_f32_e32 vcc, s23, v9
	v_ldexp_f32 v23, v25, v28
	v_ldexp_f32 v25, v27, v44
	;; [unrolled: 1-line block ×3, first 2 shown]
	v_cmp_ngt_f32_e64 s[8:9], s23, v21
	v_ldexp_f32 v6, v6, v50
	v_cmp_ngt_f32_e64 s[10:11], s23, v22
	v_cndmask_b32_e64 v12, 0, v12, s[12:13]
	v_cmp_nlt_f32_e64 s[12:13], s24, v5
	v_cmp_ngt_f32_e64 s[0:1], s23, v30
	v_cndmask_b32_e32 v13, 0, v13, vcc
	v_cmp_nlt_f32_e32 vcc, s24, v9
	v_cndmask_b32_e64 v27, 0, v27, s[8:9]
	v_cmp_nlt_f32_e64 s[8:9], s24, v21
	v_cndmask_b32_e64 v21, 0, v6, s[10:11]
	v_cndmask_b32_e64 v6, v8, v12, s[12:13]
	v_ldexp_f32 v24, v26, v29
	v_cmp_ngt_f32_e64 s[2:3], s23, v31
	v_cmp_ngt_f32_e64 s[4:5], s23, v40
	v_ldexp_f32 v26, v41, v46
	v_cmp_ngt_f32_e64 s[6:7], s23, v20
	v_cndmask_b32_e64 v9, 0, v23, s[0:1]
	v_cmp_nlt_f32_e64 s[0:1], s24, v30
	v_cndmask_b32_e32 v12, v8, v13, vcc
	s_waitcnt vmcnt(7)
	v_pk_fma_f32 v[2:3], v[6:7], v[32:33], v[2:3] op_sel_hi:[0,1,1]
	v_cndmask_b32_e64 v23, 0, v24, s[2:3]
	v_cmp_nlt_f32_e64 s[2:3], s24, v31
	v_cndmask_b32_e64 v24, 0, v25, s[4:5]
	v_cndmask_b32_e64 v25, 0, v26, s[6:7]
	v_cmp_nlt_f32_e64 s[6:7], s24, v20
	v_cndmask_b32_e64 v20, v8, v9, s[0:1]
	s_waitcnt vmcnt(6)
	v_pk_fma_f32 v[2:3], v[12:13], v[34:35], v[2:3] op_sel_hi:[0,1,1]
	v_cmp_nlt_f32_e64 s[4:5], s24, v40
	v_cmp_nlt_f32_e64 s[10:11], s24, v22
	v_cndmask_b32_e64 v22, v8, v23, s[2:3]
	s_waitcnt vmcnt(5)
	v_pk_fma_f32 v[2:3], v[20:21], v[36:37], v[2:3] op_sel_hi:[0,1,1]
	v_cndmask_b32_e64 v24, v8, v24, s[4:5]
	s_waitcnt vmcnt(4)
	v_pk_fma_f32 v[2:3], v[22:23], v[38:39], v[2:3] op_sel_hi:[0,1,1]
	v_cndmask_b32_e64 v26, v8, v25, s[6:7]
	s_waitcnt vmcnt(3)
	v_pk_fma_f32 v[2:3], v[24:25], v[10:11], v[2:3] op_sel_hi:[0,1,1]
	v_cndmask_b32_e64 v28, v8, v27, s[8:9]
	s_waitcnt vmcnt(2)
	v_pk_fma_f32 v[2:3], v[26:27], v[14:15], v[2:3] op_sel_hi:[0,1,1]
	s_add_i32 s25, s25, 8
	s_add_i32 s21, s21, 64
	v_cndmask_b32_e64 v30, v8, v21, s[10:11]
	s_waitcnt vmcnt(1)
	v_pk_fma_f32 v[2:3], v[28:29], v[16:17], v[2:3] op_sel_hi:[0,1,1]
	s_cmp_eq_u32 s20, s25
	v_add_u32_e32 v4, 0x800, v4
	s_waitcnt vmcnt(0)
	v_pk_fma_f32 v[2:3], v[30:31], v[18:19], v[2:3] op_sel_hi:[0,1,1]
	s_cbranch_scc0 .LBB35_24
; %bb.25:
	s_and_b32 s0, s19, 7
	s_cmp_eq_u32 s0, 0
	s_cbranch_scc0 .LBB35_28
	s_branch .LBB35_30
.LBB35_26:
	s_waitcnt lgkmcnt(0)
	v_mov_b32_e32 v1, 0x7fc00000
	s_branch .LBB35_31
.LBB35_27:
	v_mov_b32_e32 v2, 0
	s_mov_b32 s20, 0
	v_mov_b32_e32 v3, v2
	s_and_b32 s0, s19, 7
	s_cmp_eq_u32 s0, 0
	s_cbranch_scc1 .LBB35_30
.LBB35_28:
	s_lshl_b32 s1, s20, 3
	v_lshl_or_b32 v4, s20, 8, v0
	s_add_i32 s1, s1, 0
	s_mov_b32 s2, 0x3fb8aa3b
	s_mov_b32 s3, 0xc2ce8ed0
	;; [unrolled: 1-line block ×3, first 2 shown]
	v_mov_b32_e32 v6, 0x7f800000
	v_mov_b32_e32 v5, 0
.LBB35_29:                              ; =>This Inner Loop Header: Depth=1
	v_lshl_add_u64 v[8:9], v[4:5], 2, s[16:17]
	global_load_dword v9, v[8:9], off
	v_mov_b32_e32 v7, s1
	ds_read_b64 v[10:11], v7
	s_add_i32 s1, s1, 8
	s_add_i32 s0, s0, -1
	v_add_u32_e32 v4, 0x100, v4
	s_cmp_lg_u32 s0, 0
	s_waitcnt lgkmcnt(0)
	v_sub_f32_e32 v7, v10, v1
	v_mul_f32_e32 v8, 0x3fb8aa3b, v7
	v_fma_f32 v10, v7, s2, -v8
	v_rndne_f32_e32 v12, v8
	v_fmac_f32_e32 v10, 0x32a5705f, v7
	v_sub_f32_e32 v8, v8, v12
	v_add_f32_e32 v8, v8, v10
	v_cvt_i32_f32_e32 v12, v12
	v_exp_f32_e32 v10, v8
	v_cmp_ngt_f32_e32 vcc, s3, v7
	v_mov_b32_e32 v8, v11
	v_ldexp_f32 v10, v10, v12
	v_cndmask_b32_e32 v10, 0, v10, vcc
	v_cmp_nlt_f32_e32 vcc, s4, v7
	s_nop 1
	v_cndmask_b32_e32 v10, v6, v10, vcc
	s_waitcnt vmcnt(0)
	v_pk_fma_f32 v[2:3], v[10:11], v[8:9], v[2:3] op_sel_hi:[0,1,1]
	s_cbranch_scc1 .LBB35_29
.LBB35_30:
	s_waitcnt lgkmcnt(0)
	v_div_scale_f32 v1, s[0:1], v2, v2, v3
	v_rcp_f32_e32 v4, v1
	v_div_scale_f32 v5, vcc, v3, v2, v3
	v_fma_f32 v6, -v1, v4, 1.0
	v_fmac_f32_e32 v4, v6, v4
	v_mul_f32_e32 v6, v5, v4
	v_fma_f32 v7, -v1, v6, v5
	v_fmac_f32_e32 v6, v7, v4
	v_fma_f32 v1, -v1, v6, v5
	v_div_fmas_f32 v1, v1, v4, v6
	v_div_fixup_f32 v1, v1, v2, v3
.LBB35_31:
	s_lshl_b32 s0, s18, 8
	s_ashr_i32 s1, s0, 31
	s_lshl_b64 s[0:1], s[0:1], 2
	s_add_u32 s0, s14, s0
	s_addc_u32 s1, s15, s1
	v_lshlrev_b32_e32 v0, 2, v0
	global_store_dword v0, v1, s[0:1]
	s_endpgm
	.section	.rodata,"a",@progbits
	.p2align	6, 0x0
	.amdhsa_kernel _ZL26flash_attn_combine_resultsILi256EEvPKfPK15HIP_vector_typeIfLj2EEPfi
		.amdhsa_group_segment_fixed_size 0
		.amdhsa_private_segment_fixed_size 0
		.amdhsa_kernarg_size 288
		.amdhsa_user_sgpr_count 2
		.amdhsa_user_sgpr_dispatch_ptr 0
		.amdhsa_user_sgpr_queue_ptr 0
		.amdhsa_user_sgpr_kernarg_segment_ptr 1
		.amdhsa_user_sgpr_dispatch_id 0
		.amdhsa_user_sgpr_kernarg_preload_length 0
		.amdhsa_user_sgpr_kernarg_preload_offset 0
		.amdhsa_user_sgpr_private_segment_size 0
		.amdhsa_uses_dynamic_stack 0
		.amdhsa_enable_private_segment 0
		.amdhsa_system_sgpr_workgroup_id_x 1
		.amdhsa_system_sgpr_workgroup_id_y 1
		.amdhsa_system_sgpr_workgroup_id_z 1
		.amdhsa_system_sgpr_workgroup_info 0
		.amdhsa_system_vgpr_workitem_id 0
		.amdhsa_next_free_vgpr 59
		.amdhsa_next_free_sgpr 26
		.amdhsa_accum_offset 60
		.amdhsa_reserve_vcc 1
		.amdhsa_float_round_mode_32 0
		.amdhsa_float_round_mode_16_64 0
		.amdhsa_float_denorm_mode_32 3
		.amdhsa_float_denorm_mode_16_64 3
		.amdhsa_dx10_clamp 1
		.amdhsa_ieee_mode 1
		.amdhsa_fp16_overflow 0
		.amdhsa_tg_split 0
		.amdhsa_exception_fp_ieee_invalid_op 0
		.amdhsa_exception_fp_denorm_src 0
		.amdhsa_exception_fp_ieee_div_zero 0
		.amdhsa_exception_fp_ieee_overflow 0
		.amdhsa_exception_fp_ieee_underflow 0
		.amdhsa_exception_fp_ieee_inexact 0
		.amdhsa_exception_int_div_zero 0
	.end_amdhsa_kernel
	.section	.text._ZL26flash_attn_combine_resultsILi256EEvPKfPK15HIP_vector_typeIfLj2EEPfi,"axG",@progbits,_ZL26flash_attn_combine_resultsILi256EEvPKfPK15HIP_vector_typeIfLj2EEPfi,comdat
.Lfunc_end35:
	.size	_ZL26flash_attn_combine_resultsILi256EEvPKfPK15HIP_vector_typeIfLj2EEPfi, .Lfunc_end35-_ZL26flash_attn_combine_resultsILi256EEvPKfPK15HIP_vector_typeIfLj2EEPfi
                                        ; -- End function
	.set _ZL26flash_attn_combine_resultsILi256EEvPKfPK15HIP_vector_typeIfLj2EEPfi.num_vgpr, 59
	.set _ZL26flash_attn_combine_resultsILi256EEvPKfPK15HIP_vector_typeIfLj2EEPfi.num_agpr, 0
	.set _ZL26flash_attn_combine_resultsILi256EEvPKfPK15HIP_vector_typeIfLj2EEPfi.numbered_sgpr, 26
	.set _ZL26flash_attn_combine_resultsILi256EEvPKfPK15HIP_vector_typeIfLj2EEPfi.num_named_barrier, 0
	.set _ZL26flash_attn_combine_resultsILi256EEvPKfPK15HIP_vector_typeIfLj2EEPfi.private_seg_size, 0
	.set _ZL26flash_attn_combine_resultsILi256EEvPKfPK15HIP_vector_typeIfLj2EEPfi.uses_vcc, 1
	.set _ZL26flash_attn_combine_resultsILi256EEvPKfPK15HIP_vector_typeIfLj2EEPfi.uses_flat_scratch, 0
	.set _ZL26flash_attn_combine_resultsILi256EEvPKfPK15HIP_vector_typeIfLj2EEPfi.has_dyn_sized_stack, 0
	.set _ZL26flash_attn_combine_resultsILi256EEvPKfPK15HIP_vector_typeIfLj2EEPfi.has_recursion, 0
	.set _ZL26flash_attn_combine_resultsILi256EEvPKfPK15HIP_vector_typeIfLj2EEPfi.has_indirect_call, 0
	.section	.AMDGPU.csdata,"",@progbits
; Kernel info:
; codeLenInByte = 2924
; TotalNumSgprs: 32
; NumVgprs: 59
; NumAgprs: 0
; TotalNumVgprs: 59
; ScratchSize: 0
; MemoryBound: 0
; FloatMode: 240
; IeeeMode: 1
; LDSByteSize: 0 bytes/workgroup (compile time only)
; SGPRBlocks: 3
; VGPRBlocks: 7
; NumSGPRsForWavesPerEU: 32
; NumVGPRsForWavesPerEU: 59
; AccumOffset: 60
; Occupancy: 8
; WaveLimiterHint : 0
; COMPUTE_PGM_RSRC2:SCRATCH_EN: 0
; COMPUTE_PGM_RSRC2:USER_SGPR: 2
; COMPUTE_PGM_RSRC2:TRAP_HANDLER: 0
; COMPUTE_PGM_RSRC2:TGID_X_EN: 1
; COMPUTE_PGM_RSRC2:TGID_Y_EN: 1
; COMPUTE_PGM_RSRC2:TGID_Z_EN: 1
; COMPUTE_PGM_RSRC2:TIDIG_COMP_CNT: 0
; COMPUTE_PGM_RSRC3_GFX90A:ACCUM_OFFSET: 14
; COMPUTE_PGM_RSRC3_GFX90A:TG_SPLIT: 0
	.section	.text._ZL18flash_attn_ext_f16ILi512ELi512ELi8ELi8ELb0ELb0EEvPKcS1_S1_S1_S1_PKiPfP15HIP_vector_typeIfLj2EEffffjfiS5_IjLj3EEiiiiiiiiiiiliiliiiiil,"axG",@progbits,_ZL18flash_attn_ext_f16ILi512ELi512ELi8ELi8ELb0ELb0EEvPKcS1_S1_S1_S1_PKiPfP15HIP_vector_typeIfLj2EEffffjfiS5_IjLj3EEiiiiiiiiiiiliiliiiiil,comdat
	.globl	_ZL18flash_attn_ext_f16ILi512ELi512ELi8ELi8ELb0ELb0EEvPKcS1_S1_S1_S1_PKiPfP15HIP_vector_typeIfLj2EEffffjfiS5_IjLj3EEiiiiiiiiiiiliiliiiiil ; -- Begin function _ZL18flash_attn_ext_f16ILi512ELi512ELi8ELi8ELb0ELb0EEvPKcS1_S1_S1_S1_PKiPfP15HIP_vector_typeIfLj2EEffffjfiS5_IjLj3EEiiiiiiiiiiiliiliiiiil
	.p2align	8
	.type	_ZL18flash_attn_ext_f16ILi512ELi512ELi8ELi8ELb0ELb0EEvPKcS1_S1_S1_S1_PKiPfP15HIP_vector_typeIfLj2EEffffjfiS5_IjLj3EEiiiiiiiiiiiliiliiiiil,@function
_ZL18flash_attn_ext_f16ILi512ELi512ELi8ELi8ELb0ELb0EEvPKcS1_S1_S1_S1_PKiPfP15HIP_vector_typeIfLj2EEffffjfiS5_IjLj3EEiiiiiiiiiiiliiliiiiil: ; @_ZL18flash_attn_ext_f16ILi512ELi512ELi8ELi8ELb0ELb0EEvPKcS1_S1_S1_S1_PKiPfP15HIP_vector_typeIfLj2EEffffjfiS5_IjLj3EEiiiiiiiiiiiliiliiiiil
; %bb.0:
	s_add_u32 s8, s0, 0xd0
	s_addc_u32 s9, s1, 0
	s_getpc_b64 s[0:1]
	s_add_u32 s0, s0, _ZL14no_device_codePKciS0_iS0_@rel32@lo+4
	s_addc_u32 s1, s1, _ZL14no_device_codePKciS0_iS0_@rel32@hi+12
	v_mov_b32_e32 v0, 0x6ea
	s_mov_b32 s32, 0
	s_swappc_b64 s[30:31], s[0:1]
	.section	.rodata,"a",@progbits
	.p2align	6, 0x0
	.amdhsa_kernel _ZL18flash_attn_ext_f16ILi512ELi512ELi8ELi8ELb0ELb0EEvPKcS1_S1_S1_S1_PKiPfP15HIP_vector_typeIfLj2EEffffjfiS5_IjLj3EEiiiiiiiiiiiliiliiiiil
		.amdhsa_group_segment_fixed_size 0
		.amdhsa_private_segment_fixed_size 16
		.amdhsa_kernarg_size 464
		.amdhsa_user_sgpr_count 2
		.amdhsa_user_sgpr_dispatch_ptr 0
		.amdhsa_user_sgpr_queue_ptr 0
		.amdhsa_user_sgpr_kernarg_segment_ptr 1
		.amdhsa_user_sgpr_dispatch_id 0
		.amdhsa_user_sgpr_kernarg_preload_length 0
		.amdhsa_user_sgpr_kernarg_preload_offset 0
		.amdhsa_user_sgpr_private_segment_size 0
		.amdhsa_uses_dynamic_stack 0
		.amdhsa_enable_private_segment 1
		.amdhsa_system_sgpr_workgroup_id_x 1
		.amdhsa_system_sgpr_workgroup_id_y 0
		.amdhsa_system_sgpr_workgroup_id_z 0
		.amdhsa_system_sgpr_workgroup_info 0
		.amdhsa_system_vgpr_workitem_id 0
		.amdhsa_next_free_vgpr 50
		.amdhsa_next_free_sgpr 34
		.amdhsa_accum_offset 52
		.amdhsa_reserve_vcc 1
		.amdhsa_float_round_mode_32 0
		.amdhsa_float_round_mode_16_64 0
		.amdhsa_float_denorm_mode_32 3
		.amdhsa_float_denorm_mode_16_64 3
		.amdhsa_dx10_clamp 1
		.amdhsa_ieee_mode 1
		.amdhsa_fp16_overflow 0
		.amdhsa_tg_split 0
		.amdhsa_exception_fp_ieee_invalid_op 0
		.amdhsa_exception_fp_denorm_src 0
		.amdhsa_exception_fp_ieee_div_zero 0
		.amdhsa_exception_fp_ieee_overflow 0
		.amdhsa_exception_fp_ieee_underflow 0
		.amdhsa_exception_fp_ieee_inexact 0
		.amdhsa_exception_int_div_zero 0
	.end_amdhsa_kernel
	.section	.text._ZL18flash_attn_ext_f16ILi512ELi512ELi8ELi8ELb0ELb0EEvPKcS1_S1_S1_S1_PKiPfP15HIP_vector_typeIfLj2EEffffjfiS5_IjLj3EEiiiiiiiiiiiliiliiiiil,"axG",@progbits,_ZL18flash_attn_ext_f16ILi512ELi512ELi8ELi8ELb0ELb0EEvPKcS1_S1_S1_S1_PKiPfP15HIP_vector_typeIfLj2EEffffjfiS5_IjLj3EEiiiiiiiiiiiliiliiiiil,comdat
.Lfunc_end36:
	.size	_ZL18flash_attn_ext_f16ILi512ELi512ELi8ELi8ELb0ELb0EEvPKcS1_S1_S1_S1_PKiPfP15HIP_vector_typeIfLj2EEffffjfiS5_IjLj3EEiiiiiiiiiiiliiliiiiil, .Lfunc_end36-_ZL18flash_attn_ext_f16ILi512ELi512ELi8ELi8ELb0ELb0EEvPKcS1_S1_S1_S1_PKiPfP15HIP_vector_typeIfLj2EEffffjfiS5_IjLj3EEiiiiiiiiiiiliiliiiiil
                                        ; -- End function
	.set _ZL18flash_attn_ext_f16ILi512ELi512ELi8ELi8ELb0ELb0EEvPKcS1_S1_S1_S1_PKiPfP15HIP_vector_typeIfLj2EEffffjfiS5_IjLj3EEiiiiiiiiiiiliiliiiiil.num_vgpr, max(1, .L_ZL14no_device_codePKciS0_iS0_.num_vgpr)
	.set _ZL18flash_attn_ext_f16ILi512ELi512ELi8ELi8ELb0ELb0EEvPKcS1_S1_S1_S1_PKiPfP15HIP_vector_typeIfLj2EEffffjfiS5_IjLj3EEiiiiiiiiiiiliiliiiiil.num_agpr, max(0, .L_ZL14no_device_codePKciS0_iS0_.num_agpr)
	.set _ZL18flash_attn_ext_f16ILi512ELi512ELi8ELi8ELb0ELb0EEvPKcS1_S1_S1_S1_PKiPfP15HIP_vector_typeIfLj2EEffffjfiS5_IjLj3EEiiiiiiiiiiiliiliiiiil.numbered_sgpr, max(33, .L_ZL14no_device_codePKciS0_iS0_.numbered_sgpr)
	.set _ZL18flash_attn_ext_f16ILi512ELi512ELi8ELi8ELb0ELb0EEvPKcS1_S1_S1_S1_PKiPfP15HIP_vector_typeIfLj2EEffffjfiS5_IjLj3EEiiiiiiiiiiiliiliiiiil.num_named_barrier, max(0, .L_ZL14no_device_codePKciS0_iS0_.num_named_barrier)
	.set _ZL18flash_attn_ext_f16ILi512ELi512ELi8ELi8ELb0ELb0EEvPKcS1_S1_S1_S1_PKiPfP15HIP_vector_typeIfLj2EEffffjfiS5_IjLj3EEiiiiiiiiiiiliiliiiiil.private_seg_size, 0+max(.L_ZL14no_device_codePKciS0_iS0_.private_seg_size)
	.set _ZL18flash_attn_ext_f16ILi512ELi512ELi8ELi8ELb0ELb0EEvPKcS1_S1_S1_S1_PKiPfP15HIP_vector_typeIfLj2EEffffjfiS5_IjLj3EEiiiiiiiiiiiliiliiiiil.uses_vcc, or(1, .L_ZL14no_device_codePKciS0_iS0_.uses_vcc)
	.set _ZL18flash_attn_ext_f16ILi512ELi512ELi8ELi8ELb0ELb0EEvPKcS1_S1_S1_S1_PKiPfP15HIP_vector_typeIfLj2EEffffjfiS5_IjLj3EEiiiiiiiiiiiliiliiiiil.uses_flat_scratch, or(0, .L_ZL14no_device_codePKciS0_iS0_.uses_flat_scratch)
	.set _ZL18flash_attn_ext_f16ILi512ELi512ELi8ELi8ELb0ELb0EEvPKcS1_S1_S1_S1_PKiPfP15HIP_vector_typeIfLj2EEffffjfiS5_IjLj3EEiiiiiiiiiiiliiliiiiil.has_dyn_sized_stack, or(0, .L_ZL14no_device_codePKciS0_iS0_.has_dyn_sized_stack)
	.set _ZL18flash_attn_ext_f16ILi512ELi512ELi8ELi8ELb0ELb0EEvPKcS1_S1_S1_S1_PKiPfP15HIP_vector_typeIfLj2EEffffjfiS5_IjLj3EEiiiiiiiiiiiliiliiiiil.has_recursion, or(0, .L_ZL14no_device_codePKciS0_iS0_.has_recursion)
	.set _ZL18flash_attn_ext_f16ILi512ELi512ELi8ELi8ELb0ELb0EEvPKcS1_S1_S1_S1_PKiPfP15HIP_vector_typeIfLj2EEffffjfiS5_IjLj3EEiiiiiiiiiiiliiliiiiil.has_indirect_call, or(0, .L_ZL14no_device_codePKciS0_iS0_.has_indirect_call)
	.section	.AMDGPU.csdata,"",@progbits
; Kernel info:
; codeLenInByte = 48
; TotalNumSgprs: 40
; NumVgprs: 50
; NumAgprs: 0
; TotalNumVgprs: 50
; ScratchSize: 16
; MemoryBound: 0
; FloatMode: 240
; IeeeMode: 1
; LDSByteSize: 0 bytes/workgroup (compile time only)
; SGPRBlocks: 4
; VGPRBlocks: 6
; NumSGPRsForWavesPerEU: 40
; NumVGPRsForWavesPerEU: 50
; AccumOffset: 52
; Occupancy: 8
; WaveLimiterHint : 1
; COMPUTE_PGM_RSRC2:SCRATCH_EN: 1
; COMPUTE_PGM_RSRC2:USER_SGPR: 2
; COMPUTE_PGM_RSRC2:TRAP_HANDLER: 0
; COMPUTE_PGM_RSRC2:TGID_X_EN: 1
; COMPUTE_PGM_RSRC2:TGID_Y_EN: 0
; COMPUTE_PGM_RSRC2:TGID_Z_EN: 0
; COMPUTE_PGM_RSRC2:TIDIG_COMP_CNT: 0
; COMPUTE_PGM_RSRC3_GFX90A:ACCUM_OFFSET: 12
; COMPUTE_PGM_RSRC3_GFX90A:TG_SPLIT: 0
	.section	.text._ZL18flash_attn_ext_f16ILi512ELi512ELi8ELi8ELb1ELb0EEvPKcS1_S1_S1_S1_PKiPfP15HIP_vector_typeIfLj2EEffffjfiS5_IjLj3EEiiiiiiiiiiiliiliiiiil,"axG",@progbits,_ZL18flash_attn_ext_f16ILi512ELi512ELi8ELi8ELb1ELb0EEvPKcS1_S1_S1_S1_PKiPfP15HIP_vector_typeIfLj2EEffffjfiS5_IjLj3EEiiiiiiiiiiiliiliiiiil,comdat
	.globl	_ZL18flash_attn_ext_f16ILi512ELi512ELi8ELi8ELb1ELb0EEvPKcS1_S1_S1_S1_PKiPfP15HIP_vector_typeIfLj2EEffffjfiS5_IjLj3EEiiiiiiiiiiiliiliiiiil ; -- Begin function _ZL18flash_attn_ext_f16ILi512ELi512ELi8ELi8ELb1ELb0EEvPKcS1_S1_S1_S1_PKiPfP15HIP_vector_typeIfLj2EEffffjfiS5_IjLj3EEiiiiiiiiiiiliiliiiiil
	.p2align	8
	.type	_ZL18flash_attn_ext_f16ILi512ELi512ELi8ELi8ELb1ELb0EEvPKcS1_S1_S1_S1_PKiPfP15HIP_vector_typeIfLj2EEffffjfiS5_IjLj3EEiiiiiiiiiiiliiliiiiil,@function
_ZL18flash_attn_ext_f16ILi512ELi512ELi8ELi8ELb1ELb0EEvPKcS1_S1_S1_S1_PKiPfP15HIP_vector_typeIfLj2EEffffjfiS5_IjLj3EEiiiiiiiiiiiliiliiiiil: ; @_ZL18flash_attn_ext_f16ILi512ELi512ELi8ELi8ELb1ELb0EEvPKcS1_S1_S1_S1_PKiPfP15HIP_vector_typeIfLj2EEffffjfiS5_IjLj3EEiiiiiiiiiiiliiliiiiil
; %bb.0:
	s_add_u32 s8, s0, 0xd0
	s_addc_u32 s9, s1, 0
	s_getpc_b64 s[0:1]
	s_add_u32 s0, s0, _ZL14no_device_codePKciS0_iS0_@rel32@lo+4
	s_addc_u32 s1, s1, _ZL14no_device_codePKciS0_iS0_@rel32@hi+12
	v_mov_b32_e32 v0, 0x6ea
	s_mov_b32 s32, 0
	s_swappc_b64 s[30:31], s[0:1]
	.section	.rodata,"a",@progbits
	.p2align	6, 0x0
	.amdhsa_kernel _ZL18flash_attn_ext_f16ILi512ELi512ELi8ELi8ELb1ELb0EEvPKcS1_S1_S1_S1_PKiPfP15HIP_vector_typeIfLj2EEffffjfiS5_IjLj3EEiiiiiiiiiiiliiliiiiil
		.amdhsa_group_segment_fixed_size 0
		.amdhsa_private_segment_fixed_size 16
		.amdhsa_kernarg_size 464
		.amdhsa_user_sgpr_count 2
		.amdhsa_user_sgpr_dispatch_ptr 0
		.amdhsa_user_sgpr_queue_ptr 0
		.amdhsa_user_sgpr_kernarg_segment_ptr 1
		.amdhsa_user_sgpr_dispatch_id 0
		.amdhsa_user_sgpr_kernarg_preload_length 0
		.amdhsa_user_sgpr_kernarg_preload_offset 0
		.amdhsa_user_sgpr_private_segment_size 0
		.amdhsa_uses_dynamic_stack 0
		.amdhsa_enable_private_segment 1
		.amdhsa_system_sgpr_workgroup_id_x 1
		.amdhsa_system_sgpr_workgroup_id_y 0
		.amdhsa_system_sgpr_workgroup_id_z 0
		.amdhsa_system_sgpr_workgroup_info 0
		.amdhsa_system_vgpr_workitem_id 0
		.amdhsa_next_free_vgpr 50
		.amdhsa_next_free_sgpr 34
		.amdhsa_accum_offset 52
		.amdhsa_reserve_vcc 1
		.amdhsa_float_round_mode_32 0
		.amdhsa_float_round_mode_16_64 0
		.amdhsa_float_denorm_mode_32 3
		.amdhsa_float_denorm_mode_16_64 3
		.amdhsa_dx10_clamp 1
		.amdhsa_ieee_mode 1
		.amdhsa_fp16_overflow 0
		.amdhsa_tg_split 0
		.amdhsa_exception_fp_ieee_invalid_op 0
		.amdhsa_exception_fp_denorm_src 0
		.amdhsa_exception_fp_ieee_div_zero 0
		.amdhsa_exception_fp_ieee_overflow 0
		.amdhsa_exception_fp_ieee_underflow 0
		.amdhsa_exception_fp_ieee_inexact 0
		.amdhsa_exception_int_div_zero 0
	.end_amdhsa_kernel
	.section	.text._ZL18flash_attn_ext_f16ILi512ELi512ELi8ELi8ELb1ELb0EEvPKcS1_S1_S1_S1_PKiPfP15HIP_vector_typeIfLj2EEffffjfiS5_IjLj3EEiiiiiiiiiiiliiliiiiil,"axG",@progbits,_ZL18flash_attn_ext_f16ILi512ELi512ELi8ELi8ELb1ELb0EEvPKcS1_S1_S1_S1_PKiPfP15HIP_vector_typeIfLj2EEffffjfiS5_IjLj3EEiiiiiiiiiiiliiliiiiil,comdat
.Lfunc_end37:
	.size	_ZL18flash_attn_ext_f16ILi512ELi512ELi8ELi8ELb1ELb0EEvPKcS1_S1_S1_S1_PKiPfP15HIP_vector_typeIfLj2EEffffjfiS5_IjLj3EEiiiiiiiiiiiliiliiiiil, .Lfunc_end37-_ZL18flash_attn_ext_f16ILi512ELi512ELi8ELi8ELb1ELb0EEvPKcS1_S1_S1_S1_PKiPfP15HIP_vector_typeIfLj2EEffffjfiS5_IjLj3EEiiiiiiiiiiiliiliiiiil
                                        ; -- End function
	.set _ZL18flash_attn_ext_f16ILi512ELi512ELi8ELi8ELb1ELb0EEvPKcS1_S1_S1_S1_PKiPfP15HIP_vector_typeIfLj2EEffffjfiS5_IjLj3EEiiiiiiiiiiiliiliiiiil.num_vgpr, max(1, .L_ZL14no_device_codePKciS0_iS0_.num_vgpr)
	.set _ZL18flash_attn_ext_f16ILi512ELi512ELi8ELi8ELb1ELb0EEvPKcS1_S1_S1_S1_PKiPfP15HIP_vector_typeIfLj2EEffffjfiS5_IjLj3EEiiiiiiiiiiiliiliiiiil.num_agpr, max(0, .L_ZL14no_device_codePKciS0_iS0_.num_agpr)
	.set _ZL18flash_attn_ext_f16ILi512ELi512ELi8ELi8ELb1ELb0EEvPKcS1_S1_S1_S1_PKiPfP15HIP_vector_typeIfLj2EEffffjfiS5_IjLj3EEiiiiiiiiiiiliiliiiiil.numbered_sgpr, max(33, .L_ZL14no_device_codePKciS0_iS0_.numbered_sgpr)
	.set _ZL18flash_attn_ext_f16ILi512ELi512ELi8ELi8ELb1ELb0EEvPKcS1_S1_S1_S1_PKiPfP15HIP_vector_typeIfLj2EEffffjfiS5_IjLj3EEiiiiiiiiiiiliiliiiiil.num_named_barrier, max(0, .L_ZL14no_device_codePKciS0_iS0_.num_named_barrier)
	.set _ZL18flash_attn_ext_f16ILi512ELi512ELi8ELi8ELb1ELb0EEvPKcS1_S1_S1_S1_PKiPfP15HIP_vector_typeIfLj2EEffffjfiS5_IjLj3EEiiiiiiiiiiiliiliiiiil.private_seg_size, 0+max(.L_ZL14no_device_codePKciS0_iS0_.private_seg_size)
	.set _ZL18flash_attn_ext_f16ILi512ELi512ELi8ELi8ELb1ELb0EEvPKcS1_S1_S1_S1_PKiPfP15HIP_vector_typeIfLj2EEffffjfiS5_IjLj3EEiiiiiiiiiiiliiliiiiil.uses_vcc, or(1, .L_ZL14no_device_codePKciS0_iS0_.uses_vcc)
	.set _ZL18flash_attn_ext_f16ILi512ELi512ELi8ELi8ELb1ELb0EEvPKcS1_S1_S1_S1_PKiPfP15HIP_vector_typeIfLj2EEffffjfiS5_IjLj3EEiiiiiiiiiiiliiliiiiil.uses_flat_scratch, or(0, .L_ZL14no_device_codePKciS0_iS0_.uses_flat_scratch)
	.set _ZL18flash_attn_ext_f16ILi512ELi512ELi8ELi8ELb1ELb0EEvPKcS1_S1_S1_S1_PKiPfP15HIP_vector_typeIfLj2EEffffjfiS5_IjLj3EEiiiiiiiiiiiliiliiiiil.has_dyn_sized_stack, or(0, .L_ZL14no_device_codePKciS0_iS0_.has_dyn_sized_stack)
	.set _ZL18flash_attn_ext_f16ILi512ELi512ELi8ELi8ELb1ELb0EEvPKcS1_S1_S1_S1_PKiPfP15HIP_vector_typeIfLj2EEffffjfiS5_IjLj3EEiiiiiiiiiiiliiliiiiil.has_recursion, or(0, .L_ZL14no_device_codePKciS0_iS0_.has_recursion)
	.set _ZL18flash_attn_ext_f16ILi512ELi512ELi8ELi8ELb1ELb0EEvPKcS1_S1_S1_S1_PKiPfP15HIP_vector_typeIfLj2EEffffjfiS5_IjLj3EEiiiiiiiiiiiliiliiiiil.has_indirect_call, or(0, .L_ZL14no_device_codePKciS0_iS0_.has_indirect_call)
	.section	.AMDGPU.csdata,"",@progbits
; Kernel info:
; codeLenInByte = 48
; TotalNumSgprs: 40
; NumVgprs: 50
; NumAgprs: 0
; TotalNumVgprs: 50
; ScratchSize: 16
; MemoryBound: 0
; FloatMode: 240
; IeeeMode: 1
; LDSByteSize: 0 bytes/workgroup (compile time only)
; SGPRBlocks: 4
; VGPRBlocks: 6
; NumSGPRsForWavesPerEU: 40
; NumVGPRsForWavesPerEU: 50
; AccumOffset: 52
; Occupancy: 8
; WaveLimiterHint : 1
; COMPUTE_PGM_RSRC2:SCRATCH_EN: 1
; COMPUTE_PGM_RSRC2:USER_SGPR: 2
; COMPUTE_PGM_RSRC2:TRAP_HANDLER: 0
; COMPUTE_PGM_RSRC2:TGID_X_EN: 1
; COMPUTE_PGM_RSRC2:TGID_Y_EN: 0
; COMPUTE_PGM_RSRC2:TGID_Z_EN: 0
; COMPUTE_PGM_RSRC2:TIDIG_COMP_CNT: 0
; COMPUTE_PGM_RSRC3_GFX90A:ACCUM_OFFSET: 12
; COMPUTE_PGM_RSRC3_GFX90A:TG_SPLIT: 0
	.section	.text._ZL33flash_attn_stream_k_fixup_uniformILi512ELi8ELi8EEvPfPK15HIP_vector_typeIfLj2EEiiiiiiS1_IjLj3EES5_S5_,"axG",@progbits,_ZL33flash_attn_stream_k_fixup_uniformILi512ELi8ELi8EEvPfPK15HIP_vector_typeIfLj2EEiiiiiiS1_IjLj3EES5_S5_,comdat
	.globl	_ZL33flash_attn_stream_k_fixup_uniformILi512ELi8ELi8EEvPfPK15HIP_vector_typeIfLj2EEiiiiiiS1_IjLj3EES5_S5_ ; -- Begin function _ZL33flash_attn_stream_k_fixup_uniformILi512ELi8ELi8EEvPfPK15HIP_vector_typeIfLj2EEiiiiiiS1_IjLj3EES5_S5_
	.p2align	8
	.type	_ZL33flash_attn_stream_k_fixup_uniformILi512ELi8ELi8EEvPfPK15HIP_vector_typeIfLj2EEiiiiiiS1_IjLj3EES5_S5_,@function
_ZL33flash_attn_stream_k_fixup_uniformILi512ELi8ELi8EEvPfPK15HIP_vector_typeIfLj2EEiiiiiiS1_IjLj3EES5_S5_: ; @_ZL33flash_attn_stream_k_fixup_uniformILi512ELi8ELi8EEvPfPK15HIP_vector_typeIfLj2EEiiiiiiS1_IjLj3EES5_S5_
; %bb.0:
	s_load_dwordx8 s[8:15], s[0:1], 0x1c
	s_load_dwordx2 s[6:7], s[0:1], 0x10
	s_load_dwordx4 s[20:23], s[0:1], 0x3c
	s_waitcnt lgkmcnt(0)
	s_mul_hi_u32 s5, s11, s2
	s_add_i32 s5, s2, s5
	s_lshr_b32 s5, s5, s12
	s_mul_i32 s11, s5, s13
	s_sub_i32 s11, s2, s11
	s_mul_hi_u32 s12, s11, s14
	s_add_i32 s12, s11, s12
	s_lshr_b32 s16, s12, s15
	s_mul_i32 s12, s16, s20
	s_sub_i32 s11, s11, s12
	;; [unrolled: 5-line block ×3, first 2 shown]
	s_lshl_b32 s11, s12, 3
	s_lshl_b32 s12, s17, 3
	s_add_i32 s12, s12, s3
	s_cmp_lt_i32 s12, s6
	s_cselect_b64 s[12:13], -1, 0
	s_add_i32 s14, s11, s4
	s_cmp_lt_i32 s14, s9
	s_cselect_b64 s[14:15], -1, 0
	s_and_b64 s[12:13], s[12:13], s[14:15]
	s_andn2_b64 vcc, exec, s[12:13]
	s_cbranch_vccnz .LBB38_6
; %bb.1:
	s_load_dwordx4 s[12:15], s[0:1], 0x0
	s_mul_i32 s0, s5, s6
	s_add_i32 s0, s0, s3
	s_mul_i32 s0, s0, s7
	s_mul_i32 s16, s16, s9
	s_add_i32 s0, s0, s4
	s_add_i32 s0, s0, s16
	s_mul_i32 s1, s7, s17
	s_add_i32 s0, s0, s11
	s_lshl_b32 s1, s1, 12
	s_lshl_b32 s0, s0, 9
	s_add_i32 s1, s1, s0
	v_or_b32_e32 v4, s1, v0
	s_waitcnt lgkmcnt(0)
	v_mov_b32_e32 v2, s12
	v_mov_b32_e32 v3, s13
	v_ashrrev_i32_e32 v5, 31, v4
	v_lshl_add_u64 v[2:3], v[4:5], 2, v[2:3]
	global_load_dword v5, v[2:3], off
	s_mul_i32 s5, s10, s2
	s_lshl_b32 s11, s3, 3
	s_add_i32 s9, s5, s10
	s_add_i32 s0, s11, s4
	s_lshl_b32 s1, s9, 6
	s_add_i32 s0, s0, s1
	s_sub_i32 s0, s0, 64
	s_ashr_i32 s1, s0, 31
	s_lshl_b64 s[0:1], s[0:1], 3
	s_add_u32 s0, s14, s0
	s_addc_u32 s1, s15, s1
	s_load_dword s12, s[0:1], 0x4
	s_add_i32 s6, s9, -2
	s_cmp_lt_i32 s6, s5
	s_cbranch_scc1 .LBB38_4
; %bb.2:
	s_lshl_b32 s6, s8, 8
	s_ashr_i32 s7, s6, 31
	s_lshl_b64 s[6:7], s[6:7], 2
	s_add_u32 s6, s14, s6
	s_addc_u32 s7, s15, s7
	s_add_i32 s2, s2, 1
	s_load_dword s0, s[0:1], 0x0
	s_mul_i32 s1, s10, s2
	s_lshl_b32 s3, s3, 12
	s_lshl_b32 s10, s4, 9
	;; [unrolled: 1-line block ×3, first 2 shown]
	s_add_i32 s3, s10, s3
	s_lshl_b32 s1, s1, 6
	s_add_i32 s3, s3, s2
	s_add_i32 s1, s4, s1
	s_lshl_b32 s2, s8, 6
	s_add_i32 s1, s1, s2
	v_or_b32_e32 v0, s3, v0
	s_add_i32 s1, s1, s11
	s_add_i32 s9, s9, -1
	v_add_u32_e32 v0, 0xffff0000, v0
	s_add_i32 s2, s1, 0xffffff80
	s_waitcnt lgkmcnt(0)
	v_mov_b32_e32 v7, s0
	v_mov_b32_e32 v4, s12
	s_mov_b32 s4, 0x3fb8aa3b
	s_mov_b32 s8, 0xc2ce8ed0
	;; [unrolled: 1-line block ×3, first 2 shown]
	v_mov_b32_e32 v6, 0x7f800000
	s_mov_b32 s11, 0xc1a00000
.LBB38_3:                               ; =>This Inner Loop Header: Depth=1
	v_ashrrev_i32_e32 v1, 31, v0
	v_lshl_add_u64 v[8:9], v[0:1], 2, s[6:7]
	global_load_dword v9, v[8:9], off
	s_ashr_i32 s3, s2, 31
	s_lshl_b64 s[0:1], s[2:3], 3
	s_add_u32 s0, s14, s0
	s_addc_u32 s1, s15, s1
	s_load_dwordx2 s[0:1], s[0:1], 0x0
	v_max_f32_e32 v1, v7, v7
	s_add_i32 s9, s9, -1
	s_sub_i32 s2, s2, 64
	v_add_u32_e32 v0, 0xffff8000, v0
	s_waitcnt lgkmcnt(0)
	v_max_f32_e64 v10, s0, s0
	v_max_f32_e32 v1, v1, v10
	v_sub_f32_e32 v11, s0, v1
	v_sub_f32_e32 v10, v7, v1
	v_mul_f32_e32 v12, 0x3fb8aa3b, v11
	v_mov_b32_e32 v7, v1
	v_mul_f32_e32 v1, 0x3fb8aa3b, v10
	v_fma_f32 v15, v11, s4, -v12
	v_rndne_f32_e32 v16, v12
	v_fma_f32 v13, v10, s4, -v1
	v_rndne_f32_e32 v14, v1
	v_fmac_f32_e32 v15, 0x32a5705f, v11
	v_sub_f32_e32 v12, v12, v16
	v_fmac_f32_e32 v13, 0x32a5705f, v10
	v_sub_f32_e32 v1, v1, v14
	v_add_f32_e32 v12, v12, v15
	v_cvt_i32_f32_e32 v16, v16
	v_add_f32_e32 v1, v1, v13
	v_exp_f32_e32 v12, v12
	v_cvt_i32_f32_e32 v14, v14
	v_exp_f32_e32 v1, v1
	v_cmp_ngt_f32_e32 vcc, s8, v11
	v_ldexp_f32 v12, v12, v16
	v_mov_b32_e32 v8, s1
	v_ldexp_f32 v1, v1, v14
	v_cmp_ngt_f32_e64 s[0:1], s8, v10
	v_cndmask_b32_e32 v12, 0, v12, vcc
	v_cmp_nlt_f32_e32 vcc, s10, v11
	v_cndmask_b32_e64 v1, 0, v1, s[0:1]
	v_cmp_nlt_f32_e64 s[0:1], s10, v10
	v_cndmask_b32_e32 v12, v6, v12, vcc
	v_cmp_le_f32_e32 vcc, s11, v11
	v_cndmask_b32_e64 v1, v6, v1, s[0:1]
	v_cmp_le_f32_e64 s[0:1], s11, v10
	v_cndmask_b32_e32 v12, 0, v12, vcc
	s_cmp_le_i32 s9, s5
	v_cndmask_b32_e64 v10, 0, v1, s[0:1]
	s_waitcnt vmcnt(0)
	v_pk_mul_f32 v[8:9], v[8:9], v[12:13] op_sel_hi:[1,0]
	s_nop 0
	v_pk_fma_f32 v[4:5], v[4:5], v[10:11], v[8:9] op_sel_hi:[1,0,1]
	s_cbranch_scc0 .LBB38_3
	s_branch .LBB38_5
.LBB38_4:
	s_waitcnt lgkmcnt(0)
	v_mov_b32_e32 v4, s12
.LBB38_5:
	s_waitcnt vmcnt(0)
	v_div_scale_f32 v0, s[0:1], v4, v4, v5
	v_rcp_f32_e32 v1, v0
	v_div_scale_f32 v6, vcc, v5, v4, v5
	v_fma_f32 v7, -v0, v1, 1.0
	v_fmac_f32_e32 v1, v7, v1
	v_mul_f32_e32 v7, v6, v1
	v_fma_f32 v8, -v0, v7, v6
	v_fmac_f32_e32 v7, v8, v1
	v_fma_f32 v0, -v0, v7, v6
	v_div_fmas_f32 v0, v0, v1, v7
	v_div_fixup_f32 v0, v0, v4, v5
	global_store_dword v[2:3], v0, off
.LBB38_6:
	s_endpgm
	.section	.rodata,"a",@progbits
	.p2align	6, 0x0
	.amdhsa_kernel _ZL33flash_attn_stream_k_fixup_uniformILi512ELi8ELi8EEvPfPK15HIP_vector_typeIfLj2EEiiiiiiS1_IjLj3EES5_S5_
		.amdhsa_group_segment_fixed_size 0
		.amdhsa_private_segment_fixed_size 0
		.amdhsa_kernarg_size 76
		.amdhsa_user_sgpr_count 2
		.amdhsa_user_sgpr_dispatch_ptr 0
		.amdhsa_user_sgpr_queue_ptr 0
		.amdhsa_user_sgpr_kernarg_segment_ptr 1
		.amdhsa_user_sgpr_dispatch_id 0
		.amdhsa_user_sgpr_kernarg_preload_length 0
		.amdhsa_user_sgpr_kernarg_preload_offset 0
		.amdhsa_user_sgpr_private_segment_size 0
		.amdhsa_uses_dynamic_stack 0
		.amdhsa_enable_private_segment 0
		.amdhsa_system_sgpr_workgroup_id_x 1
		.amdhsa_system_sgpr_workgroup_id_y 1
		.amdhsa_system_sgpr_workgroup_id_z 1
		.amdhsa_system_sgpr_workgroup_info 0
		.amdhsa_system_vgpr_workitem_id 0
		.amdhsa_next_free_vgpr 17
		.amdhsa_next_free_sgpr 24
		.amdhsa_accum_offset 20
		.amdhsa_reserve_vcc 1
		.amdhsa_float_round_mode_32 0
		.amdhsa_float_round_mode_16_64 0
		.amdhsa_float_denorm_mode_32 3
		.amdhsa_float_denorm_mode_16_64 3
		.amdhsa_dx10_clamp 1
		.amdhsa_ieee_mode 1
		.amdhsa_fp16_overflow 0
		.amdhsa_tg_split 0
		.amdhsa_exception_fp_ieee_invalid_op 0
		.amdhsa_exception_fp_denorm_src 0
		.amdhsa_exception_fp_ieee_div_zero 0
		.amdhsa_exception_fp_ieee_overflow 0
		.amdhsa_exception_fp_ieee_underflow 0
		.amdhsa_exception_fp_ieee_inexact 0
		.amdhsa_exception_int_div_zero 0
	.end_amdhsa_kernel
	.section	.text._ZL33flash_attn_stream_k_fixup_uniformILi512ELi8ELi8EEvPfPK15HIP_vector_typeIfLj2EEiiiiiiS1_IjLj3EES5_S5_,"axG",@progbits,_ZL33flash_attn_stream_k_fixup_uniformILi512ELi8ELi8EEvPfPK15HIP_vector_typeIfLj2EEiiiiiiS1_IjLj3EES5_S5_,comdat
.Lfunc_end38:
	.size	_ZL33flash_attn_stream_k_fixup_uniformILi512ELi8ELi8EEvPfPK15HIP_vector_typeIfLj2EEiiiiiiS1_IjLj3EES5_S5_, .Lfunc_end38-_ZL33flash_attn_stream_k_fixup_uniformILi512ELi8ELi8EEvPfPK15HIP_vector_typeIfLj2EEiiiiiiS1_IjLj3EES5_S5_
                                        ; -- End function
	.set _ZL33flash_attn_stream_k_fixup_uniformILi512ELi8ELi8EEvPfPK15HIP_vector_typeIfLj2EEiiiiiiS1_IjLj3EES5_S5_.num_vgpr, 17
	.set _ZL33flash_attn_stream_k_fixup_uniformILi512ELi8ELi8EEvPfPK15HIP_vector_typeIfLj2EEiiiiiiS1_IjLj3EES5_S5_.num_agpr, 0
	.set _ZL33flash_attn_stream_k_fixup_uniformILi512ELi8ELi8EEvPfPK15HIP_vector_typeIfLj2EEiiiiiiS1_IjLj3EES5_S5_.numbered_sgpr, 24
	.set _ZL33flash_attn_stream_k_fixup_uniformILi512ELi8ELi8EEvPfPK15HIP_vector_typeIfLj2EEiiiiiiS1_IjLj3EES5_S5_.num_named_barrier, 0
	.set _ZL33flash_attn_stream_k_fixup_uniformILi512ELi8ELi8EEvPfPK15HIP_vector_typeIfLj2EEiiiiiiS1_IjLj3EES5_S5_.private_seg_size, 0
	.set _ZL33flash_attn_stream_k_fixup_uniformILi512ELi8ELi8EEvPfPK15HIP_vector_typeIfLj2EEiiiiiiS1_IjLj3EES5_S5_.uses_vcc, 1
	.set _ZL33flash_attn_stream_k_fixup_uniformILi512ELi8ELi8EEvPfPK15HIP_vector_typeIfLj2EEiiiiiiS1_IjLj3EES5_S5_.uses_flat_scratch, 0
	.set _ZL33flash_attn_stream_k_fixup_uniformILi512ELi8ELi8EEvPfPK15HIP_vector_typeIfLj2EEiiiiiiS1_IjLj3EES5_S5_.has_dyn_sized_stack, 0
	.set _ZL33flash_attn_stream_k_fixup_uniformILi512ELi8ELi8EEvPfPK15HIP_vector_typeIfLj2EEiiiiiiS1_IjLj3EES5_S5_.has_recursion, 0
	.set _ZL33flash_attn_stream_k_fixup_uniformILi512ELi8ELi8EEvPfPK15HIP_vector_typeIfLj2EEiiiiiiS1_IjLj3EES5_S5_.has_indirect_call, 0
	.section	.AMDGPU.csdata,"",@progbits
; Kernel info:
; codeLenInByte = 840
; TotalNumSgprs: 30
; NumVgprs: 17
; NumAgprs: 0
; TotalNumVgprs: 17
; ScratchSize: 0
; MemoryBound: 0
; FloatMode: 240
; IeeeMode: 1
; LDSByteSize: 0 bytes/workgroup (compile time only)
; SGPRBlocks: 3
; VGPRBlocks: 2
; NumSGPRsForWavesPerEU: 30
; NumVGPRsForWavesPerEU: 17
; AccumOffset: 20
; Occupancy: 8
; WaveLimiterHint : 0
; COMPUTE_PGM_RSRC2:SCRATCH_EN: 0
; COMPUTE_PGM_RSRC2:USER_SGPR: 2
; COMPUTE_PGM_RSRC2:TRAP_HANDLER: 0
; COMPUTE_PGM_RSRC2:TGID_X_EN: 1
; COMPUTE_PGM_RSRC2:TGID_Y_EN: 1
; COMPUTE_PGM_RSRC2:TGID_Z_EN: 1
; COMPUTE_PGM_RSRC2:TIDIG_COMP_CNT: 0
; COMPUTE_PGM_RSRC3_GFX90A:ACCUM_OFFSET: 4
; COMPUTE_PGM_RSRC3_GFX90A:TG_SPLIT: 0
	.section	.text._ZL33flash_attn_stream_k_fixup_generalILi512ELi8ELi8EEvPfPK15HIP_vector_typeIfLj2EEiiiiS1_IjLj3EES5_S5_S5_,"axG",@progbits,_ZL33flash_attn_stream_k_fixup_generalILi512ELi8ELi8EEvPfPK15HIP_vector_typeIfLj2EEiiiiS1_IjLj3EES5_S5_S5_,comdat
	.globl	_ZL33flash_attn_stream_k_fixup_generalILi512ELi8ELi8EEvPfPK15HIP_vector_typeIfLj2EEiiiiS1_IjLj3EES5_S5_S5_ ; -- Begin function _ZL33flash_attn_stream_k_fixup_generalILi512ELi8ELi8EEvPfPK15HIP_vector_typeIfLj2EEiiiiS1_IjLj3EES5_S5_S5_
	.p2align	8
	.type	_ZL33flash_attn_stream_k_fixup_generalILi512ELi8ELi8EEvPfPK15HIP_vector_typeIfLj2EEiiiiS1_IjLj3EES5_S5_S5_,@function
_ZL33flash_attn_stream_k_fixup_generalILi512ELi8ELi8EEvPfPK15HIP_vector_typeIfLj2EEiiiiS1_IjLj3EES5_S5_S5_: ; @_ZL33flash_attn_stream_k_fixup_generalILi512ELi8ELi8EEvPfPK15HIP_vector_typeIfLj2EEiiiiS1_IjLj3EES5_S5_S5_
; %bb.0:
	s_load_dwordx4 s[8:11], s[0:1], 0x10
	s_load_dword s22, s[0:1], 0x50
	s_mov_b32 s12, 0
	s_waitcnt lgkmcnt(0)
	s_mul_hi_i32 s13, s11, s2
	s_cmp_lg_u64 s[12:13], 0
	s_mul_i32 s5, s11, s2
	s_cbranch_scc0 .LBB39_20
; %bb.1:
	s_add_u32 s6, s22, 0
	s_addc_u32 s7, 0, 0
	s_xor_b64 s[6:7], s[6:7], 0
	v_cvt_f32_u32_e32 v1, s6
	v_cvt_f32_u32_e32 v2, s7
	s_sub_u32 s12, 0, s6
	s_subb_u32 s18, 0, s7
	v_fmamk_f32 v1, v2, 0x4f800000, v1
	v_rcp_f32_e32 v1, v1
	s_nop 0
	v_mul_f32_e32 v1, 0x5f7ffffc, v1
	v_mul_f32_e32 v2, 0x2f800000, v1
	v_trunc_f32_e32 v2, v2
	v_fmamk_f32 v1, v2, 0xcf800000, v1
	v_cvt_u32_f32_e32 v2, v2
	v_cvt_u32_f32_e32 v1, v1
	v_readfirstlane_b32 s19, v2
	v_readfirstlane_b32 s14, v1
	s_mul_i32 s15, s12, s19
	s_mul_hi_u32 s21, s12, s14
	s_mul_i32 s20, s18, s14
	s_add_i32 s15, s21, s15
	s_add_i32 s15, s15, s20
	s_mul_i32 s23, s12, s14
	s_mul_i32 s21, s14, s15
	s_mul_hi_u32 s24, s14, s23
	s_mul_hi_u32 s20, s14, s15
	s_add_u32 s21, s24, s21
	s_addc_u32 s20, 0, s20
	s_mul_hi_u32 s25, s19, s23
	s_mul_i32 s23, s19, s23
	s_add_u32 s21, s21, s23
	s_mul_hi_u32 s24, s19, s15
	s_addc_u32 s20, s20, s25
	s_addc_u32 s21, s24, 0
	s_mul_i32 s15, s19, s15
	s_add_u32 s15, s20, s15
	s_addc_u32 s20, 0, s21
	s_add_u32 s21, s14, s15
	s_cselect_b64 s[14:15], -1, 0
	s_cmp_lg_u64 s[14:15], 0
	s_addc_u32 s19, s19, s20
	s_mul_i32 s14, s12, s19
	s_mul_hi_u32 s15, s12, s21
	s_add_i32 s14, s15, s14
	s_mul_i32 s18, s18, s21
	s_add_i32 s14, s14, s18
	s_mul_i32 s12, s12, s21
	s_mul_hi_u32 s18, s19, s12
	s_mul_i32 s20, s19, s12
	s_mul_i32 s24, s21, s14
	s_mul_hi_u32 s12, s21, s12
	s_mul_hi_u32 s23, s21, s14
	s_add_u32 s12, s12, s24
	s_addc_u32 s23, 0, s23
	s_add_u32 s12, s12, s20
	s_mul_hi_u32 s15, s19, s14
	s_addc_u32 s12, s23, s18
	s_addc_u32 s15, s15, 0
	s_mul_i32 s14, s19, s14
	s_add_u32 s12, s12, s14
	s_addc_u32 s18, 0, s15
	s_add_u32 s20, s21, s12
	s_cselect_b64 s[14:15], -1, 0
	s_cmp_lg_u64 s[14:15], 0
	s_addc_u32 s18, s19, s18
	s_ashr_i32 s14, s13, 31
	s_add_u32 s12, s5, s14
	s_mov_b32 s15, s14
	s_addc_u32 s13, s13, s14
	s_xor_b64 s[12:13], s[12:13], s[14:15]
	s_mul_i32 s21, s12, s18
	s_mul_hi_u32 s23, s12, s20
	s_mul_hi_u32 s19, s12, s18
	s_add_u32 s21, s23, s21
	s_addc_u32 s19, 0, s19
	s_mul_hi_u32 s24, s13, s20
	s_mul_i32 s20, s13, s20
	s_add_u32 s20, s21, s20
	s_mul_hi_u32 s23, s13, s18
	s_addc_u32 s19, s19, s24
	s_addc_u32 s20, s23, 0
	s_mul_i32 s18, s13, s18
	s_add_u32 s23, s19, s18
	s_addc_u32 s24, 0, s20
	s_mul_i32 s18, s6, s24
	s_mul_hi_u32 s19, s6, s23
	s_add_i32 s18, s19, s18
	s_mul_i32 s19, s7, s23
	s_add_i32 s25, s18, s19
	s_sub_i32 s20, s13, s25
	s_mul_i32 s18, s6, s23
	s_sub_u32 s12, s12, s18
	s_cselect_b64 s[18:19], -1, 0
	s_cmp_lg_u64 s[18:19], 0
	s_subb_u32 s26, s20, s7
	s_sub_u32 s27, s12, s6
	s_cselect_b64 s[20:21], -1, 0
	s_cmp_lg_u64 s[20:21], 0
	s_subb_u32 s20, s26, 0
	s_cmp_ge_u32 s20, s7
	s_cselect_b32 s21, -1, 0
	s_cmp_ge_u32 s27, s6
	s_cselect_b32 s26, -1, 0
	s_cmp_eq_u32 s20, s7
	s_cselect_b32 s20, s26, s21
	s_add_u32 s21, s23, 1
	s_addc_u32 s26, s24, 0
	s_add_u32 s27, s23, 2
	s_addc_u32 s28, s24, 0
	s_cmp_lg_u32 s20, 0
	s_cselect_b32 s20, s27, s21
	s_cselect_b32 s21, s28, s26
	s_cmp_lg_u64 s[18:19], 0
	s_subb_u32 s13, s13, s25
	s_cmp_ge_u32 s13, s7
	s_cselect_b32 s18, -1, 0
	s_cmp_ge_u32 s12, s6
	s_cselect_b32 s6, -1, 0
	s_cmp_eq_u32 s13, s7
	s_cselect_b32 s6, s6, s18
	s_cmp_lg_u32 s6, 0
	s_cselect_b32 s7, s21, s24
	s_cselect_b32 s6, s20, s23
	s_xor_b64 s[12:13], s[14:15], 0
	s_xor_b64 s[6:7], s[6:7], s[12:13]
	s_sub_u32 s6, s6, s12
	s_load_dwordx4 s[12:15], s[0:1], 0x44
	s_cbranch_execnz .LBB39_3
.LBB39_2:
	v_cvt_f32_u32_e32 v1, s22
	s_sub_i32 s6, 0, s22
	v_rcp_iflag_f32_e32 v1, v1
	s_nop 0
	v_mul_f32_e32 v1, 0x4f7ffffe, v1
	v_cvt_u32_f32_e32 v1, v1
	s_nop 0
	v_readfirstlane_b32 s7, v1
	s_mul_i32 s6, s6, s7
	s_mul_hi_u32 s6, s7, s6
	s_add_i32 s7, s7, s6
	s_mul_hi_u32 s6, s5, s7
	s_waitcnt lgkmcnt(0)
	s_mul_i32 s15, s6, s22
	s_sub_i32 s5, s5, s15
	s_add_i32 s7, s6, 1
	s_sub_i32 s15, s5, s22
	s_cmp_ge_u32 s5, s22
	s_cselect_b32 s6, s7, s6
	s_cselect_b32 s5, s15, s5
	s_add_i32 s7, s6, 1
	s_cmp_ge_u32 s5, s22
	s_cselect_b32 s6, s7, s6
.LBB39_3:
	s_add_i32 s5, s2, 1
	s_mul_hi_i32 s21, s11, s5
	s_mov_b32 s20, 0
	s_cmp_lg_u64 s[20:21], 0
	s_mul_i32 s5, s11, s5
	s_cbranch_scc0 .LBB39_21
; %bb.4:
	s_add_u32 s16, s22, 0
	s_addc_u32 s17, 0, 0
	s_xor_b64 s[18:19], s[16:17], 0
	v_cvt_f32_u32_e32 v1, s18
	v_cvt_f32_u32_e32 v2, s19
	s_sub_u32 s7, 0, s18
	s_waitcnt lgkmcnt(0)
	s_subb_u32 s15, 0, s19
	v_fmamk_f32 v1, v2, 0x4f800000, v1
	v_rcp_f32_e32 v1, v1
	s_nop 0
	v_mul_f32_e32 v1, 0x5f7ffffc, v1
	v_mul_f32_e32 v2, 0x2f800000, v1
	v_trunc_f32_e32 v2, v2
	v_fmamk_f32 v1, v2, 0xcf800000, v1
	v_cvt_u32_f32_e32 v2, v2
	v_cvt_u32_f32_e32 v1, v1
	v_readfirstlane_b32 s20, v2
	v_readfirstlane_b32 s23, v1
	s_mul_i32 s24, s7, s20
	s_mul_hi_u32 s26, s7, s23
	s_mul_i32 s25, s15, s23
	s_add_i32 s24, s26, s24
	s_add_i32 s24, s24, s25
	s_mul_i32 s27, s7, s23
	s_mul_i32 s26, s23, s24
	s_mul_hi_u32 s28, s23, s27
	s_mul_hi_u32 s25, s23, s24
	s_add_u32 s26, s28, s26
	s_addc_u32 s25, 0, s25
	s_mul_hi_u32 s29, s20, s27
	s_mul_i32 s27, s20, s27
	s_add_u32 s26, s26, s27
	s_mul_hi_u32 s28, s20, s24
	s_addc_u32 s25, s25, s29
	s_addc_u32 s26, s28, 0
	s_mul_i32 s24, s20, s24
	s_add_u32 s24, s25, s24
	s_addc_u32 s26, 0, s26
	s_add_u32 s23, s23, s24
	s_cselect_b64 s[24:25], -1, 0
	s_cmp_lg_u64 s[24:25], 0
	s_addc_u32 s20, s20, s26
	s_mul_i32 s24, s7, s20
	s_mul_hi_u32 s25, s7, s23
	s_add_i32 s24, s25, s24
	s_mul_i32 s15, s15, s23
	s_add_i32 s24, s24, s15
	s_mul_i32 s7, s7, s23
	s_mul_hi_u32 s25, s20, s7
	s_mul_i32 s26, s20, s7
	s_mul_i32 s28, s23, s24
	s_mul_hi_u32 s7, s23, s7
	s_mul_hi_u32 s27, s23, s24
	s_add_u32 s7, s7, s28
	s_addc_u32 s27, 0, s27
	s_add_u32 s7, s7, s26
	s_mul_hi_u32 s15, s20, s24
	s_addc_u32 s7, s27, s25
	s_addc_u32 s15, s15, 0
	s_mul_i32 s24, s20, s24
	s_add_u32 s7, s7, s24
	s_addc_u32 s15, 0, s15
	s_add_u32 s7, s23, s7
	s_cselect_b64 s[24:25], -1, 0
	s_cmp_lg_u64 s[24:25], 0
	s_addc_u32 s15, s20, s15
	s_ashr_i32 s24, s21, 31
	s_add_u32 s20, s5, s24
	s_mov_b32 s25, s24
	s_addc_u32 s21, s21, s24
	s_xor_b64 s[20:21], s[20:21], s[24:25]
	s_mul_i32 s26, s20, s15
	s_mul_hi_u32 s27, s20, s7
	s_mul_hi_u32 s23, s20, s15
	s_add_u32 s26, s27, s26
	s_addc_u32 s23, 0, s23
	s_mul_hi_u32 s28, s21, s7
	s_mul_i32 s7, s21, s7
	s_add_u32 s7, s26, s7
	s_mul_hi_u32 s27, s21, s15
	s_addc_u32 s7, s23, s28
	s_addc_u32 s23, s27, 0
	s_mul_i32 s15, s21, s15
	s_add_u32 s7, s7, s15
	s_addc_u32 s15, 0, s23
	s_mul_i32 s23, s18, s15
	s_mul_hi_u32 s26, s18, s7
	s_add_i32 s23, s26, s23
	s_mul_i32 s26, s19, s7
	s_add_i32 s23, s23, s26
	s_sub_i32 s28, s21, s23
	s_mul_i32 s26, s18, s7
	s_sub_u32 s20, s20, s26
	s_cselect_b64 s[26:27], -1, 0
	s_cmp_lg_u64 s[26:27], 0
	s_subb_u32 s30, s28, s19
	s_sub_u32 s31, s20, s18
	s_cselect_b64 s[28:29], -1, 0
	s_cmp_lg_u64 s[28:29], 0
	s_subb_u32 s28, s30, 0
	s_cmp_ge_u32 s28, s19
	s_cselect_b32 s29, -1, 0
	s_cmp_ge_u32 s31, s18
	s_cselect_b32 s30, -1, 0
	s_cmp_eq_u32 s28, s19
	s_cselect_b32 s28, s30, s29
	s_add_u32 s29, s7, 1
	s_addc_u32 s30, s15, 0
	s_add_u32 s31, s7, 2
	s_addc_u32 s33, s15, 0
	s_cmp_lg_u32 s28, 0
	s_cselect_b32 s28, s31, s29
	s_cselect_b32 s29, s33, s30
	s_cmp_lg_u64 s[26:27], 0
	s_subb_u32 s21, s21, s23
	s_cmp_ge_u32 s21, s19
	s_cselect_b32 s23, -1, 0
	s_cmp_ge_u32 s20, s18
	s_cselect_b32 s18, -1, 0
	s_cmp_eq_u32 s21, s19
	s_cselect_b32 s18, s18, s23
	s_cmp_lg_u32 s18, 0
	s_cselect_b32 s19, s29, s15
	s_cselect_b32 s18, s28, s7
	s_xor_b64 s[20:21], s[24:25], 0
	s_xor_b64 s[18:19], s[18:19], s[20:21]
	s_sub_u32 s18, s18, s20
	s_cbranch_execnz .LBB39_6
.LBB39_5:
	v_cvt_f32_u32_e32 v1, s22
	s_sub_i32 s7, 0, s22
	v_rcp_iflag_f32_e32 v1, v1
	s_nop 0
	v_mul_f32_e32 v1, 0x4f7ffffe, v1
	v_cvt_u32_f32_e32 v1, v1
	s_waitcnt lgkmcnt(0)
	v_readfirstlane_b32 s15, v1
	s_mul_i32 s7, s7, s15
	s_mul_hi_u32 s7, s15, s7
	s_add_i32 s15, s15, s7
	s_mul_hi_u32 s7, s5, s15
	s_mul_i32 s16, s7, s22
	s_sub_i32 s5, s5, s16
	s_add_i32 s15, s7, 1
	s_sub_i32 s16, s5, s22
	s_cmp_ge_u32 s5, s22
	s_cselect_b32 s7, s15, s7
	s_cselect_b32 s5, s16, s5
	s_add_i32 s15, s7, 1
	s_cmp_ge_u32 s5, s22
	s_cselect_b32 s18, s15, s7
.LBB39_6:
	s_cmp_eq_u32 s6, s18
	s_waitcnt lgkmcnt(0)
	s_mul_hi_u32 s5, s6, s12
	s_cselect_b64 s[16:17], -1, 0
	s_add_i32 s5, s5, s6
	s_lshr_b32 s7, s5, s13
	s_mul_i32 s5, s7, s14
	s_cmp_eq_u32 s5, s6
	s_mul_hi_u32 s5, s18, s12
	s_cselect_b64 s[20:21], -1, 0
	s_add_i32 s5, s5, s18
	s_lshr_b32 s5, s5, s13
	s_cmp_eq_u32 s7, s5
	s_mul_i32 s5, s5, s14
	s_cselect_b64 s[24:25], -1, 0
	s_cmp_lg_u32 s5, s18
	s_cselect_b64 s[18:19], -1, 0
	s_and_b64 s[18:19], s[24:25], s[18:19]
	s_or_b64 s[16:17], s[16:17], s[20:21]
	s_or_b64 s[16:17], s[16:17], s[18:19]
	s_and_b64 vcc, exec, s[16:17]
	s_cbranch_vccnz .LBB39_23
; %bb.7:
	s_load_dwordx8 s[24:31], s[0:1], 0x20
	s_load_dword s15, s[0:1], 0x40
	s_waitcnt lgkmcnt(0)
	s_mul_hi_u32 s5, s6, s24
	s_add_i32 s5, s5, s6
	s_lshr_b32 s5, s5, s25
	s_mul_i32 s16, s5, s26
	s_sub_i32 s16, s6, s16
	s_mul_hi_u32 s17, s16, s27
	s_add_i32 s17, s16, s17
	s_lshr_b32 s20, s17, s28
	s_mul_i32 s17, s20, s29
	s_sub_i32 s16, s16, s17
	;; [unrolled: 5-line block ×3, first 2 shown]
	s_mul_hi_u32 s16, s15, s12
	s_add_i32 s15, s15, s16
	s_lshr_b32 s23, s15, s13
	s_lshl_b32 s15, s23, 3
	s_lshl_b32 s21, s17, 3
	s_add_i32 s15, s15, s3
	s_cmp_lt_i32 s15, s8
	s_cselect_b64 s[16:17], -1, 0
	s_add_i32 s15, s21, s4
	s_cmp_lt_i32 s15, s10
	s_cselect_b64 s[18:19], -1, 0
	s_and_b64 s[16:17], s[16:17], s[18:19]
	s_andn2_b64 vcc, exec, s[16:17]
	s_cbranch_vccnz .LBB39_23
; %bb.8:
	s_load_dwordx4 s[16:19], s[0:1], 0x0
	s_mov_b32 s0, 0
	s_lshl_b32 s15, s3, 3
	s_lshl_b32 s24, s22, 8
	s_mov_b32 s25, s0
	s_add_i32 s15, s15, s4
	s_waitcnt lgkmcnt(0)
	v_mov_b32_e32 v2, s16
	v_mov_b32_e32 v3, s17
	s_lshl_b64 s[16:17], s[24:25], 2
	s_add_u32 s16, s18, s16
	s_mul_i32 s1, s5, s8
	s_addc_u32 s17, s19, s17
	s_add_i32 s1, s1, s3
	s_mul_i32 s1, s1, s9
	s_mul_i32 s20, s20, s10
	s_add_i32 s1, s1, s4
	s_add_i32 s1, s1, s20
	s_mul_i32 s5, s9, s23
	s_add_i32 s1, s1, s21
	s_lshl_b32 s5, s5, 12
	s_lshl_b32 s1, s1, 9
	s_add_i32 s5, s5, s1
	v_or_b32_e32 v4, s5, v0
	v_ashrrev_i32_e32 v5, 31, v4
	v_lshl_add_u64 v[2:3], v[4:5], 2, v[2:3]
	global_load_dword v1, v[2:3], off
	v_cvt_f32_u32_e32 v4, s22
	s_lshl_b32 s1, s2, 6
	s_add_i32 s4, s15, s1
	s_ashr_i32 s5, s4, 31
	s_lshl_b64 s[4:5], s[4:5], 3
	v_rcp_iflag_f32_e32 v4, v4
	s_add_u32 s4, s18, s4
	s_addc_u32 s5, s19, s5
	s_load_dwordx2 s[4:5], s[4:5], 0x0
	v_mul_f32_e32 v4, 0x4f7ffffe, v4
	v_cvt_u32_f32_e32 v7, v4
	s_add_i32 s24, s2, -1
	v_lshl_or_b32 v6, s15, 9, v0
	s_waitcnt lgkmcnt(0)
	v_mov_b32_e32 v0, s5
	v_mov_b32_e32 v9, s4
	s_mov_b32 s10, 0x3fb8aa3b
	s_mov_b32 s20, 0xc2ce8ed0
	;; [unrolled: 1-line block ×4, first 2 shown]
	v_mov_b32_e32 v8, 0x7f800000
	s_mul_hi_i32 s1, s24, s11
	s_cmp_lg_u64 s[0:1], 0
	s_mul_i32 s8, s24, s11
	s_cbranch_scc0 .LBB39_19
.LBB39_9:
	s_add_u32 s2, s22, 0
	s_addc_u32 s3, 0, 0
	s_xor_b64 s[2:3], s[2:3], 0
	v_cvt_f32_u32_e32 v4, s2
	v_cvt_f32_u32_e32 v5, s3
	s_sub_u32 s9, 0, s2
	s_subb_u32 s25, 0, s3
	v_fmac_f32_e32 v4, 0x4f800000, v5
	v_rcp_f32_e32 v4, v4
	s_nop 0
	v_mul_f32_e32 v4, 0x5f7ffffc, v4
	v_mul_f32_e32 v5, 0x2f800000, v4
	v_trunc_f32_e32 v5, v5
	v_fmac_f32_e32 v4, 0xcf800000, v5
	v_cvt_u32_f32_e32 v5, v5
	v_cvt_u32_f32_e32 v4, v4
	v_readfirstlane_b32 s26, v5
	v_readfirstlane_b32 s4, v4
	s_mul_i32 s5, s9, s26
	s_mul_hi_u32 s28, s9, s4
	s_mul_i32 s27, s25, s4
	s_add_i32 s5, s28, s5
	s_mul_i32 s29, s9, s4
	s_add_i32 s5, s5, s27
	s_mul_i32 s28, s4, s5
	s_mul_hi_u32 s30, s4, s29
	s_mul_hi_u32 s27, s4, s5
	s_add_u32 s28, s30, s28
	s_addc_u32 s27, 0, s27
	s_mul_hi_u32 s31, s26, s29
	s_mul_i32 s29, s26, s29
	s_add_u32 s28, s28, s29
	s_mul_hi_u32 s30, s26, s5
	s_addc_u32 s27, s27, s31
	s_addc_u32 s28, s30, 0
	s_mul_i32 s5, s26, s5
	s_add_u32 s5, s27, s5
	s_addc_u32 s27, 0, s28
	s_add_u32 s28, s4, s5
	s_cselect_b64 s[4:5], -1, 0
	s_cmp_lg_u64 s[4:5], 0
	s_addc_u32 s26, s26, s27
	s_mul_i32 s4, s9, s26
	s_mul_hi_u32 s5, s9, s28
	s_add_i32 s4, s5, s4
	s_mul_i32 s25, s25, s28
	s_add_i32 s4, s4, s25
	s_mul_i32 s9, s9, s28
	s_mul_hi_u32 s25, s26, s9
	s_mul_i32 s27, s26, s9
	s_mul_i32 s30, s28, s4
	s_mul_hi_u32 s9, s28, s9
	s_mul_hi_u32 s29, s28, s4
	s_add_u32 s9, s9, s30
	s_addc_u32 s29, 0, s29
	s_add_u32 s9, s9, s27
	s_mul_hi_u32 s5, s26, s4
	s_addc_u32 s9, s29, s25
	s_addc_u32 s5, s5, 0
	s_mul_i32 s4, s26, s4
	s_add_u32 s4, s9, s4
	s_addc_u32 s9, 0, s5
	s_add_u32 s25, s28, s4
	s_cselect_b64 s[4:5], -1, 0
	s_cmp_lg_u64 s[4:5], 0
	s_addc_u32 s9, s26, s9
	s_ashr_i32 s4, s1, 31
	s_add_u32 s26, s8, s4
	s_mov_b32 s5, s4
	s_addc_u32 s27, s1, s4
	s_xor_b64 s[26:27], s[26:27], s[4:5]
	s_mul_i32 s28, s26, s9
	s_mul_hi_u32 s29, s26, s25
	s_mul_hi_u32 s1, s26, s9
	s_add_u32 s28, s29, s28
	s_addc_u32 s1, 0, s1
	s_mul_hi_u32 s30, s27, s25
	s_mul_i32 s25, s27, s25
	s_add_u32 s25, s28, s25
	s_mul_hi_u32 s29, s27, s9
	s_addc_u32 s1, s1, s30
	s_addc_u32 s25, s29, 0
	s_mul_i32 s9, s27, s9
	s_add_u32 s1, s1, s9
	s_addc_u32 s9, 0, s25
	s_mul_i32 s25, s2, s9
	s_mul_hi_u32 s28, s2, s1
	s_add_i32 s25, s28, s25
	s_mul_i32 s28, s3, s1
	s_add_i32 s25, s25, s28
	s_sub_i32 s30, s27, s25
	s_mul_i32 s28, s2, s1
	s_sub_u32 s26, s26, s28
	s_cselect_b64 s[28:29], -1, 0
	s_cmp_lg_u64 s[28:29], 0
	s_subb_u32 s33, s30, s3
	s_sub_u32 s34, s26, s2
	s_cselect_b64 s[30:31], -1, 0
	s_cmp_lg_u64 s[30:31], 0
	s_subb_u32 s30, s33, 0
	s_cmp_ge_u32 s30, s3
	s_cselect_b32 s31, -1, 0
	s_cmp_ge_u32 s34, s2
	s_cselect_b32 s33, -1, 0
	s_cmp_eq_u32 s30, s3
	s_cselect_b32 s30, s33, s31
	s_add_u32 s31, s1, 1
	s_addc_u32 s33, s9, 0
	s_add_u32 s34, s1, 2
	s_addc_u32 s35, s9, 0
	s_cmp_lg_u32 s30, 0
	s_cselect_b32 s30, s34, s31
	s_cselect_b32 s31, s35, s33
	s_cmp_lg_u64 s[28:29], 0
	s_subb_u32 s25, s27, s25
	s_cmp_ge_u32 s25, s3
	s_cselect_b32 s27, -1, 0
	s_cmp_ge_u32 s26, s2
	s_cselect_b32 s2, -1, 0
	s_cmp_eq_u32 s25, s3
	s_cselect_b32 s2, s2, s27
	s_cmp_lg_u32 s2, 0
	s_cselect_b32 s3, s31, s9
	s_cselect_b32 s2, s30, s1
	s_xor_b64 s[4:5], s[4:5], 0
	s_xor_b64 s[2:3], s[2:3], s[4:5]
	s_sub_u32 s4, s2, s4
	s_cbranch_execnz .LBB39_11
.LBB39_10:
	s_sub_i32 s1, 0, s22
	v_readfirstlane_b32 s2, v7
	s_mul_i32 s1, s1, s2
	s_mul_hi_u32 s1, s2, s1
	s_add_i32 s2, s2, s1
	s_mul_hi_u32 s1, s8, s2
	s_mul_i32 s3, s1, s22
	s_sub_i32 s3, s8, s3
	s_add_i32 s2, s1, 1
	s_sub_i32 s4, s3, s22
	s_cmp_ge_u32 s3, s22
	s_cselect_b32 s1, s2, s1
	s_cselect_b32 s3, s4, s3
	s_add_i32 s2, s1, 1
	s_cmp_ge_u32 s3, s22
	s_cselect_b32 s4, s2, s1
.LBB39_11:
	s_cmp_lg_u32 s6, s4
	s_cbranch_scc0 .LBB39_15
; %bb.12:
	s_add_i32 s1, s24, s22
	s_lshl_b32 s1, s1, 6
	s_add_i32 s2, s1, s15
	s_mov_b32 s3, s0
	s_lshl_b64 s[2:3], s[2:3], 3
	s_add_u32 s8, s18, s2
	s_mul_hi_u32 s1, s4, s12
	s_addc_u32 s9, s19, s3
	s_add_i32 s1, s1, s4
	s_lshr_b32 s1, s1, s13
	s_mul_i32 s2, s1, s14
	s_cmp_eq_u32 s2, s4
	s_cselect_b64 s[2:3], -1, 0
	s_cmp_lt_u32 s1, s7
	s_cselect_b64 s[26:27], -1, 0
	s_or_b64 s[26:27], s[26:27], s[2:3]
	s_mov_b64 s[2:3], -1
	s_and_b64 vcc, exec, s[26:27]
	s_mov_b32 s1, s24
	s_mov_b32 s25, s6
	s_cbranch_vccnz .LBB39_14
; %bb.13:
	s_add_i32 s1, s24, -1
	s_mov_b64 s[2:3], 0
	s_mov_b32 s25, s4
.LBB39_14:
	v_lshl_add_u32 v4, s24, 15, v6
	v_ashrrev_i32_e32 v5, 31, v4
	v_lshl_add_u64 v[4:5], v[4:5], 2, s[16:17]
	global_load_dword v5, v[4:5], off
	s_load_dwordx2 s[4:5], s[8:9], 0x0
	v_max_f32_e32 v4, v9, v9
	s_waitcnt lgkmcnt(0)
	v_max_f32_e64 v10, s4, s4
	v_max_f32_e32 v10, v4, v10
	v_sub_f32_e32 v11, v9, v10
	v_sub_f32_e32 v13, s4, v10
	v_mul_f32_e32 v4, 0x3fb8aa3b, v11
	v_mul_f32_e32 v12, 0x3fb8aa3b, v13
	v_fma_f32 v14, v11, s10, -v4
	v_rndne_f32_e32 v15, v4
	v_fma_f32 v16, v13, s10, -v12
	v_rndne_f32_e32 v17, v12
	v_fmac_f32_e32 v14, 0x32a5705f, v11
	v_sub_f32_e32 v4, v4, v15
	v_fmac_f32_e32 v16, 0x32a5705f, v13
	v_sub_f32_e32 v12, v12, v17
	v_add_f32_e32 v4, v4, v14
	v_cvt_i32_f32_e32 v15, v15
	v_add_f32_e32 v12, v12, v16
	v_exp_f32_e32 v14, v4
	v_cvt_i32_f32_e32 v17, v17
	v_exp_f32_e32 v12, v12
	v_cmp_ngt_f32_e32 vcc, s20, v11
	v_ldexp_f32 v14, v14, v15
	v_mov_b32_e32 v4, s5
	v_ldexp_f32 v12, v12, v17
	v_cndmask_b32_e32 v14, 0, v14, vcc
	v_cmp_ngt_f32_e32 vcc, s20, v13
	s_nop 1
	v_cndmask_b32_e32 v12, 0, v12, vcc
	v_cmp_nlt_f32_e32 vcc, s21, v11
	s_nop 1
	v_cndmask_b32_e32 v14, v8, v14, vcc
	v_cmp_nlt_f32_e32 vcc, s21, v13
	s_nop 1
	v_cndmask_b32_e32 v15, v8, v12, vcc
	v_cmp_le_f32_e32 vcc, s23, v11
	s_nop 1
	v_cndmask_b32_e32 v12, 0, v14, vcc
	v_cmp_le_f32_e32 vcc, s23, v13
	s_nop 1
	v_cndmask_b32_e32 v14, 0, v15, vcc
	s_waitcnt vmcnt(0)
	v_pk_mul_f32 v[4:5], v[4:5], v[14:15] op_sel_hi:[1,0]
	s_nop 0
	v_pk_fma_f32 v[4:5], v[0:1], v[12:13], v[4:5] op_sel_hi:[1,0,1]
	s_cbranch_execz .LBB39_16
	s_branch .LBB39_17
.LBB39_15:
                                        ; implicit-def: $vgpr4_vgpr5
                                        ; implicit-def: $sgpr2_sgpr3
                                        ; implicit-def: $vgpr10
                                        ; implicit-def: $sgpr1
                                        ; implicit-def: $sgpr25
.LBB39_16:
	s_add_i32 s1, s24, -1
	s_mov_b64 s[2:3], 0
	s_mov_b32 s25, s6
	v_mov_b32_e32 v10, v9
	s_waitcnt vmcnt(0)
	v_mov_b64_e32 v[4:5], v[0:1]
.LBB39_17:
	s_andn2_b64 vcc, exec, s[2:3]
	s_cbranch_vccz .LBB39_22
; %bb.18:
	s_mov_b32 s6, s25
	s_mov_b32 s24, s1
	v_mov_b32_e32 v9, v10
	s_waitcnt vmcnt(0)
	v_mov_b64_e32 v[0:1], v[4:5]
	s_mul_hi_i32 s1, s24, s11
	s_cmp_lg_u64 s[0:1], 0
	s_mul_i32 s8, s24, s11
	s_cbranch_scc1 .LBB39_9
.LBB39_19:
                                        ; implicit-def: $sgpr4_sgpr5
	s_branch .LBB39_10
.LBB39_20:
                                        ; implicit-def: $sgpr6_sgpr7
	s_load_dwordx4 s[12:15], s[0:1], 0x44
	s_branch .LBB39_2
.LBB39_21:
                                        ; implicit-def: $sgpr18_sgpr19
	s_branch .LBB39_5
.LBB39_22:
	v_div_scale_f32 v0, s[0:1], v4, v4, v5
	s_waitcnt vmcnt(0)
	v_rcp_f32_e32 v1, v0
	v_div_scale_f32 v6, vcc, v5, v4, v5
	v_fma_f32 v7, -v0, v1, 1.0
	v_fmac_f32_e32 v1, v7, v1
	v_mul_f32_e32 v7, v6, v1
	v_fma_f32 v8, -v0, v7, v6
	v_fmac_f32_e32 v7, v8, v1
	v_fma_f32 v0, -v0, v7, v6
	v_div_fmas_f32 v0, v0, v1, v7
	v_div_fixup_f32 v0, v0, v4, v5
	global_store_dword v[2:3], v0, off
.LBB39_23:
	s_endpgm
	.section	.rodata,"a",@progbits
	.p2align	6, 0x0
	.amdhsa_kernel _ZL33flash_attn_stream_k_fixup_generalILi512ELi8ELi8EEvPfPK15HIP_vector_typeIfLj2EEiiiiS1_IjLj3EES5_S5_S5_
		.amdhsa_group_segment_fixed_size 0
		.amdhsa_private_segment_fixed_size 0
		.amdhsa_kernarg_size 336
		.amdhsa_user_sgpr_count 2
		.amdhsa_user_sgpr_dispatch_ptr 0
		.amdhsa_user_sgpr_queue_ptr 0
		.amdhsa_user_sgpr_kernarg_segment_ptr 1
		.amdhsa_user_sgpr_dispatch_id 0
		.amdhsa_user_sgpr_kernarg_preload_length 0
		.amdhsa_user_sgpr_kernarg_preload_offset 0
		.amdhsa_user_sgpr_private_segment_size 0
		.amdhsa_uses_dynamic_stack 0
		.amdhsa_enable_private_segment 0
		.amdhsa_system_sgpr_workgroup_id_x 1
		.amdhsa_system_sgpr_workgroup_id_y 1
		.amdhsa_system_sgpr_workgroup_id_z 1
		.amdhsa_system_sgpr_workgroup_info 0
		.amdhsa_system_vgpr_workitem_id 0
		.amdhsa_next_free_vgpr 18
		.amdhsa_next_free_sgpr 36
		.amdhsa_accum_offset 20
		.amdhsa_reserve_vcc 1
		.amdhsa_float_round_mode_32 0
		.amdhsa_float_round_mode_16_64 0
		.amdhsa_float_denorm_mode_32 3
		.amdhsa_float_denorm_mode_16_64 3
		.amdhsa_dx10_clamp 1
		.amdhsa_ieee_mode 1
		.amdhsa_fp16_overflow 0
		.amdhsa_tg_split 0
		.amdhsa_exception_fp_ieee_invalid_op 0
		.amdhsa_exception_fp_denorm_src 0
		.amdhsa_exception_fp_ieee_div_zero 0
		.amdhsa_exception_fp_ieee_overflow 0
		.amdhsa_exception_fp_ieee_underflow 0
		.amdhsa_exception_fp_ieee_inexact 0
		.amdhsa_exception_int_div_zero 0
	.end_amdhsa_kernel
	.section	.text._ZL33flash_attn_stream_k_fixup_generalILi512ELi8ELi8EEvPfPK15HIP_vector_typeIfLj2EEiiiiS1_IjLj3EES5_S5_S5_,"axG",@progbits,_ZL33flash_attn_stream_k_fixup_generalILi512ELi8ELi8EEvPfPK15HIP_vector_typeIfLj2EEiiiiS1_IjLj3EES5_S5_S5_,comdat
.Lfunc_end39:
	.size	_ZL33flash_attn_stream_k_fixup_generalILi512ELi8ELi8EEvPfPK15HIP_vector_typeIfLj2EEiiiiS1_IjLj3EES5_S5_S5_, .Lfunc_end39-_ZL33flash_attn_stream_k_fixup_generalILi512ELi8ELi8EEvPfPK15HIP_vector_typeIfLj2EEiiiiS1_IjLj3EES5_S5_S5_
                                        ; -- End function
	.set _ZL33flash_attn_stream_k_fixup_generalILi512ELi8ELi8EEvPfPK15HIP_vector_typeIfLj2EEiiiiS1_IjLj3EES5_S5_S5_.num_vgpr, 18
	.set _ZL33flash_attn_stream_k_fixup_generalILi512ELi8ELi8EEvPfPK15HIP_vector_typeIfLj2EEiiiiS1_IjLj3EES5_S5_S5_.num_agpr, 0
	.set _ZL33flash_attn_stream_k_fixup_generalILi512ELi8ELi8EEvPfPK15HIP_vector_typeIfLj2EEiiiiS1_IjLj3EES5_S5_S5_.numbered_sgpr, 36
	.set _ZL33flash_attn_stream_k_fixup_generalILi512ELi8ELi8EEvPfPK15HIP_vector_typeIfLj2EEiiiiS1_IjLj3EES5_S5_S5_.num_named_barrier, 0
	.set _ZL33flash_attn_stream_k_fixup_generalILi512ELi8ELi8EEvPfPK15HIP_vector_typeIfLj2EEiiiiS1_IjLj3EES5_S5_S5_.private_seg_size, 0
	.set _ZL33flash_attn_stream_k_fixup_generalILi512ELi8ELi8EEvPfPK15HIP_vector_typeIfLj2EEiiiiS1_IjLj3EES5_S5_S5_.uses_vcc, 1
	.set _ZL33flash_attn_stream_k_fixup_generalILi512ELi8ELi8EEvPfPK15HIP_vector_typeIfLj2EEiiiiS1_IjLj3EES5_S5_S5_.uses_flat_scratch, 0
	.set _ZL33flash_attn_stream_k_fixup_generalILi512ELi8ELi8EEvPfPK15HIP_vector_typeIfLj2EEiiiiS1_IjLj3EES5_S5_S5_.has_dyn_sized_stack, 0
	.set _ZL33flash_attn_stream_k_fixup_generalILi512ELi8ELi8EEvPfPK15HIP_vector_typeIfLj2EEiiiiS1_IjLj3EES5_S5_S5_.has_recursion, 0
	.set _ZL33flash_attn_stream_k_fixup_generalILi512ELi8ELi8EEvPfPK15HIP_vector_typeIfLj2EEiiiiS1_IjLj3EES5_S5_S5_.has_indirect_call, 0
	.section	.AMDGPU.csdata,"",@progbits
; Kernel info:
; codeLenInByte = 2940
; TotalNumSgprs: 42
; NumVgprs: 18
; NumAgprs: 0
; TotalNumVgprs: 18
; ScratchSize: 0
; MemoryBound: 0
; FloatMode: 240
; IeeeMode: 1
; LDSByteSize: 0 bytes/workgroup (compile time only)
; SGPRBlocks: 5
; VGPRBlocks: 2
; NumSGPRsForWavesPerEU: 42
; NumVGPRsForWavesPerEU: 18
; AccumOffset: 20
; Occupancy: 8
; WaveLimiterHint : 0
; COMPUTE_PGM_RSRC2:SCRATCH_EN: 0
; COMPUTE_PGM_RSRC2:USER_SGPR: 2
; COMPUTE_PGM_RSRC2:TRAP_HANDLER: 0
; COMPUTE_PGM_RSRC2:TGID_X_EN: 1
; COMPUTE_PGM_RSRC2:TGID_Y_EN: 1
; COMPUTE_PGM_RSRC2:TGID_Z_EN: 1
; COMPUTE_PGM_RSRC2:TIDIG_COMP_CNT: 0
; COMPUTE_PGM_RSRC3_GFX90A:ACCUM_OFFSET: 4
; COMPUTE_PGM_RSRC3_GFX90A:TG_SPLIT: 0
	.section	.text._ZL26flash_attn_combine_resultsILi512EEvPKfPK15HIP_vector_typeIfLj2EEPfi,"axG",@progbits,_ZL26flash_attn_combine_resultsILi512EEvPKfPK15HIP_vector_typeIfLj2EEPfi,comdat
	.globl	_ZL26flash_attn_combine_resultsILi512EEvPKfPK15HIP_vector_typeIfLj2EEPfi ; -- Begin function _ZL26flash_attn_combine_resultsILi512EEvPKfPK15HIP_vector_typeIfLj2EEPfi
	.p2align	8
	.type	_ZL26flash_attn_combine_resultsILi512EEvPKfPK15HIP_vector_typeIfLj2EEPfi,@function
_ZL26flash_attn_combine_resultsILi512EEvPKfPK15HIP_vector_typeIfLj2EEPfi: ; @_ZL26flash_attn_combine_resultsILi512EEvPKfPK15HIP_vector_typeIfLj2EEPfi
; %bb.0:
	s_load_dwordx2 s[6:7], s[0:1], 0x20
	s_load_dword s19, s[0:1], 0x18
	s_load_dwordx4 s[8:11], s[0:1], 0x0
	s_load_dwordx2 s[14:15], s[0:1], 0x10
	s_waitcnt lgkmcnt(0)
	s_mul_i32 s0, s6, s4
	s_add_i32 s0, s0, s2
	s_mul_i32 s18, s0, s7
	s_add_i32 s18, s18, s3
	s_lshl_b32 s20, s19, 1
	s_mul_i32 s2, s18, s19
	v_cmp_gt_i32_e32 vcc, s20, v0
	s_and_saveexec_b64 s[0:1], vcc
	s_cbranch_execz .LBB40_13
; %bb.1:
	v_xad_u32 v1, v0, -1, s20
	s_movk_i32 s4, 0x1ff
	s_ashr_i32 s3, s2, 31
	v_cmp_lt_u32_e32 vcc, s4, v1
	s_mov_b64 s[6:7], -1
	v_mov_b32_e32 v2, v0
	s_and_saveexec_b64 s[4:5], vcc
	s_cbranch_execz .LBB40_10
; %bb.2:
	v_lshrrev_b32_e32 v6, 9, v1
	s_lshl_b64 s[6:7], s[2:3], 3
	v_add_u32_e32 v2, -1, v6
	s_add_u32 s6, s10, s6
	v_or_b32_e32 v1, 0x200, v0
	v_lshrrev_b32_e32 v3, 1, v2
	s_addc_u32 s7, s11, s7
	s_mov_b32 s21, 0
	v_add_u32_e32 v7, 1, v3
	v_cmp_lt_u32_e32 vcc, 13, v2
	v_mov_b32_e32 v4, 0
	v_mov_b64_e32 v[2:3], v[0:1]
	s_and_saveexec_b64 s[12:13], vcc
	s_cbranch_execz .LBB40_6
; %bb.3:
	v_and_b32_e32 v8, -8, v7
	v_lshl_add_u32 v9, v0, 2, 0
	s_mov_b64 s[16:17], 0
	v_mov_b32_e32 v5, 0
	v_mov_b64_e32 v[2:3], v[0:1]
.LBB40_4:                               ; =>This Inner Loop Header: Depth=1
	v_mov_b32_e32 v4, v2
	v_lshl_add_u64 v[24:25], v[4:5], 2, s[6:7]
	v_mov_b32_e32 v4, v3
	v_add_u32_e32 v10, 0x400, v3
	v_mov_b32_e32 v11, v5
	v_lshl_add_u64 v[26:27], v[4:5], 2, s[6:7]
	v_add_u32_e32 v4, 0x400, v2
	v_lshl_add_u64 v[10:11], v[10:11], 2, s[6:7]
	global_load_dword v1, v[24:25], off
	v_lshl_add_u64 v[24:25], v[4:5], 2, s[6:7]
	v_add_u32_e32 v4, 0x800, v2
	global_load_dword v28, v[26:27], off
	global_load_dword v29, v[24:25], off
	;; [unrolled: 1-line block ×3, first 2 shown]
	v_lshl_add_u64 v[10:11], v[4:5], 2, s[6:7]
	v_add_u32_e32 v4, 0xc00, v2
	v_add_u32_e32 v12, 0x800, v3
	v_mov_b32_e32 v13, v5
	v_add_u32_e32 v14, 0xc00, v3
	v_mov_b32_e32 v15, v5
	v_lshl_add_u64 v[24:25], v[4:5], 2, s[6:7]
	v_add_u32_e32 v4, 0x1000, v2
	v_lshl_add_u64 v[12:13], v[12:13], 2, s[6:7]
	v_lshl_add_u64 v[14:15], v[14:15], 2, s[6:7]
	global_load_dword v26, v[10:11], off
	global_load_dword v27, v[12:13], off
	;; [unrolled: 1-line block ×4, first 2 shown]
	v_lshl_add_u64 v[10:11], v[4:5], 2, s[6:7]
	v_add_u32_e32 v4, 0x1400, v2
	v_add_u32_e32 v16, 0x1000, v3
	v_mov_b32_e32 v17, v5
	v_add_u32_e32 v18, 0x1400, v3
	v_mov_b32_e32 v19, v5
	v_lshl_add_u64 v[12:13], v[4:5], 2, s[6:7]
	v_add_u32_e32 v4, 0x1800, v2
	v_add_u32_e32 v20, 0x1800, v3
	v_mov_b32_e32 v21, v5
	v_add_u32_e32 v22, 0x1c00, v3
	v_mov_b32_e32 v23, v5
	v_lshl_add_u64 v[16:17], v[16:17], 2, s[6:7]
	v_lshl_add_u64 v[18:19], v[18:19], 2, s[6:7]
	global_load_dword v14, v[10:11], off
	global_load_dword v15, v[16:17], off
	;; [unrolled: 1-line block ×4, first 2 shown]
	v_lshl_add_u64 v[10:11], v[4:5], 2, s[6:7]
	v_add_u32_e32 v4, 0x1c00, v2
	v_lshl_add_u64 v[20:21], v[20:21], 2, s[6:7]
	v_lshl_add_u64 v[22:23], v[22:23], 2, s[6:7]
	;; [unrolled: 1-line block ×3, first 2 shown]
	global_load_dword v16, v[10:11], off
	global_load_dword v17, v[20:21], off
	;; [unrolled: 1-line block ×4, first 2 shown]
	v_add_u32_e32 v8, -8, v8
	s_add_i32 s21, s21, 16
	v_cmp_eq_u32_e32 vcc, 0, v8
	v_add_u32_e32 v3, 0x2000, v3
	v_mov_b32_e32 v4, s21
	s_or_b64 s[16:17], vcc, s[16:17]
	v_add_u32_e32 v2, 0x2000, v2
	s_waitcnt vmcnt(14)
	ds_write2st64_b32 v9, v1, v28 offset1:8
	s_waitcnt vmcnt(12)
	ds_write2st64_b32 v9, v29, v30 offset0:16 offset1:24
	s_waitcnt vmcnt(10)
	ds_write2st64_b32 v9, v26, v27 offset0:32 offset1:40
	;; [unrolled: 2-line block ×7, first 2 shown]
	v_add_u32_e32 v9, 0x8000, v9
	s_andn2_b64 exec, exec, s[16:17]
	s_cbranch_execnz .LBB40_4
; %bb.5:
	s_or_b64 exec, exec, s[16:17]
.LBB40_6:
	s_or_b64 exec, exec, s[12:13]
	v_and_b32_e32 v1, 7, v7
	v_cmp_ne_u32_e32 vcc, 0, v1
	s_and_saveexec_b64 s[12:13], vcc
	s_cbranch_execz .LBB40_9
; %bb.7:
	v_lshlrev_b32_e32 v5, 2, v0
	v_lshl_or_b32 v4, v4, 11, v5
	v_add_u32_e32 v7, 0, v4
	s_mov_b64 s[16:17], 0
	v_mov_b32_e32 v5, 0
.LBB40_8:                               ; =>This Inner Loop Header: Depth=1
	v_mov_b32_e32 v4, v2
	v_lshl_add_u64 v[8:9], v[4:5], 2, s[6:7]
	v_mov_b32_e32 v4, v3
	v_lshl_add_u64 v[10:11], v[4:5], 2, s[6:7]
	global_load_dword v4, v[8:9], off
	global_load_dword v12, v[10:11], off
	v_add_u32_e32 v1, -1, v1
	v_cmp_eq_u32_e32 vcc, 0, v1
	v_add_u32_e32 v2, 0x400, v2
	v_add_u32_e32 v3, 0x400, v3
	s_or_b64 s[16:17], vcc, s[16:17]
	s_waitcnt vmcnt(0)
	ds_write2st64_b32 v7, v4, v12 offset1:8
	v_add_u32_e32 v7, 0x1000, v7
	s_andn2_b64 exec, exec, s[16:17]
	s_cbranch_execnz .LBB40_8
.LBB40_9:
	s_or_b64 exec, exec, s[12:13]
	v_add_u32_e32 v1, 1, v6
	v_and_b32_e32 v3, 0xfffffe, v1
	v_cmp_ne_u32_e32 vcc, v1, v3
	v_lshl_or_b32 v2, v3, 9, v0
	s_orn2_b64 s[6:7], vcc, exec
.LBB40_10:
	s_or_b64 exec, exec, s[4:5]
	s_and_b64 exec, exec, s[6:7]
	s_cbranch_execz .LBB40_13
; %bb.11:
	s_lshl_b64 s[4:5], s[2:3], 3
	s_add_u32 s4, s10, s4
	v_mov_b32_e32 v3, 0
	s_addc_u32 s5, s11, s5
	v_lshl_add_u64 v[4:5], v[2:3], 2, s[4:5]
	v_lshl_add_u32 v1, v2, 2, 0
	s_mov_b64 s[4:5], 0
	s_mov_b64 s[6:7], 0x800
.LBB40_12:                              ; =>This Inner Loop Header: Depth=1
	global_load_dword v3, v[4:5], off
	v_add_u32_e32 v2, 0x200, v2
	v_cmp_le_i32_e32 vcc, s20, v2
	v_lshl_add_u64 v[4:5], v[4:5], 0, s[6:7]
	s_or_b64 s[4:5], vcc, s[4:5]
	s_waitcnt vmcnt(0)
	ds_write_b32 v1, v3
	v_add_u32_e32 v1, 0x800, v1
	s_andn2_b64 exec, exec, s[4:5]
	s_cbranch_execnz .LBB40_12
.LBB40_13:
	s_or_b64 exec, exec, s[0:1]
	v_mov_b32_e32 v1, 0
	s_waitcnt lgkmcnt(0)
	s_barrier
	ds_read_b32 v1, v1
	s_cmp_lt_i32 s19, 2
	s_cbranch_scc1 .LBB40_21
; %bb.14:
	s_cmp_eq_u32 s19, 2
	s_cbranch_scc1 .LBB40_18
; %bb.15:
	s_add_i32 s3, s19, -1
	s_and_b32 s4, s3, -2
	s_add_i32 s6, 0, 8
	s_mov_b32 s5, 2
	s_waitcnt lgkmcnt(0)
	v_mov_b32_e32 v4, v1
.LBB40_16:                              ; =>This Inner Loop Header: Depth=1
	v_mov_b32_e32 v2, v1
	v_mov_b32_e32 v1, s6
	v_mov_b32_e32 v3, v4
	ds_read2_b32 v[4:5], v1 offset1:2
	s_cmp_lg_u32 s4, s5
	s_cselect_b64 s[10:11], -1, 0
	v_max_f32_e32 v1, v3, v3
	v_max_f32_e32 v6, v2, v2
	s_waitcnt lgkmcnt(0)
	v_cmp_u_f32_e32 vcc, v5, v5
	v_max_f32_e32 v7, v5, v5
	v_max_f32_e32 v8, v4, v4
	v_cndmask_b32_e64 v5, 0, 1, vcc
	v_cmp_u_f32_e32 vcc, v4, v4
	v_readfirstlane_b32 s0, v5
	s_lshl_b32 s0, s0, 1
	v_cndmask_b32_e64 v9, 0, 1, vcc
	v_max_f32_e32 v4, v1, v7
	v_readfirstlane_b32 s1, v9
	s_or_b32 s0, s1, s0
	s_and_b32 s7, s0, 3
	s_cmp_lg_u32 s7, 0
	s_cselect_b64 s[0:1], -1, 0
	s_cmp_eq_u32 s7, 0
	s_cselect_b64 s[12:13], -1, 0
	s_and_b64 s[10:11], s[12:13], s[10:11]
	v_max_f32_e32 v1, v6, v8
	s_add_i32 s5, s5, 2
	s_add_i32 s6, s6, 16
	s_and_b64 vcc, exec, s[10:11]
	s_cbranch_vccnz .LBB40_16
; %bb.17:
	s_add_i32 s5, s5, -4
	s_and_b64 s[6:7], s[0:1], exec
	s_cselect_b32 s5, s5, s3
	s_or_b32 s5, s5, 1
	v_cndmask_b32_e64 v1, v1, v2, s[0:1]
	v_cndmask_b32_e64 v2, v4, v3, s[0:1]
	s_cmp_lg_u32 s3, s4
	v_max_f32_e32 v2, v2, v2
	v_max_f32_e32 v1, v1, v1
	s_cselect_b64 s[6:7], -1, 0
	v_max_f32_e32 v1, v1, v2
	s_or_b64 s[0:1], s[6:7], s[0:1]
	s_and_b64 vcc, exec, s[0:1]
	s_cbranch_vccnz .LBB40_19
	s_branch .LBB40_21
.LBB40_18:
	s_mov_b32 s5, 1
	s_cbranch_execz .LBB40_21
.LBB40_19:
	s_lshl_b32 s1, s5, 3
	s_sub_i32 s0, s19, s5
	s_add_i32 s1, s1, 0
.LBB40_20:                              ; =>This Inner Loop Header: Depth=1
	v_mov_b32_e32 v2, s1
	ds_read_b32 v2, v2
	s_waitcnt lgkmcnt(1)
	v_max_f32_e32 v1, v1, v1
	s_add_i32 s0, s0, -1
	s_add_i32 s1, s1, 8
	s_cmp_eq_u32 s0, 0
	s_waitcnt lgkmcnt(0)
	v_max_f32_e32 v2, v2, v2
	v_max_f32_e32 v1, v1, v2
	s_cbranch_scc0 .LBB40_20
.LBB40_21:
	s_cmp_lt_i32 s19, 1
	s_cbranch_scc1 .LBB40_26
; %bb.22:
	s_lshl_b32 s0, s2, 9
	s_ashr_i32 s1, s0, 31
	s_lshl_b64 s[0:1], s[0:1], 2
	s_add_u32 s16, s8, s0
	s_addc_u32 s17, s9, s1
	s_cmp_lt_u32 s19, 8
	s_cbranch_scc1 .LBB40_27
; %bb.23:
	v_mov_b32_e32 v7, 0
	s_and_b32 s20, s19, 0x7ffffff8
	v_or_b32_e32 v4, 0xe00, v0
	s_mov_b32 s21, 0
	s_mov_b32 s22, 0x3fb8aa3b
	;; [unrolled: 1-line block ×4, first 2 shown]
	v_mov_b32_e32 v8, 0x7f800000
	s_mov_b32 s25, 0
	v_mov_b32_e32 v2, v7
	v_mov_b32_e32 v3, v7
.LBB40_24:                              ; =>This Inner Loop Header: Depth=1
	v_add_u32_e32 v6, 0xfffff200, v4
	v_lshl_add_u64 v[26:27], v[6:7], 2, s[16:17]
	v_add_u32_e32 v6, 0xfffff400, v4
	v_mov_b32_e32 v9, s21
	v_lshl_add_u64 v[30:31], v[6:7], 2, s[16:17]
	v_add_u32_e32 v6, 0xfffff600, v4
	ds_read2_b64 v[10:13], v9 offset1:1
	ds_read2_b64 v[14:17], v9 offset0:2 offset1:3
	ds_read2_b64 v[18:21], v9 offset0:4 offset1:5
	;; [unrolled: 1-line block ×3, first 2 shown]
	global_load_dword v33, v[26:27], off
	global_load_dword v35, v[30:31], off
	v_lshl_add_u64 v[26:27], v[6:7], 2, s[16:17]
	v_add_u32_e32 v6, 0xfffff800, v4
	v_lshl_add_u64 v[30:31], v[6:7], 2, s[16:17]
	v_add_u32_e32 v6, 0xfffffa00, v4
	global_load_dword v37, v[26:27], off
	global_load_dword v39, v[30:31], off
	v_lshl_add_u64 v[26:27], v[6:7], 2, s[16:17]
	v_add_u32_e32 v6, 0xfffffc00, v4
	s_waitcnt lgkmcnt(3)
	v_mov_b32_e32 v32, v11
	v_sub_f32_e32 v9, v12, v1
	v_mov_b32_e32 v34, v13
	global_load_dword v11, v[26:27], off
	v_lshl_add_u64 v[12:13], v[6:7], 2, s[16:17]
	s_waitcnt lgkmcnt(2)
	v_mov_b32_e32 v36, v15
	v_add_u32_e32 v6, 0xfffffe00, v4
	global_load_dword v15, v[12:13], off
	v_mov_b32_e32 v5, v7
	v_lshl_add_u64 v[12:13], v[6:7], 2, s[16:17]
	v_lshl_add_u64 v[28:29], v[4:5], 2, s[16:17]
	v_sub_f32_e32 v5, v10, v1
	v_mov_b32_e32 v38, v17
	s_waitcnt lgkmcnt(1)
	v_mov_b32_e32 v10, v19
	global_load_dword v17, v[12:13], off
	global_load_dword v19, v[28:29], off
	v_sub_f32_e32 v30, v14, v1
	v_sub_f32_e32 v31, v16, v1
	;; [unrolled: 1-line block ×3, first 2 shown]
	v_mov_b32_e32 v14, v21
	s_waitcnt lgkmcnt(0)
	v_sub_f32_e32 v21, v22, v1
	v_mov_b32_e32 v16, v23
	v_sub_f32_e32 v22, v24, v1
	v_mul_f32_e32 v23, 0x3fb8aa3b, v5
	v_mov_b32_e32 v18, v25
	v_mul_f32_e32 v24, 0x3fb8aa3b, v9
	v_mul_f32_e32 v25, 0x3fb8aa3b, v30
	;; [unrolled: 1-line block ×5, first 2 shown]
	v_fma_f32 v43, v5, s22, -v23
	v_rndne_f32_e32 v44, v23
	v_sub_f32_e32 v20, v20, v1
	v_fma_f32 v45, v9, s22, -v24
	v_rndne_f32_e32 v46, v24
	v_fma_f32 v47, v30, s22, -v25
	v_rndne_f32_e32 v48, v25
	;; [unrolled: 2-line block ×5, first 2 shown]
	v_fmac_f32_e32 v43, 0x32a5705f, v5
	v_sub_f32_e32 v12, v23, v44
	v_mul_f32_e32 v26, 0x3fb8aa3b, v31
	v_mul_f32_e32 v41, 0x3fb8aa3b, v20
	v_fmac_f32_e32 v45, 0x32a5705f, v9
	v_sub_f32_e32 v23, v24, v46
	v_fmac_f32_e32 v47, 0x32a5705f, v30
	v_sub_f32_e32 v25, v25, v48
	;; [unrolled: 2-line block ×5, first 2 shown]
	v_add_f32_e32 v12, v12, v43
	v_fma_f32 v49, v31, s22, -v26
	v_rndne_f32_e32 v50, v26
	v_fma_f32 v53, v20, s22, -v41
	v_rndne_f32_e32 v54, v41
	v_cvt_i32_f32_e32 v13, v44
	v_add_f32_e32 v23, v23, v45
	v_add_f32_e32 v25, v25, v47
	;; [unrolled: 1-line block ×5, first 2 shown]
	v_exp_f32_e32 v12, v12
	v_cvt_i32_f32_e32 v24, v46
	v_cvt_i32_f32_e32 v28, v48
	v_fmac_f32_e32 v49, 0x32a5705f, v31
	v_sub_f32_e32 v26, v26, v50
	v_cvt_i32_f32_e32 v29, v50
	v_cvt_i32_f32_e32 v44, v52
	v_fmac_f32_e32 v53, 0x32a5705f, v20
	v_sub_f32_e32 v41, v41, v54
	v_cvt_i32_f32_e32 v48, v56
	v_cvt_i32_f32_e32 v50, v58
	v_exp_f32_e32 v23, v23
	v_exp_f32_e32 v25, v25
	v_exp_f32_e32 v27, v27
	v_exp_f32_e32 v42, v42
	v_exp_f32_e32 v6, v6
	v_add_f32_e32 v26, v26, v49
	v_add_f32_e32 v41, v41, v53
	v_cvt_i32_f32_e32 v46, v54
	v_exp_f32_e32 v26, v26
	v_exp_f32_e32 v41, v41
	v_ldexp_f32 v12, v12, v13
	v_cmp_ngt_f32_e64 s[12:13], s23, v5
	v_ldexp_f32 v13, v23, v24
	v_cmp_ngt_f32_e32 vcc, s23, v9
	v_ldexp_f32 v23, v25, v28
	v_ldexp_f32 v25, v27, v44
	;; [unrolled: 1-line block ×3, first 2 shown]
	v_cmp_ngt_f32_e64 s[8:9], s23, v21
	v_ldexp_f32 v6, v6, v50
	v_cmp_ngt_f32_e64 s[10:11], s23, v22
	v_cndmask_b32_e64 v12, 0, v12, s[12:13]
	v_cmp_nlt_f32_e64 s[12:13], s24, v5
	v_cmp_ngt_f32_e64 s[0:1], s23, v30
	v_cndmask_b32_e32 v13, 0, v13, vcc
	v_cmp_nlt_f32_e32 vcc, s24, v9
	v_cndmask_b32_e64 v27, 0, v27, s[8:9]
	v_cmp_nlt_f32_e64 s[8:9], s24, v21
	v_cndmask_b32_e64 v21, 0, v6, s[10:11]
	v_cndmask_b32_e64 v6, v8, v12, s[12:13]
	v_ldexp_f32 v24, v26, v29
	v_cmp_ngt_f32_e64 s[2:3], s23, v31
	v_cmp_ngt_f32_e64 s[4:5], s23, v40
	v_ldexp_f32 v26, v41, v46
	v_cmp_ngt_f32_e64 s[6:7], s23, v20
	v_cndmask_b32_e64 v9, 0, v23, s[0:1]
	v_cmp_nlt_f32_e64 s[0:1], s24, v30
	v_cndmask_b32_e32 v12, v8, v13, vcc
	s_waitcnt vmcnt(7)
	v_pk_fma_f32 v[2:3], v[6:7], v[32:33], v[2:3] op_sel_hi:[0,1,1]
	v_cndmask_b32_e64 v23, 0, v24, s[2:3]
	v_cmp_nlt_f32_e64 s[2:3], s24, v31
	v_cndmask_b32_e64 v24, 0, v25, s[4:5]
	v_cndmask_b32_e64 v25, 0, v26, s[6:7]
	v_cmp_nlt_f32_e64 s[6:7], s24, v20
	v_cndmask_b32_e64 v20, v8, v9, s[0:1]
	s_waitcnt vmcnt(6)
	v_pk_fma_f32 v[2:3], v[12:13], v[34:35], v[2:3] op_sel_hi:[0,1,1]
	v_cmp_nlt_f32_e64 s[4:5], s24, v40
	v_cmp_nlt_f32_e64 s[10:11], s24, v22
	v_cndmask_b32_e64 v22, v8, v23, s[2:3]
	s_waitcnt vmcnt(5)
	v_pk_fma_f32 v[2:3], v[20:21], v[36:37], v[2:3] op_sel_hi:[0,1,1]
	v_cndmask_b32_e64 v24, v8, v24, s[4:5]
	s_waitcnt vmcnt(4)
	v_pk_fma_f32 v[2:3], v[22:23], v[38:39], v[2:3] op_sel_hi:[0,1,1]
	;; [unrolled: 3-line block ×4, first 2 shown]
	s_add_i32 s25, s25, 8
	s_add_i32 s21, s21, 64
	v_cndmask_b32_e64 v30, v8, v21, s[10:11]
	s_waitcnt vmcnt(1)
	v_pk_fma_f32 v[2:3], v[28:29], v[16:17], v[2:3] op_sel_hi:[0,1,1]
	s_cmp_eq_u32 s20, s25
	v_add_u32_e32 v4, 0x1000, v4
	s_waitcnt vmcnt(0)
	v_pk_fma_f32 v[2:3], v[30:31], v[18:19], v[2:3] op_sel_hi:[0,1,1]
	s_cbranch_scc0 .LBB40_24
; %bb.25:
	s_and_b32 s0, s19, 7
	s_cmp_eq_u32 s0, 0
	s_cbranch_scc0 .LBB40_28
	s_branch .LBB40_30
.LBB40_26:
	s_waitcnt lgkmcnt(0)
	v_mov_b32_e32 v1, 0x7fc00000
	s_branch .LBB40_31
.LBB40_27:
	v_mov_b32_e32 v2, 0
	s_mov_b32 s20, 0
	v_mov_b32_e32 v3, v2
	s_and_b32 s0, s19, 7
	s_cmp_eq_u32 s0, 0
	s_cbranch_scc1 .LBB40_30
.LBB40_28:
	s_lshl_b32 s1, s20, 3
	v_lshl_or_b32 v4, s20, 9, v0
	s_add_i32 s1, s1, 0
	s_mov_b32 s2, 0x3fb8aa3b
	s_mov_b32 s3, 0xc2ce8ed0
	;; [unrolled: 1-line block ×3, first 2 shown]
	v_mov_b32_e32 v6, 0x7f800000
	v_mov_b32_e32 v5, 0
.LBB40_29:                              ; =>This Inner Loop Header: Depth=1
	v_lshl_add_u64 v[8:9], v[4:5], 2, s[16:17]
	global_load_dword v9, v[8:9], off
	v_mov_b32_e32 v7, s1
	ds_read_b64 v[10:11], v7
	s_add_i32 s1, s1, 8
	s_add_i32 s0, s0, -1
	v_add_u32_e32 v4, 0x200, v4
	s_cmp_lg_u32 s0, 0
	s_waitcnt lgkmcnt(0)
	v_sub_f32_e32 v7, v10, v1
	v_mul_f32_e32 v8, 0x3fb8aa3b, v7
	v_fma_f32 v10, v7, s2, -v8
	v_rndne_f32_e32 v12, v8
	v_fmac_f32_e32 v10, 0x32a5705f, v7
	v_sub_f32_e32 v8, v8, v12
	v_add_f32_e32 v8, v8, v10
	v_cvt_i32_f32_e32 v12, v12
	v_exp_f32_e32 v10, v8
	v_cmp_ngt_f32_e32 vcc, s3, v7
	v_mov_b32_e32 v8, v11
	v_ldexp_f32 v10, v10, v12
	v_cndmask_b32_e32 v10, 0, v10, vcc
	v_cmp_nlt_f32_e32 vcc, s4, v7
	s_nop 1
	v_cndmask_b32_e32 v10, v6, v10, vcc
	s_waitcnt vmcnt(0)
	v_pk_fma_f32 v[2:3], v[10:11], v[8:9], v[2:3] op_sel_hi:[0,1,1]
	s_cbranch_scc1 .LBB40_29
.LBB40_30:
	s_waitcnt lgkmcnt(0)
	v_div_scale_f32 v1, s[0:1], v2, v2, v3
	v_rcp_f32_e32 v4, v1
	v_div_scale_f32 v5, vcc, v3, v2, v3
	v_fma_f32 v6, -v1, v4, 1.0
	v_fmac_f32_e32 v4, v6, v4
	v_mul_f32_e32 v6, v5, v4
	v_fma_f32 v7, -v1, v6, v5
	v_fmac_f32_e32 v6, v7, v4
	v_fma_f32 v1, -v1, v6, v5
	v_div_fmas_f32 v1, v1, v4, v6
	v_div_fixup_f32 v1, v1, v2, v3
.LBB40_31:
	s_lshl_b32 s0, s18, 9
	s_ashr_i32 s1, s0, 31
	s_lshl_b64 s[0:1], s[0:1], 2
	s_add_u32 s0, s14, s0
	s_addc_u32 s1, s15, s1
	v_lshlrev_b32_e32 v0, 2, v0
	global_store_dword v0, v1, s[0:1]
	s_endpgm
	.section	.rodata,"a",@progbits
	.p2align	6, 0x0
	.amdhsa_kernel _ZL26flash_attn_combine_resultsILi512EEvPKfPK15HIP_vector_typeIfLj2EEPfi
		.amdhsa_group_segment_fixed_size 0
		.amdhsa_private_segment_fixed_size 0
		.amdhsa_kernarg_size 288
		.amdhsa_user_sgpr_count 2
		.amdhsa_user_sgpr_dispatch_ptr 0
		.amdhsa_user_sgpr_queue_ptr 0
		.amdhsa_user_sgpr_kernarg_segment_ptr 1
		.amdhsa_user_sgpr_dispatch_id 0
		.amdhsa_user_sgpr_kernarg_preload_length 0
		.amdhsa_user_sgpr_kernarg_preload_offset 0
		.amdhsa_user_sgpr_private_segment_size 0
		.amdhsa_uses_dynamic_stack 0
		.amdhsa_enable_private_segment 0
		.amdhsa_system_sgpr_workgroup_id_x 1
		.amdhsa_system_sgpr_workgroup_id_y 1
		.amdhsa_system_sgpr_workgroup_id_z 1
		.amdhsa_system_sgpr_workgroup_info 0
		.amdhsa_system_vgpr_workitem_id 0
		.amdhsa_next_free_vgpr 59
		.amdhsa_next_free_sgpr 26
		.amdhsa_accum_offset 60
		.amdhsa_reserve_vcc 1
		.amdhsa_float_round_mode_32 0
		.amdhsa_float_round_mode_16_64 0
		.amdhsa_float_denorm_mode_32 3
		.amdhsa_float_denorm_mode_16_64 3
		.amdhsa_dx10_clamp 1
		.amdhsa_ieee_mode 1
		.amdhsa_fp16_overflow 0
		.amdhsa_tg_split 0
		.amdhsa_exception_fp_ieee_invalid_op 0
		.amdhsa_exception_fp_denorm_src 0
		.amdhsa_exception_fp_ieee_div_zero 0
		.amdhsa_exception_fp_ieee_overflow 0
		.amdhsa_exception_fp_ieee_underflow 0
		.amdhsa_exception_fp_ieee_inexact 0
		.amdhsa_exception_int_div_zero 0
	.end_amdhsa_kernel
	.section	.text._ZL26flash_attn_combine_resultsILi512EEvPKfPK15HIP_vector_typeIfLj2EEPfi,"axG",@progbits,_ZL26flash_attn_combine_resultsILi512EEvPKfPK15HIP_vector_typeIfLj2EEPfi,comdat
.Lfunc_end40:
	.size	_ZL26flash_attn_combine_resultsILi512EEvPKfPK15HIP_vector_typeIfLj2EEPfi, .Lfunc_end40-_ZL26flash_attn_combine_resultsILi512EEvPKfPK15HIP_vector_typeIfLj2EEPfi
                                        ; -- End function
	.set _ZL26flash_attn_combine_resultsILi512EEvPKfPK15HIP_vector_typeIfLj2EEPfi.num_vgpr, 59
	.set _ZL26flash_attn_combine_resultsILi512EEvPKfPK15HIP_vector_typeIfLj2EEPfi.num_agpr, 0
	.set _ZL26flash_attn_combine_resultsILi512EEvPKfPK15HIP_vector_typeIfLj2EEPfi.numbered_sgpr, 26
	.set _ZL26flash_attn_combine_resultsILi512EEvPKfPK15HIP_vector_typeIfLj2EEPfi.num_named_barrier, 0
	.set _ZL26flash_attn_combine_resultsILi512EEvPKfPK15HIP_vector_typeIfLj2EEPfi.private_seg_size, 0
	.set _ZL26flash_attn_combine_resultsILi512EEvPKfPK15HIP_vector_typeIfLj2EEPfi.uses_vcc, 1
	.set _ZL26flash_attn_combine_resultsILi512EEvPKfPK15HIP_vector_typeIfLj2EEPfi.uses_flat_scratch, 0
	.set _ZL26flash_attn_combine_resultsILi512EEvPKfPK15HIP_vector_typeIfLj2EEPfi.has_dyn_sized_stack, 0
	.set _ZL26flash_attn_combine_resultsILi512EEvPKfPK15HIP_vector_typeIfLj2EEPfi.has_recursion, 0
	.set _ZL26flash_attn_combine_resultsILi512EEvPKfPK15HIP_vector_typeIfLj2EEPfi.has_indirect_call, 0
	.section	.AMDGPU.csdata,"",@progbits
; Kernel info:
; codeLenInByte = 2924
; TotalNumSgprs: 32
; NumVgprs: 59
; NumAgprs: 0
; TotalNumVgprs: 59
; ScratchSize: 0
; MemoryBound: 0
; FloatMode: 240
; IeeeMode: 1
; LDSByteSize: 0 bytes/workgroup (compile time only)
; SGPRBlocks: 3
; VGPRBlocks: 7
; NumSGPRsForWavesPerEU: 32
; NumVGPRsForWavesPerEU: 59
; AccumOffset: 60
; Occupancy: 8
; WaveLimiterHint : 0
; COMPUTE_PGM_RSRC2:SCRATCH_EN: 0
; COMPUTE_PGM_RSRC2:USER_SGPR: 2
; COMPUTE_PGM_RSRC2:TRAP_HANDLER: 0
; COMPUTE_PGM_RSRC2:TGID_X_EN: 1
; COMPUTE_PGM_RSRC2:TGID_Y_EN: 1
; COMPUTE_PGM_RSRC2:TGID_Z_EN: 1
; COMPUTE_PGM_RSRC2:TIDIG_COMP_CNT: 0
; COMPUTE_PGM_RSRC3_GFX90A:ACCUM_OFFSET: 14
; COMPUTE_PGM_RSRC3_GFX90A:TG_SPLIT: 0
	.text
	.p2alignl 6, 3212836864
	.fill 256, 4, 3212836864
	.section	.AMDGPU.gpr_maximums,"",@progbits
	.set amdgpu.max_num_vgpr, 50
	.set amdgpu.max_num_agpr, 0
	.set amdgpu.max_num_sgpr, 34
	.text
	.type	.str.3,@object                  ; @.str.3
	.section	.rodata.str1.1,"aMS",@progbits,1
.str.3:
	.asciz	"/root/src/amdgpu-assembly/repos/ggml-org__llama.cpp/ggml/src/ggml-cuda/template-instances/../fattn-mma-f16.cuh"
	.size	.str.3, 111

	.type	__FUNCTION__._ZL18flash_attn_ext_f16ILi64ELi64ELi8ELi8ELb1ELb0EEvPKcS1_S1_S1_S1_PKiPfP15HIP_vector_typeIfLj2EEffffjfiS5_IjLj3EEiiiiiiiiiiiliiliiiiil,@object ; @__FUNCTION__._ZL18flash_attn_ext_f16ILi64ELi64ELi8ELi8ELb1ELb0EEvPKcS1_S1_S1_S1_PKiPfP15HIP_vector_typeIfLj2EEffffjfiS5_IjLj3EEiiiiiiiiiiiliiliiiiil
__FUNCTION__._ZL18flash_attn_ext_f16ILi64ELi64ELi8ELi8ELb1ELb0EEvPKcS1_S1_S1_S1_PKiPfP15HIP_vector_typeIfLj2EEffffjfiS5_IjLj3EEiiiiiiiiiiiliiliiiiil:
	.asciz	"flash_attn_ext_f16"
	.size	__FUNCTION__._ZL18flash_attn_ext_f16ILi64ELi64ELi8ELi8ELb1ELb0EEvPKcS1_S1_S1_S1_PKiPfP15HIP_vector_typeIfLj2EEffffjfiS5_IjLj3EEiiiiiiiiiiiliiliiiiil, 19

	.type	.str.5,@object                  ; @.str.5
.str.5:
	.asciz	"%s:%d: ERROR: HIP kernel %s has no device code compatible with HIP arch %d.\n"
	.size	.str.5, 77

	.type	__hip_cuid_869c4a94c260c76a,@object ; @__hip_cuid_869c4a94c260c76a
	.section	.bss,"aw",@nobits
	.globl	__hip_cuid_869c4a94c260c76a
__hip_cuid_869c4a94c260c76a:
	.byte	0                               ; 0x0
	.size	__hip_cuid_869c4a94c260c76a, 1

	.ident	"AMD clang version 22.0.0git (https://github.com/RadeonOpenCompute/llvm-project roc-7.2.4 26084 f58b06dce1f9c15707c5f808fd002e18c2accf7e)"
	.section	".note.GNU-stack","",@progbits
	.addrsig
	.addrsig_sym __hip_cuid_869c4a94c260c76a
	.amdgpu_metadata
---
amdhsa.kernels:
  - .agpr_count:     0
    .args:
      - .address_space:  global
        .offset:         0
        .size:           8
        .value_kind:     global_buffer
      - .address_space:  global
        .offset:         8
        .size:           8
        .value_kind:     global_buffer
      - .address_space:  global
        .offset:         16
        .size:           8
        .value_kind:     global_buffer
      - .address_space:  global
        .offset:         24
        .size:           8
        .value_kind:     global_buffer
      - .address_space:  global
        .offset:         32
        .size:           8
        .value_kind:     global_buffer
      - .address_space:  global
        .offset:         40
        .size:           8
        .value_kind:     global_buffer
      - .address_space:  global
        .offset:         48
        .size:           8
        .value_kind:     global_buffer
      - .address_space:  global
        .offset:         56
        .size:           8
        .value_kind:     global_buffer
      - .offset:         64
        .size:           4
        .value_kind:     by_value
      - .offset:         68
        .size:           4
        .value_kind:     by_value
      - .offset:         72
        .size:           4
        .value_kind:     by_value
      - .offset:         76
        .size:           4
        .value_kind:     by_value
      - .offset:         80
        .size:           4
        .value_kind:     by_value
      - .offset:         84
        .size:           4
        .value_kind:     by_value
      - .offset:         88
        .size:           4
        .value_kind:     by_value
      - .offset:         92
        .size:           12
        .value_kind:     by_value
      - .offset:         104
        .size:           4
        .value_kind:     by_value
      - .offset:         108
        .size:           4
        .value_kind:     by_value
      - .offset:         112
        .size:           4
        .value_kind:     by_value
      - .offset:         116
        .size:           4
        .value_kind:     by_value
      - .offset:         120
        .size:           4
        .value_kind:     by_value
      - .offset:         124
        .size:           4
        .value_kind:     by_value
      - .offset:         128
        .size:           4
        .value_kind:     by_value
      - .offset:         132
        .size:           4
        .value_kind:     by_value
      - .offset:         136
        .size:           4
        .value_kind:     by_value
      - .offset:         140
        .size:           4
        .value_kind:     by_value
      - .offset:         144
        .size:           4
        .value_kind:     by_value
      - .offset:         152
        .size:           8
        .value_kind:     by_value
      - .offset:         160
        .size:           4
        .value_kind:     by_value
      - .offset:         164
        .size:           4
        .value_kind:     by_value
      - .offset:         168
        .size:           8
        .value_kind:     by_value
      - .offset:         176
        .size:           4
        .value_kind:     by_value
      - .offset:         180
        .size:           4
        .value_kind:     by_value
      - .offset:         184
        .size:           4
        .value_kind:     by_value
      - .offset:         188
        .size:           4
        .value_kind:     by_value
      - .offset:         192
        .size:           4
        .value_kind:     by_value
      - .offset:         200
        .size:           8
        .value_kind:     by_value
      - .offset:         208
        .size:           4
        .value_kind:     hidden_block_count_x
      - .offset:         212
        .size:           4
        .value_kind:     hidden_block_count_y
      - .offset:         216
        .size:           4
        .value_kind:     hidden_block_count_z
      - .offset:         220
        .size:           2
        .value_kind:     hidden_group_size_x
      - .offset:         222
        .size:           2
        .value_kind:     hidden_group_size_y
      - .offset:         224
        .size:           2
        .value_kind:     hidden_group_size_z
      - .offset:         226
        .size:           2
        .value_kind:     hidden_remainder_x
      - .offset:         228
        .size:           2
        .value_kind:     hidden_remainder_y
      - .offset:         230
        .size:           2
        .value_kind:     hidden_remainder_z
      - .offset:         248
        .size:           8
        .value_kind:     hidden_global_offset_x
      - .offset:         256
        .size:           8
        .value_kind:     hidden_global_offset_y
      - .offset:         264
        .size:           8
        .value_kind:     hidden_global_offset_z
      - .offset:         272
        .size:           2
        .value_kind:     hidden_grid_dims
      - .offset:         328
        .size:           4
        .value_kind:     hidden_dynamic_lds_size
    .group_segment_fixed_size: 0
    .kernarg_segment_align: 8
    .kernarg_segment_size: 464
    .language:       OpenCL C
    .language_version:
      - 2
      - 0
    .max_flat_workgroup_size: 256
    .name:           _ZL18flash_attn_ext_f16ILi64ELi64ELi8ELi8ELb0ELb0EEvPKcS1_S1_S1_S1_PKiPfP15HIP_vector_typeIfLj2EEffffjfiS5_IjLj3EEiiiiiiiiiiiliiliiiiil
    .private_segment_fixed_size: 108
    .sgpr_count:     106
    .sgpr_spill_count: 34
    .symbol:         _ZL18flash_attn_ext_f16ILi64ELi64ELi8ELi8ELb0ELb0EEvPKcS1_S1_S1_S1_PKiPfP15HIP_vector_typeIfLj2EEffffjfiS5_IjLj3EEiiiiiiiiiiiliiliiiiil.kd
    .uniform_work_group_size: 1
    .uses_dynamic_stack: false
    .vgpr_count:     128
    .vgpr_spill_count: 26
    .wavefront_size: 64
  - .agpr_count:     0
    .args:
      - .address_space:  global
        .offset:         0
        .size:           8
        .value_kind:     global_buffer
      - .address_space:  global
        .offset:         8
        .size:           8
        .value_kind:     global_buffer
      - .address_space:  global
        .offset:         16
        .size:           8
        .value_kind:     global_buffer
      - .address_space:  global
        .offset:         24
        .size:           8
        .value_kind:     global_buffer
      - .address_space:  global
        .offset:         32
        .size:           8
        .value_kind:     global_buffer
      - .address_space:  global
        .offset:         40
        .size:           8
        .value_kind:     global_buffer
      - .address_space:  global
        .offset:         48
        .size:           8
        .value_kind:     global_buffer
      - .address_space:  global
        .offset:         56
        .size:           8
        .value_kind:     global_buffer
      - .offset:         64
        .size:           4
        .value_kind:     by_value
      - .offset:         68
        .size:           4
        .value_kind:     by_value
      - .offset:         72
        .size:           4
        .value_kind:     by_value
      - .offset:         76
        .size:           4
        .value_kind:     by_value
      - .offset:         80
        .size:           4
        .value_kind:     by_value
      - .offset:         84
        .size:           4
        .value_kind:     by_value
      - .offset:         88
        .size:           4
        .value_kind:     by_value
      - .offset:         92
        .size:           12
        .value_kind:     by_value
      - .offset:         104
        .size:           4
        .value_kind:     by_value
      - .offset:         108
        .size:           4
        .value_kind:     by_value
      - .offset:         112
        .size:           4
        .value_kind:     by_value
      - .offset:         116
        .size:           4
        .value_kind:     by_value
      - .offset:         120
        .size:           4
        .value_kind:     by_value
      - .offset:         124
        .size:           4
        .value_kind:     by_value
      - .offset:         128
        .size:           4
        .value_kind:     by_value
      - .offset:         132
        .size:           4
        .value_kind:     by_value
      - .offset:         136
        .size:           4
        .value_kind:     by_value
      - .offset:         140
        .size:           4
        .value_kind:     by_value
      - .offset:         144
        .size:           4
        .value_kind:     by_value
      - .offset:         152
        .size:           8
        .value_kind:     by_value
      - .offset:         160
        .size:           4
        .value_kind:     by_value
      - .offset:         164
        .size:           4
        .value_kind:     by_value
      - .offset:         168
        .size:           8
        .value_kind:     by_value
      - .offset:         176
        .size:           4
        .value_kind:     by_value
      - .offset:         180
        .size:           4
        .value_kind:     by_value
      - .offset:         184
        .size:           4
        .value_kind:     by_value
      - .offset:         188
        .size:           4
        .value_kind:     by_value
      - .offset:         192
        .size:           4
        .value_kind:     by_value
      - .offset:         200
        .size:           8
        .value_kind:     by_value
      - .offset:         208
        .size:           4
        .value_kind:     hidden_block_count_x
      - .offset:         212
        .size:           4
        .value_kind:     hidden_block_count_y
      - .offset:         216
        .size:           4
        .value_kind:     hidden_block_count_z
      - .offset:         220
        .size:           2
        .value_kind:     hidden_group_size_x
      - .offset:         222
        .size:           2
        .value_kind:     hidden_group_size_y
      - .offset:         224
        .size:           2
        .value_kind:     hidden_group_size_z
      - .offset:         226
        .size:           2
        .value_kind:     hidden_remainder_x
      - .offset:         228
        .size:           2
        .value_kind:     hidden_remainder_y
      - .offset:         230
        .size:           2
        .value_kind:     hidden_remainder_z
      - .offset:         248
        .size:           8
        .value_kind:     hidden_global_offset_x
      - .offset:         256
        .size:           8
        .value_kind:     hidden_global_offset_y
      - .offset:         264
        .size:           8
        .value_kind:     hidden_global_offset_z
      - .offset:         272
        .size:           2
        .value_kind:     hidden_grid_dims
      - .offset:         288
        .size:           8
        .value_kind:     hidden_hostcall_buffer
    .group_segment_fixed_size: 0
    .kernarg_segment_align: 8
    .kernarg_segment_size: 464
    .language:       OpenCL C
    .language_version:
      - 2
      - 0
    .max_flat_workgroup_size: 256
    .name:           _ZL18flash_attn_ext_f16ILi64ELi64ELi8ELi8ELb1ELb0EEvPKcS1_S1_S1_S1_PKiPfP15HIP_vector_typeIfLj2EEffffjfiS5_IjLj3EEiiiiiiiiiiiliiliiiiil
    .private_segment_fixed_size: 16
    .sgpr_count:     40
    .sgpr_spill_count: 0
    .symbol:         _ZL18flash_attn_ext_f16ILi64ELi64ELi8ELi8ELb1ELb0EEvPKcS1_S1_S1_S1_PKiPfP15HIP_vector_typeIfLj2EEffffjfiS5_IjLj3EEiiiiiiiiiiiliiliiiiil.kd
    .uniform_work_group_size: 1
    .uses_dynamic_stack: false
    .vgpr_count:     50
    .vgpr_spill_count: 0
    .wavefront_size: 64
  - .agpr_count:     0
    .args:
      - .actual_access:  read_only
        .address_space:  global
        .offset:         0
        .size:           8
        .value_kind:     global_buffer
      - .actual_access:  write_only
        .address_space:  global
        .offset:         8
        .size:           8
        .value_kind:     global_buffer
      - .offset:         16
        .size:           4
        .value_kind:     by_value
      - .offset:         20
        .size:           4
        .value_kind:     by_value
      - .offset:         24
        .size:           4
        .value_kind:     by_value
      - .offset:         32
        .size:           4
        .value_kind:     hidden_block_count_x
      - .offset:         36
        .size:           4
        .value_kind:     hidden_block_count_y
      - .offset:         40
        .size:           4
        .value_kind:     hidden_block_count_z
      - .offset:         44
        .size:           2
        .value_kind:     hidden_group_size_x
      - .offset:         46
        .size:           2
        .value_kind:     hidden_group_size_y
      - .offset:         48
        .size:           2
        .value_kind:     hidden_group_size_z
      - .offset:         50
        .size:           2
        .value_kind:     hidden_remainder_x
      - .offset:         52
        .size:           2
        .value_kind:     hidden_remainder_y
      - .offset:         54
        .size:           2
        .value_kind:     hidden_remainder_z
      - .offset:         72
        .size:           8
        .value_kind:     hidden_global_offset_x
      - .offset:         80
        .size:           8
        .value_kind:     hidden_global_offset_y
      - .offset:         88
        .size:           8
        .value_kind:     hidden_global_offset_z
      - .offset:         96
        .size:           2
        .value_kind:     hidden_grid_dims
    .group_segment_fixed_size: 128
    .kernarg_segment_align: 8
    .kernarg_segment_size: 288
    .language:       OpenCL C
    .language_version:
      - 2
      - 0
    .max_flat_workgroup_size: 128
    .name:           _ZL25flash_attn_mask_to_KV_maxILi8EEvPK7__half2Piiii
    .private_segment_fixed_size: 0
    .sgpr_count:     52
    .sgpr_spill_count: 0
    .symbol:         _ZL25flash_attn_mask_to_KV_maxILi8EEvPK7__half2Piiii.kd
    .uniform_work_group_size: 1
    .uses_dynamic_stack: false
    .vgpr_count:     12
    .vgpr_spill_count: 0
    .wavefront_size: 64
  - .agpr_count:     0
    .args:
      - .address_space:  global
        .offset:         0
        .size:           8
        .value_kind:     global_buffer
      - .address_space:  global
        .offset:         8
        .size:           8
        .value_kind:     global_buffer
      - .offset:         16
        .size:           4
        .value_kind:     by_value
      - .offset:         20
        .size:           4
        .value_kind:     by_value
      - .offset:         24
        .size:           4
        .value_kind:     by_value
      - .offset:         28
        .size:           4
        .value_kind:     by_value
      - .offset:         32
        .size:           4
        .value_kind:     by_value
      - .offset:         36
        .size:           4
        .value_kind:     by_value
      - .offset:         40
        .size:           12
        .value_kind:     by_value
      - .offset:         52
        .size:           12
        .value_kind:     by_value
      - .offset:         64
        .size:           12
        .value_kind:     by_value
    .group_segment_fixed_size: 0
    .kernarg_segment_align: 8
    .kernarg_segment_size: 76
    .language:       OpenCL C
    .language_version:
      - 2
      - 0
    .max_flat_workgroup_size: 64
    .name:           _ZL33flash_attn_stream_k_fixup_uniformILi64ELi8ELi8EEvPfPK15HIP_vector_typeIfLj2EEiiiiiiS1_IjLj3EES5_S5_
    .private_segment_fixed_size: 0
    .sgpr_count:     30
    .sgpr_spill_count: 0
    .symbol:         _ZL33flash_attn_stream_k_fixup_uniformILi64ELi8ELi8EEvPfPK15HIP_vector_typeIfLj2EEiiiiiiS1_IjLj3EES5_S5_.kd
    .uniform_work_group_size: 1
    .uses_dynamic_stack: false
    .vgpr_count:     17
    .vgpr_spill_count: 0
    .wavefront_size: 64
  - .agpr_count:     0
    .args:
      - .address_space:  global
        .offset:         0
        .size:           8
        .value_kind:     global_buffer
      - .address_space:  global
        .offset:         8
        .size:           8
        .value_kind:     global_buffer
      - .offset:         16
        .size:           4
        .value_kind:     by_value
      - .offset:         20
        .size:           4
        .value_kind:     by_value
      - .offset:         24
        .size:           4
        .value_kind:     by_value
      - .offset:         28
        .size:           4
        .value_kind:     by_value
      - .offset:         32
        .size:           12
        .value_kind:     by_value
      - .offset:         44
        .size:           12
        .value_kind:     by_value
      - .offset:         56
        .size:           12
        .value_kind:     by_value
      - .offset:         68
        .size:           12
        .value_kind:     by_value
      - .offset:         80
        .size:           4
        .value_kind:     hidden_block_count_x
      - .offset:         84
        .size:           4
        .value_kind:     hidden_block_count_y
      - .offset:         88
        .size:           4
        .value_kind:     hidden_block_count_z
      - .offset:         92
        .size:           2
        .value_kind:     hidden_group_size_x
      - .offset:         94
        .size:           2
        .value_kind:     hidden_group_size_y
      - .offset:         96
        .size:           2
        .value_kind:     hidden_group_size_z
      - .offset:         98
        .size:           2
        .value_kind:     hidden_remainder_x
      - .offset:         100
        .size:           2
        .value_kind:     hidden_remainder_y
      - .offset:         102
        .size:           2
        .value_kind:     hidden_remainder_z
      - .offset:         120
        .size:           8
        .value_kind:     hidden_global_offset_x
      - .offset:         128
        .size:           8
        .value_kind:     hidden_global_offset_y
      - .offset:         136
        .size:           8
        .value_kind:     hidden_global_offset_z
      - .offset:         144
        .size:           2
        .value_kind:     hidden_grid_dims
    .group_segment_fixed_size: 0
    .kernarg_segment_align: 8
    .kernarg_segment_size: 336
    .language:       OpenCL C
    .language_version:
      - 2
      - 0
    .max_flat_workgroup_size: 64
    .name:           _ZL33flash_attn_stream_k_fixup_generalILi64ELi8ELi8EEvPfPK15HIP_vector_typeIfLj2EEiiiiS1_IjLj3EES5_S5_S5_
    .private_segment_fixed_size: 0
    .sgpr_count:     42
    .sgpr_spill_count: 0
    .symbol:         _ZL33flash_attn_stream_k_fixup_generalILi64ELi8ELi8EEvPfPK15HIP_vector_typeIfLj2EEiiiiS1_IjLj3EES5_S5_S5_.kd
    .uniform_work_group_size: 1
    .uses_dynamic_stack: false
    .vgpr_count:     18
    .vgpr_spill_count: 0
    .wavefront_size: 64
  - .agpr_count:     0
    .args:
      - .address_space:  global
        .offset:         0
        .size:           8
        .value_kind:     global_buffer
      - .address_space:  global
        .offset:         8
        .size:           8
        .value_kind:     global_buffer
      - .address_space:  global
        .offset:         16
        .size:           8
        .value_kind:     global_buffer
      - .offset:         24
        .size:           4
        .value_kind:     by_value
      - .offset:         32
        .size:           4
        .value_kind:     hidden_block_count_x
      - .offset:         36
        .size:           4
        .value_kind:     hidden_block_count_y
      - .offset:         40
        .size:           4
        .value_kind:     hidden_block_count_z
      - .offset:         44
        .size:           2
        .value_kind:     hidden_group_size_x
      - .offset:         46
        .size:           2
        .value_kind:     hidden_group_size_y
      - .offset:         48
        .size:           2
        .value_kind:     hidden_group_size_z
      - .offset:         50
        .size:           2
        .value_kind:     hidden_remainder_x
      - .offset:         52
        .size:           2
        .value_kind:     hidden_remainder_y
      - .offset:         54
        .size:           2
        .value_kind:     hidden_remainder_z
      - .offset:         72
        .size:           8
        .value_kind:     hidden_global_offset_x
      - .offset:         80
        .size:           8
        .value_kind:     hidden_global_offset_y
      - .offset:         88
        .size:           8
        .value_kind:     hidden_global_offset_z
      - .offset:         96
        .size:           2
        .value_kind:     hidden_grid_dims
      - .offset:         152
        .size:           4
        .value_kind:     hidden_dynamic_lds_size
    .group_segment_fixed_size: 0
    .kernarg_segment_align: 8
    .kernarg_segment_size: 288
    .language:       OpenCL C
    .language_version:
      - 2
      - 0
    .max_flat_workgroup_size: 64
    .name:           _ZL26flash_attn_combine_resultsILi64EEvPKfPK15HIP_vector_typeIfLj2EEPfi
    .private_segment_fixed_size: 0
    .sgpr_count:     32
    .sgpr_spill_count: 0
    .symbol:         _ZL26flash_attn_combine_resultsILi64EEvPKfPK15HIP_vector_typeIfLj2EEPfi.kd
    .uniform_work_group_size: 1
    .uses_dynamic_stack: false
    .vgpr_count:     59
    .vgpr_spill_count: 0
    .wavefront_size: 64
  - .agpr_count:     0
    .args:
      - .address_space:  global
        .offset:         0
        .size:           8
        .value_kind:     global_buffer
      - .address_space:  global
        .offset:         8
        .size:           8
        .value_kind:     global_buffer
      - .address_space:  global
        .offset:         16
        .size:           8
        .value_kind:     global_buffer
      - .address_space:  global
        .offset:         24
        .size:           8
        .value_kind:     global_buffer
      - .address_space:  global
        .offset:         32
        .size:           8
        .value_kind:     global_buffer
      - .address_space:  global
        .offset:         40
        .size:           8
        .value_kind:     global_buffer
      - .address_space:  global
        .offset:         48
        .size:           8
        .value_kind:     global_buffer
      - .address_space:  global
        .offset:         56
        .size:           8
        .value_kind:     global_buffer
      - .offset:         64
        .size:           4
        .value_kind:     by_value
      - .offset:         68
        .size:           4
        .value_kind:     by_value
      - .offset:         72
        .size:           4
        .value_kind:     by_value
      - .offset:         76
        .size:           4
        .value_kind:     by_value
      - .offset:         80
        .size:           4
        .value_kind:     by_value
      - .offset:         84
        .size:           4
        .value_kind:     by_value
      - .offset:         88
        .size:           4
        .value_kind:     by_value
      - .offset:         92
        .size:           12
        .value_kind:     by_value
      - .offset:         104
        .size:           4
        .value_kind:     by_value
      - .offset:         108
        .size:           4
        .value_kind:     by_value
      - .offset:         112
        .size:           4
        .value_kind:     by_value
      - .offset:         116
        .size:           4
        .value_kind:     by_value
      - .offset:         120
        .size:           4
        .value_kind:     by_value
      - .offset:         124
        .size:           4
        .value_kind:     by_value
      - .offset:         128
        .size:           4
        .value_kind:     by_value
      - .offset:         132
        .size:           4
        .value_kind:     by_value
      - .offset:         136
        .size:           4
        .value_kind:     by_value
      - .offset:         140
        .size:           4
        .value_kind:     by_value
      - .offset:         144
        .size:           4
        .value_kind:     by_value
      - .offset:         152
        .size:           8
        .value_kind:     by_value
      - .offset:         160
        .size:           4
        .value_kind:     by_value
      - .offset:         164
        .size:           4
        .value_kind:     by_value
      - .offset:         168
        .size:           8
        .value_kind:     by_value
      - .offset:         176
        .size:           4
        .value_kind:     by_value
      - .offset:         180
        .size:           4
        .value_kind:     by_value
      - .offset:         184
        .size:           4
        .value_kind:     by_value
      - .offset:         188
        .size:           4
        .value_kind:     by_value
      - .offset:         192
        .size:           4
        .value_kind:     by_value
      - .offset:         200
        .size:           8
        .value_kind:     by_value
      - .offset:         208
        .size:           4
        .value_kind:     hidden_block_count_x
      - .offset:         212
        .size:           4
        .value_kind:     hidden_block_count_y
      - .offset:         216
        .size:           4
        .value_kind:     hidden_block_count_z
      - .offset:         220
        .size:           2
        .value_kind:     hidden_group_size_x
      - .offset:         222
        .size:           2
        .value_kind:     hidden_group_size_y
      - .offset:         224
        .size:           2
        .value_kind:     hidden_group_size_z
      - .offset:         226
        .size:           2
        .value_kind:     hidden_remainder_x
      - .offset:         228
        .size:           2
        .value_kind:     hidden_remainder_y
      - .offset:         230
        .size:           2
        .value_kind:     hidden_remainder_z
      - .offset:         248
        .size:           8
        .value_kind:     hidden_global_offset_x
      - .offset:         256
        .size:           8
        .value_kind:     hidden_global_offset_y
      - .offset:         264
        .size:           8
        .value_kind:     hidden_global_offset_z
      - .offset:         272
        .size:           2
        .value_kind:     hidden_grid_dims
      - .offset:         328
        .size:           4
        .value_kind:     hidden_dynamic_lds_size
    .group_segment_fixed_size: 0
    .kernarg_segment_align: 8
    .kernarg_segment_size: 464
    .language:       OpenCL C
    .language_version:
      - 2
      - 0
    .max_flat_workgroup_size: 256
    .name:           _ZL18flash_attn_ext_f16ILi80ELi80ELi8ELi8ELb0ELb0EEvPKcS1_S1_S1_S1_PKiPfP15HIP_vector_typeIfLj2EEffffjfiS5_IjLj3EEiiiiiiiiiiiliiliiiiil
    .private_segment_fixed_size: 0
    .sgpr_count:     106
    .sgpr_spill_count: 44
    .symbol:         _ZL18flash_attn_ext_f16ILi80ELi80ELi8ELi8ELb0ELb0EEvPKcS1_S1_S1_S1_PKiPfP15HIP_vector_typeIfLj2EEffffjfiS5_IjLj3EEiiiiiiiiiiiliiliiiiil.kd
    .uniform_work_group_size: 1
    .uses_dynamic_stack: false
    .vgpr_count:     182
    .vgpr_spill_count: 0
    .wavefront_size: 64
  - .agpr_count:     0
    .args:
      - .address_space:  global
        .offset:         0
        .size:           8
        .value_kind:     global_buffer
      - .address_space:  global
        .offset:         8
        .size:           8
        .value_kind:     global_buffer
      - .address_space:  global
        .offset:         16
        .size:           8
        .value_kind:     global_buffer
      - .address_space:  global
        .offset:         24
        .size:           8
        .value_kind:     global_buffer
      - .address_space:  global
        .offset:         32
        .size:           8
        .value_kind:     global_buffer
      - .address_space:  global
        .offset:         40
        .size:           8
        .value_kind:     global_buffer
      - .address_space:  global
        .offset:         48
        .size:           8
        .value_kind:     global_buffer
      - .address_space:  global
        .offset:         56
        .size:           8
        .value_kind:     global_buffer
      - .offset:         64
        .size:           4
        .value_kind:     by_value
      - .offset:         68
        .size:           4
        .value_kind:     by_value
      - .offset:         72
        .size:           4
        .value_kind:     by_value
      - .offset:         76
        .size:           4
        .value_kind:     by_value
      - .offset:         80
        .size:           4
        .value_kind:     by_value
      - .offset:         84
        .size:           4
        .value_kind:     by_value
      - .offset:         88
        .size:           4
        .value_kind:     by_value
      - .offset:         92
        .size:           12
        .value_kind:     by_value
      - .offset:         104
        .size:           4
        .value_kind:     by_value
      - .offset:         108
        .size:           4
        .value_kind:     by_value
      - .offset:         112
        .size:           4
        .value_kind:     by_value
      - .offset:         116
        .size:           4
        .value_kind:     by_value
      - .offset:         120
        .size:           4
        .value_kind:     by_value
      - .offset:         124
        .size:           4
        .value_kind:     by_value
      - .offset:         128
        .size:           4
        .value_kind:     by_value
      - .offset:         132
        .size:           4
        .value_kind:     by_value
      - .offset:         136
        .size:           4
        .value_kind:     by_value
      - .offset:         140
        .size:           4
        .value_kind:     by_value
      - .offset:         144
        .size:           4
        .value_kind:     by_value
      - .offset:         152
        .size:           8
        .value_kind:     by_value
      - .offset:         160
        .size:           4
        .value_kind:     by_value
      - .offset:         164
        .size:           4
        .value_kind:     by_value
      - .offset:         168
        .size:           8
        .value_kind:     by_value
      - .offset:         176
        .size:           4
        .value_kind:     by_value
      - .offset:         180
        .size:           4
        .value_kind:     by_value
      - .offset:         184
        .size:           4
        .value_kind:     by_value
      - .offset:         188
        .size:           4
        .value_kind:     by_value
      - .offset:         192
        .size:           4
        .value_kind:     by_value
      - .offset:         200
        .size:           8
        .value_kind:     by_value
      - .offset:         208
        .size:           4
        .value_kind:     hidden_block_count_x
      - .offset:         212
        .size:           4
        .value_kind:     hidden_block_count_y
      - .offset:         216
        .size:           4
        .value_kind:     hidden_block_count_z
      - .offset:         220
        .size:           2
        .value_kind:     hidden_group_size_x
      - .offset:         222
        .size:           2
        .value_kind:     hidden_group_size_y
      - .offset:         224
        .size:           2
        .value_kind:     hidden_group_size_z
      - .offset:         226
        .size:           2
        .value_kind:     hidden_remainder_x
      - .offset:         228
        .size:           2
        .value_kind:     hidden_remainder_y
      - .offset:         230
        .size:           2
        .value_kind:     hidden_remainder_z
      - .offset:         248
        .size:           8
        .value_kind:     hidden_global_offset_x
      - .offset:         256
        .size:           8
        .value_kind:     hidden_global_offset_y
      - .offset:         264
        .size:           8
        .value_kind:     hidden_global_offset_z
      - .offset:         272
        .size:           2
        .value_kind:     hidden_grid_dims
      - .offset:         288
        .size:           8
        .value_kind:     hidden_hostcall_buffer
    .group_segment_fixed_size: 0
    .kernarg_segment_align: 8
    .kernarg_segment_size: 464
    .language:       OpenCL C
    .language_version:
      - 2
      - 0
    .max_flat_workgroup_size: 256
    .name:           _ZL18flash_attn_ext_f16ILi80ELi80ELi8ELi8ELb1ELb0EEvPKcS1_S1_S1_S1_PKiPfP15HIP_vector_typeIfLj2EEffffjfiS5_IjLj3EEiiiiiiiiiiiliiliiiiil
    .private_segment_fixed_size: 16
    .sgpr_count:     40
    .sgpr_spill_count: 0
    .symbol:         _ZL18flash_attn_ext_f16ILi80ELi80ELi8ELi8ELb1ELb0EEvPKcS1_S1_S1_S1_PKiPfP15HIP_vector_typeIfLj2EEffffjfiS5_IjLj3EEiiiiiiiiiiiliiliiiiil.kd
    .uniform_work_group_size: 1
    .uses_dynamic_stack: false
    .vgpr_count:     50
    .vgpr_spill_count: 0
    .wavefront_size: 64
  - .agpr_count:     0
    .args:
      - .address_space:  global
        .offset:         0
        .size:           8
        .value_kind:     global_buffer
      - .address_space:  global
        .offset:         8
        .size:           8
        .value_kind:     global_buffer
      - .offset:         16
        .size:           4
        .value_kind:     by_value
      - .offset:         20
        .size:           4
        .value_kind:     by_value
      - .offset:         24
        .size:           4
        .value_kind:     by_value
      - .offset:         28
        .size:           4
        .value_kind:     by_value
      - .offset:         32
        .size:           4
        .value_kind:     by_value
      - .offset:         36
        .size:           4
        .value_kind:     by_value
      - .offset:         40
        .size:           12
        .value_kind:     by_value
      - .offset:         52
        .size:           12
        .value_kind:     by_value
      - .offset:         64
        .size:           12
        .value_kind:     by_value
    .group_segment_fixed_size: 0
    .kernarg_segment_align: 8
    .kernarg_segment_size: 76
    .language:       OpenCL C
    .language_version:
      - 2
      - 0
    .max_flat_workgroup_size: 80
    .name:           _ZL33flash_attn_stream_k_fixup_uniformILi80ELi8ELi8EEvPfPK15HIP_vector_typeIfLj2EEiiiiiiS1_IjLj3EES5_S5_
    .private_segment_fixed_size: 0
    .sgpr_count:     26
    .sgpr_spill_count: 0
    .symbol:         _ZL33flash_attn_stream_k_fixup_uniformILi80ELi8ELi8EEvPfPK15HIP_vector_typeIfLj2EEiiiiiiS1_IjLj3EES5_S5_.kd
    .uniform_work_group_size: 1
    .uses_dynamic_stack: false
    .vgpr_count:     17
    .vgpr_spill_count: 0
    .wavefront_size: 64
  - .agpr_count:     0
    .args:
      - .address_space:  global
        .offset:         0
        .size:           8
        .value_kind:     global_buffer
      - .address_space:  global
        .offset:         8
        .size:           8
        .value_kind:     global_buffer
      - .offset:         16
        .size:           4
        .value_kind:     by_value
      - .offset:         20
        .size:           4
        .value_kind:     by_value
      - .offset:         24
        .size:           4
        .value_kind:     by_value
      - .offset:         28
        .size:           4
        .value_kind:     by_value
      - .offset:         32
        .size:           12
        .value_kind:     by_value
      - .offset:         44
        .size:           12
        .value_kind:     by_value
      - .offset:         56
        .size:           12
        .value_kind:     by_value
      - .offset:         68
        .size:           12
        .value_kind:     by_value
      - .offset:         80
        .size:           4
        .value_kind:     hidden_block_count_x
      - .offset:         84
        .size:           4
        .value_kind:     hidden_block_count_y
      - .offset:         88
        .size:           4
        .value_kind:     hidden_block_count_z
      - .offset:         92
        .size:           2
        .value_kind:     hidden_group_size_x
      - .offset:         94
        .size:           2
        .value_kind:     hidden_group_size_y
      - .offset:         96
        .size:           2
        .value_kind:     hidden_group_size_z
      - .offset:         98
        .size:           2
        .value_kind:     hidden_remainder_x
      - .offset:         100
        .size:           2
        .value_kind:     hidden_remainder_y
      - .offset:         102
        .size:           2
        .value_kind:     hidden_remainder_z
      - .offset:         120
        .size:           8
        .value_kind:     hidden_global_offset_x
      - .offset:         128
        .size:           8
        .value_kind:     hidden_global_offset_y
      - .offset:         136
        .size:           8
        .value_kind:     hidden_global_offset_z
      - .offset:         144
        .size:           2
        .value_kind:     hidden_grid_dims
    .group_segment_fixed_size: 0
    .kernarg_segment_align: 8
    .kernarg_segment_size: 336
    .language:       OpenCL C
    .language_version:
      - 2
      - 0
    .max_flat_workgroup_size: 80
    .name:           _ZL33flash_attn_stream_k_fixup_generalILi80ELi8ELi8EEvPfPK15HIP_vector_typeIfLj2EEiiiiS1_IjLj3EES5_S5_S5_
    .private_segment_fixed_size: 0
    .sgpr_count:     42
    .sgpr_spill_count: 0
    .symbol:         _ZL33flash_attn_stream_k_fixup_generalILi80ELi8ELi8EEvPfPK15HIP_vector_typeIfLj2EEiiiiS1_IjLj3EES5_S5_S5_.kd
    .uniform_work_group_size: 1
    .uses_dynamic_stack: false
    .vgpr_count:     18
    .vgpr_spill_count: 0
    .wavefront_size: 64
  - .agpr_count:     0
    .args:
      - .address_space:  global
        .offset:         0
        .size:           8
        .value_kind:     global_buffer
      - .address_space:  global
        .offset:         8
        .size:           8
        .value_kind:     global_buffer
      - .address_space:  global
        .offset:         16
        .size:           8
        .value_kind:     global_buffer
      - .offset:         24
        .size:           4
        .value_kind:     by_value
      - .offset:         32
        .size:           4
        .value_kind:     hidden_block_count_x
      - .offset:         36
        .size:           4
        .value_kind:     hidden_block_count_y
      - .offset:         40
        .size:           4
        .value_kind:     hidden_block_count_z
      - .offset:         44
        .size:           2
        .value_kind:     hidden_group_size_x
      - .offset:         46
        .size:           2
        .value_kind:     hidden_group_size_y
      - .offset:         48
        .size:           2
        .value_kind:     hidden_group_size_z
      - .offset:         50
        .size:           2
        .value_kind:     hidden_remainder_x
      - .offset:         52
        .size:           2
        .value_kind:     hidden_remainder_y
      - .offset:         54
        .size:           2
        .value_kind:     hidden_remainder_z
      - .offset:         72
        .size:           8
        .value_kind:     hidden_global_offset_x
      - .offset:         80
        .size:           8
        .value_kind:     hidden_global_offset_y
      - .offset:         88
        .size:           8
        .value_kind:     hidden_global_offset_z
      - .offset:         96
        .size:           2
        .value_kind:     hidden_grid_dims
      - .offset:         152
        .size:           4
        .value_kind:     hidden_dynamic_lds_size
    .group_segment_fixed_size: 0
    .kernarg_segment_align: 8
    .kernarg_segment_size: 288
    .language:       OpenCL C
    .language_version:
      - 2
      - 0
    .max_flat_workgroup_size: 80
    .name:           _ZL26flash_attn_combine_resultsILi80EEvPKfPK15HIP_vector_typeIfLj2EEPfi
    .private_segment_fixed_size: 0
    .sgpr_count:     36
    .sgpr_spill_count: 0
    .symbol:         _ZL26flash_attn_combine_resultsILi80EEvPKfPK15HIP_vector_typeIfLj2EEPfi.kd
    .uniform_work_group_size: 1
    .uses_dynamic_stack: false
    .vgpr_count:     57
    .vgpr_spill_count: 0
    .wavefront_size: 64
  - .agpr_count:     0
    .args:
      - .address_space:  global
        .offset:         0
        .size:           8
        .value_kind:     global_buffer
      - .address_space:  global
        .offset:         8
        .size:           8
        .value_kind:     global_buffer
      - .address_space:  global
        .offset:         16
        .size:           8
        .value_kind:     global_buffer
      - .address_space:  global
        .offset:         24
        .size:           8
        .value_kind:     global_buffer
      - .address_space:  global
        .offset:         32
        .size:           8
        .value_kind:     global_buffer
      - .address_space:  global
        .offset:         40
        .size:           8
        .value_kind:     global_buffer
      - .address_space:  global
        .offset:         48
        .size:           8
        .value_kind:     global_buffer
      - .address_space:  global
        .offset:         56
        .size:           8
        .value_kind:     global_buffer
      - .offset:         64
        .size:           4
        .value_kind:     by_value
      - .offset:         68
        .size:           4
        .value_kind:     by_value
      - .offset:         72
        .size:           4
        .value_kind:     by_value
      - .offset:         76
        .size:           4
        .value_kind:     by_value
      - .offset:         80
        .size:           4
        .value_kind:     by_value
      - .offset:         84
        .size:           4
        .value_kind:     by_value
      - .offset:         88
        .size:           4
        .value_kind:     by_value
      - .offset:         92
        .size:           12
        .value_kind:     by_value
      - .offset:         104
        .size:           4
        .value_kind:     by_value
      - .offset:         108
        .size:           4
        .value_kind:     by_value
      - .offset:         112
        .size:           4
        .value_kind:     by_value
      - .offset:         116
        .size:           4
        .value_kind:     by_value
      - .offset:         120
        .size:           4
        .value_kind:     by_value
      - .offset:         124
        .size:           4
        .value_kind:     by_value
      - .offset:         128
        .size:           4
        .value_kind:     by_value
      - .offset:         132
        .size:           4
        .value_kind:     by_value
      - .offset:         136
        .size:           4
        .value_kind:     by_value
      - .offset:         140
        .size:           4
        .value_kind:     by_value
      - .offset:         144
        .size:           4
        .value_kind:     by_value
      - .offset:         152
        .size:           8
        .value_kind:     by_value
      - .offset:         160
        .size:           4
        .value_kind:     by_value
      - .offset:         164
        .size:           4
        .value_kind:     by_value
      - .offset:         168
        .size:           8
        .value_kind:     by_value
      - .offset:         176
        .size:           4
        .value_kind:     by_value
      - .offset:         180
        .size:           4
        .value_kind:     by_value
      - .offset:         184
        .size:           4
        .value_kind:     by_value
      - .offset:         188
        .size:           4
        .value_kind:     by_value
      - .offset:         192
        .size:           4
        .value_kind:     by_value
      - .offset:         200
        .size:           8
        .value_kind:     by_value
      - .offset:         208
        .size:           4
        .value_kind:     hidden_block_count_x
      - .offset:         212
        .size:           4
        .value_kind:     hidden_block_count_y
      - .offset:         216
        .size:           4
        .value_kind:     hidden_block_count_z
      - .offset:         220
        .size:           2
        .value_kind:     hidden_group_size_x
      - .offset:         222
        .size:           2
        .value_kind:     hidden_group_size_y
      - .offset:         224
        .size:           2
        .value_kind:     hidden_group_size_z
      - .offset:         226
        .size:           2
        .value_kind:     hidden_remainder_x
      - .offset:         228
        .size:           2
        .value_kind:     hidden_remainder_y
      - .offset:         230
        .size:           2
        .value_kind:     hidden_remainder_z
      - .offset:         248
        .size:           8
        .value_kind:     hidden_global_offset_x
      - .offset:         256
        .size:           8
        .value_kind:     hidden_global_offset_y
      - .offset:         264
        .size:           8
        .value_kind:     hidden_global_offset_z
      - .offset:         272
        .size:           2
        .value_kind:     hidden_grid_dims
      - .offset:         328
        .size:           4
        .value_kind:     hidden_dynamic_lds_size
    .group_segment_fixed_size: 0
    .kernarg_segment_align: 8
    .kernarg_segment_size: 464
    .language:       OpenCL C
    .language_version:
      - 2
      - 0
    .max_flat_workgroup_size: 256
    .name:           _ZL18flash_attn_ext_f16ILi96ELi96ELi8ELi8ELb0ELb0EEvPKcS1_S1_S1_S1_PKiPfP15HIP_vector_typeIfLj2EEffffjfiS5_IjLj3EEiiiiiiiiiiiliiliiiiil
    .private_segment_fixed_size: 0
    .sgpr_count:     106
    .sgpr_spill_count: 16
    .symbol:         _ZL18flash_attn_ext_f16ILi96ELi96ELi8ELi8ELb0ELb0EEvPKcS1_S1_S1_S1_PKiPfP15HIP_vector_typeIfLj2EEffffjfiS5_IjLj3EEiiiiiiiiiiiliiliiiiil.kd
    .uniform_work_group_size: 1
    .uses_dynamic_stack: false
    .vgpr_count:     231
    .vgpr_spill_count: 0
    .wavefront_size: 64
  - .agpr_count:     0
    .args:
      - .address_space:  global
        .offset:         0
        .size:           8
        .value_kind:     global_buffer
      - .address_space:  global
        .offset:         8
        .size:           8
        .value_kind:     global_buffer
      - .address_space:  global
        .offset:         16
        .size:           8
        .value_kind:     global_buffer
      - .address_space:  global
        .offset:         24
        .size:           8
        .value_kind:     global_buffer
      - .address_space:  global
        .offset:         32
        .size:           8
        .value_kind:     global_buffer
      - .address_space:  global
        .offset:         40
        .size:           8
        .value_kind:     global_buffer
      - .address_space:  global
        .offset:         48
        .size:           8
        .value_kind:     global_buffer
      - .address_space:  global
        .offset:         56
        .size:           8
        .value_kind:     global_buffer
      - .offset:         64
        .size:           4
        .value_kind:     by_value
      - .offset:         68
        .size:           4
        .value_kind:     by_value
      - .offset:         72
        .size:           4
        .value_kind:     by_value
      - .offset:         76
        .size:           4
        .value_kind:     by_value
      - .offset:         80
        .size:           4
        .value_kind:     by_value
      - .offset:         84
        .size:           4
        .value_kind:     by_value
      - .offset:         88
        .size:           4
        .value_kind:     by_value
      - .offset:         92
        .size:           12
        .value_kind:     by_value
      - .offset:         104
        .size:           4
        .value_kind:     by_value
      - .offset:         108
        .size:           4
        .value_kind:     by_value
      - .offset:         112
        .size:           4
        .value_kind:     by_value
      - .offset:         116
        .size:           4
        .value_kind:     by_value
      - .offset:         120
        .size:           4
        .value_kind:     by_value
      - .offset:         124
        .size:           4
        .value_kind:     by_value
      - .offset:         128
        .size:           4
        .value_kind:     by_value
      - .offset:         132
        .size:           4
        .value_kind:     by_value
      - .offset:         136
        .size:           4
        .value_kind:     by_value
      - .offset:         140
        .size:           4
        .value_kind:     by_value
      - .offset:         144
        .size:           4
        .value_kind:     by_value
      - .offset:         152
        .size:           8
        .value_kind:     by_value
      - .offset:         160
        .size:           4
        .value_kind:     by_value
      - .offset:         164
        .size:           4
        .value_kind:     by_value
      - .offset:         168
        .size:           8
        .value_kind:     by_value
      - .offset:         176
        .size:           4
        .value_kind:     by_value
      - .offset:         180
        .size:           4
        .value_kind:     by_value
      - .offset:         184
        .size:           4
        .value_kind:     by_value
      - .offset:         188
        .size:           4
        .value_kind:     by_value
      - .offset:         192
        .size:           4
        .value_kind:     by_value
      - .offset:         200
        .size:           8
        .value_kind:     by_value
      - .offset:         208
        .size:           4
        .value_kind:     hidden_block_count_x
      - .offset:         212
        .size:           4
        .value_kind:     hidden_block_count_y
      - .offset:         216
        .size:           4
        .value_kind:     hidden_block_count_z
      - .offset:         220
        .size:           2
        .value_kind:     hidden_group_size_x
      - .offset:         222
        .size:           2
        .value_kind:     hidden_group_size_y
      - .offset:         224
        .size:           2
        .value_kind:     hidden_group_size_z
      - .offset:         226
        .size:           2
        .value_kind:     hidden_remainder_x
      - .offset:         228
        .size:           2
        .value_kind:     hidden_remainder_y
      - .offset:         230
        .size:           2
        .value_kind:     hidden_remainder_z
      - .offset:         248
        .size:           8
        .value_kind:     hidden_global_offset_x
      - .offset:         256
        .size:           8
        .value_kind:     hidden_global_offset_y
      - .offset:         264
        .size:           8
        .value_kind:     hidden_global_offset_z
      - .offset:         272
        .size:           2
        .value_kind:     hidden_grid_dims
      - .offset:         288
        .size:           8
        .value_kind:     hidden_hostcall_buffer
    .group_segment_fixed_size: 0
    .kernarg_segment_align: 8
    .kernarg_segment_size: 464
    .language:       OpenCL C
    .language_version:
      - 2
      - 0
    .max_flat_workgroup_size: 256
    .name:           _ZL18flash_attn_ext_f16ILi96ELi96ELi8ELi8ELb1ELb0EEvPKcS1_S1_S1_S1_PKiPfP15HIP_vector_typeIfLj2EEffffjfiS5_IjLj3EEiiiiiiiiiiiliiliiiiil
    .private_segment_fixed_size: 16
    .sgpr_count:     40
    .sgpr_spill_count: 0
    .symbol:         _ZL18flash_attn_ext_f16ILi96ELi96ELi8ELi8ELb1ELb0EEvPKcS1_S1_S1_S1_PKiPfP15HIP_vector_typeIfLj2EEffffjfiS5_IjLj3EEiiiiiiiiiiiliiliiiiil.kd
    .uniform_work_group_size: 1
    .uses_dynamic_stack: false
    .vgpr_count:     50
    .vgpr_spill_count: 0
    .wavefront_size: 64
  - .agpr_count:     0
    .args:
      - .address_space:  global
        .offset:         0
        .size:           8
        .value_kind:     global_buffer
      - .address_space:  global
        .offset:         8
        .size:           8
        .value_kind:     global_buffer
      - .offset:         16
        .size:           4
        .value_kind:     by_value
      - .offset:         20
        .size:           4
        .value_kind:     by_value
      - .offset:         24
        .size:           4
        .value_kind:     by_value
      - .offset:         28
        .size:           4
        .value_kind:     by_value
      - .offset:         32
        .size:           4
        .value_kind:     by_value
      - .offset:         36
        .size:           4
        .value_kind:     by_value
      - .offset:         40
        .size:           12
        .value_kind:     by_value
      - .offset:         52
        .size:           12
        .value_kind:     by_value
      - .offset:         64
        .size:           12
        .value_kind:     by_value
    .group_segment_fixed_size: 0
    .kernarg_segment_align: 8
    .kernarg_segment_size: 76
    .language:       OpenCL C
    .language_version:
      - 2
      - 0
    .max_flat_workgroup_size: 96
    .name:           _ZL33flash_attn_stream_k_fixup_uniformILi96ELi8ELi8EEvPfPK15HIP_vector_typeIfLj2EEiiiiiiS1_IjLj3EES5_S5_
    .private_segment_fixed_size: 0
    .sgpr_count:     26
    .sgpr_spill_count: 0
    .symbol:         _ZL33flash_attn_stream_k_fixup_uniformILi96ELi8ELi8EEvPfPK15HIP_vector_typeIfLj2EEiiiiiiS1_IjLj3EES5_S5_.kd
    .uniform_work_group_size: 1
    .uses_dynamic_stack: false
    .vgpr_count:     17
    .vgpr_spill_count: 0
    .wavefront_size: 64
  - .agpr_count:     0
    .args:
      - .address_space:  global
        .offset:         0
        .size:           8
        .value_kind:     global_buffer
      - .address_space:  global
        .offset:         8
        .size:           8
        .value_kind:     global_buffer
      - .offset:         16
        .size:           4
        .value_kind:     by_value
      - .offset:         20
        .size:           4
        .value_kind:     by_value
      - .offset:         24
        .size:           4
        .value_kind:     by_value
      - .offset:         28
        .size:           4
        .value_kind:     by_value
      - .offset:         32
        .size:           12
        .value_kind:     by_value
      - .offset:         44
        .size:           12
        .value_kind:     by_value
      - .offset:         56
        .size:           12
        .value_kind:     by_value
      - .offset:         68
        .size:           12
        .value_kind:     by_value
      - .offset:         80
        .size:           4
        .value_kind:     hidden_block_count_x
      - .offset:         84
        .size:           4
        .value_kind:     hidden_block_count_y
      - .offset:         88
        .size:           4
        .value_kind:     hidden_block_count_z
      - .offset:         92
        .size:           2
        .value_kind:     hidden_group_size_x
      - .offset:         94
        .size:           2
        .value_kind:     hidden_group_size_y
      - .offset:         96
        .size:           2
        .value_kind:     hidden_group_size_z
      - .offset:         98
        .size:           2
        .value_kind:     hidden_remainder_x
      - .offset:         100
        .size:           2
        .value_kind:     hidden_remainder_y
      - .offset:         102
        .size:           2
        .value_kind:     hidden_remainder_z
      - .offset:         120
        .size:           8
        .value_kind:     hidden_global_offset_x
      - .offset:         128
        .size:           8
        .value_kind:     hidden_global_offset_y
      - .offset:         136
        .size:           8
        .value_kind:     hidden_global_offset_z
      - .offset:         144
        .size:           2
        .value_kind:     hidden_grid_dims
    .group_segment_fixed_size: 0
    .kernarg_segment_align: 8
    .kernarg_segment_size: 336
    .language:       OpenCL C
    .language_version:
      - 2
      - 0
    .max_flat_workgroup_size: 96
    .name:           _ZL33flash_attn_stream_k_fixup_generalILi96ELi8ELi8EEvPfPK15HIP_vector_typeIfLj2EEiiiiS1_IjLj3EES5_S5_S5_
    .private_segment_fixed_size: 0
    .sgpr_count:     42
    .sgpr_spill_count: 0
    .symbol:         _ZL33flash_attn_stream_k_fixup_generalILi96ELi8ELi8EEvPfPK15HIP_vector_typeIfLj2EEiiiiS1_IjLj3EES5_S5_S5_.kd
    .uniform_work_group_size: 1
    .uses_dynamic_stack: false
    .vgpr_count:     18
    .vgpr_spill_count: 0
    .wavefront_size: 64
  - .agpr_count:     0
    .args:
      - .address_space:  global
        .offset:         0
        .size:           8
        .value_kind:     global_buffer
      - .address_space:  global
        .offset:         8
        .size:           8
        .value_kind:     global_buffer
      - .address_space:  global
        .offset:         16
        .size:           8
        .value_kind:     global_buffer
      - .offset:         24
        .size:           4
        .value_kind:     by_value
      - .offset:         32
        .size:           4
        .value_kind:     hidden_block_count_x
      - .offset:         36
        .size:           4
        .value_kind:     hidden_block_count_y
      - .offset:         40
        .size:           4
        .value_kind:     hidden_block_count_z
      - .offset:         44
        .size:           2
        .value_kind:     hidden_group_size_x
      - .offset:         46
        .size:           2
        .value_kind:     hidden_group_size_y
      - .offset:         48
        .size:           2
        .value_kind:     hidden_group_size_z
      - .offset:         50
        .size:           2
        .value_kind:     hidden_remainder_x
      - .offset:         52
        .size:           2
        .value_kind:     hidden_remainder_y
      - .offset:         54
        .size:           2
        .value_kind:     hidden_remainder_z
      - .offset:         72
        .size:           8
        .value_kind:     hidden_global_offset_x
      - .offset:         80
        .size:           8
        .value_kind:     hidden_global_offset_y
      - .offset:         88
        .size:           8
        .value_kind:     hidden_global_offset_z
      - .offset:         96
        .size:           2
        .value_kind:     hidden_grid_dims
      - .offset:         152
        .size:           4
        .value_kind:     hidden_dynamic_lds_size
    .group_segment_fixed_size: 0
    .kernarg_segment_align: 8
    .kernarg_segment_size: 288
    .language:       OpenCL C
    .language_version:
      - 2
      - 0
    .max_flat_workgroup_size: 96
    .name:           _ZL26flash_attn_combine_resultsILi96EEvPKfPK15HIP_vector_typeIfLj2EEPfi
    .private_segment_fixed_size: 0
    .sgpr_count:     38
    .sgpr_spill_count: 0
    .symbol:         _ZL26flash_attn_combine_resultsILi96EEvPKfPK15HIP_vector_typeIfLj2EEPfi.kd
    .uniform_work_group_size: 1
    .uses_dynamic_stack: false
    .vgpr_count:     57
    .vgpr_spill_count: 0
    .wavefront_size: 64
  - .agpr_count:     0
    .args:
      - .address_space:  global
        .offset:         0
        .size:           8
        .value_kind:     global_buffer
      - .address_space:  global
        .offset:         8
        .size:           8
        .value_kind:     global_buffer
      - .address_space:  global
        .offset:         16
        .size:           8
        .value_kind:     global_buffer
      - .address_space:  global
        .offset:         24
        .size:           8
        .value_kind:     global_buffer
      - .address_space:  global
        .offset:         32
        .size:           8
        .value_kind:     global_buffer
      - .address_space:  global
        .offset:         40
        .size:           8
        .value_kind:     global_buffer
      - .address_space:  global
        .offset:         48
        .size:           8
        .value_kind:     global_buffer
      - .address_space:  global
        .offset:         56
        .size:           8
        .value_kind:     global_buffer
      - .offset:         64
        .size:           4
        .value_kind:     by_value
      - .offset:         68
        .size:           4
        .value_kind:     by_value
      - .offset:         72
        .size:           4
        .value_kind:     by_value
      - .offset:         76
        .size:           4
        .value_kind:     by_value
      - .offset:         80
        .size:           4
        .value_kind:     by_value
      - .offset:         84
        .size:           4
        .value_kind:     by_value
      - .offset:         88
        .size:           4
        .value_kind:     by_value
      - .offset:         92
        .size:           12
        .value_kind:     by_value
      - .offset:         104
        .size:           4
        .value_kind:     by_value
      - .offset:         108
        .size:           4
        .value_kind:     by_value
      - .offset:         112
        .size:           4
        .value_kind:     by_value
      - .offset:         116
        .size:           4
        .value_kind:     by_value
      - .offset:         120
        .size:           4
        .value_kind:     by_value
      - .offset:         124
        .size:           4
        .value_kind:     by_value
      - .offset:         128
        .size:           4
        .value_kind:     by_value
      - .offset:         132
        .size:           4
        .value_kind:     by_value
      - .offset:         136
        .size:           4
        .value_kind:     by_value
      - .offset:         140
        .size:           4
        .value_kind:     by_value
      - .offset:         144
        .size:           4
        .value_kind:     by_value
      - .offset:         152
        .size:           8
        .value_kind:     by_value
      - .offset:         160
        .size:           4
        .value_kind:     by_value
      - .offset:         164
        .size:           4
        .value_kind:     by_value
      - .offset:         168
        .size:           8
        .value_kind:     by_value
      - .offset:         176
        .size:           4
        .value_kind:     by_value
      - .offset:         180
        .size:           4
        .value_kind:     by_value
      - .offset:         184
        .size:           4
        .value_kind:     by_value
      - .offset:         188
        .size:           4
        .value_kind:     by_value
      - .offset:         192
        .size:           4
        .value_kind:     by_value
      - .offset:         200
        .size:           8
        .value_kind:     by_value
      - .offset:         208
        .size:           4
        .value_kind:     hidden_block_count_x
      - .offset:         212
        .size:           4
        .value_kind:     hidden_block_count_y
      - .offset:         216
        .size:           4
        .value_kind:     hidden_block_count_z
      - .offset:         220
        .size:           2
        .value_kind:     hidden_group_size_x
      - .offset:         222
        .size:           2
        .value_kind:     hidden_group_size_y
      - .offset:         224
        .size:           2
        .value_kind:     hidden_group_size_z
      - .offset:         226
        .size:           2
        .value_kind:     hidden_remainder_x
      - .offset:         228
        .size:           2
        .value_kind:     hidden_remainder_y
      - .offset:         230
        .size:           2
        .value_kind:     hidden_remainder_z
      - .offset:         248
        .size:           8
        .value_kind:     hidden_global_offset_x
      - .offset:         256
        .size:           8
        .value_kind:     hidden_global_offset_y
      - .offset:         264
        .size:           8
        .value_kind:     hidden_global_offset_z
      - .offset:         272
        .size:           2
        .value_kind:     hidden_grid_dims
      - .offset:         328
        .size:           4
        .value_kind:     hidden_dynamic_lds_size
    .group_segment_fixed_size: 0
    .kernarg_segment_align: 8
    .kernarg_segment_size: 464
    .language:       OpenCL C
    .language_version:
      - 2
      - 0
    .max_flat_workgroup_size: 256
    .name:           _ZL18flash_attn_ext_f16ILi112ELi112ELi8ELi8ELb0ELb0EEvPKcS1_S1_S1_S1_PKiPfP15HIP_vector_typeIfLj2EEffffjfiS5_IjLj3EEiiiiiiiiiiiliiliiiiil
    .private_segment_fixed_size: 0
    .sgpr_count:     106
    .sgpr_spill_count: 25
    .symbol:         _ZL18flash_attn_ext_f16ILi112ELi112ELi8ELi8ELb0ELb0EEvPKcS1_S1_S1_S1_PKiPfP15HIP_vector_typeIfLj2EEffffjfiS5_IjLj3EEiiiiiiiiiiiliiliiiiil.kd
    .uniform_work_group_size: 1
    .uses_dynamic_stack: false
    .vgpr_count:     251
    .vgpr_spill_count: 0
    .wavefront_size: 64
  - .agpr_count:     0
    .args:
      - .address_space:  global
        .offset:         0
        .size:           8
        .value_kind:     global_buffer
      - .address_space:  global
        .offset:         8
        .size:           8
        .value_kind:     global_buffer
      - .address_space:  global
        .offset:         16
        .size:           8
        .value_kind:     global_buffer
      - .address_space:  global
        .offset:         24
        .size:           8
        .value_kind:     global_buffer
      - .address_space:  global
        .offset:         32
        .size:           8
        .value_kind:     global_buffer
      - .address_space:  global
        .offset:         40
        .size:           8
        .value_kind:     global_buffer
      - .address_space:  global
        .offset:         48
        .size:           8
        .value_kind:     global_buffer
      - .address_space:  global
        .offset:         56
        .size:           8
        .value_kind:     global_buffer
      - .offset:         64
        .size:           4
        .value_kind:     by_value
      - .offset:         68
        .size:           4
        .value_kind:     by_value
      - .offset:         72
        .size:           4
        .value_kind:     by_value
      - .offset:         76
        .size:           4
        .value_kind:     by_value
      - .offset:         80
        .size:           4
        .value_kind:     by_value
      - .offset:         84
        .size:           4
        .value_kind:     by_value
      - .offset:         88
        .size:           4
        .value_kind:     by_value
      - .offset:         92
        .size:           12
        .value_kind:     by_value
      - .offset:         104
        .size:           4
        .value_kind:     by_value
      - .offset:         108
        .size:           4
        .value_kind:     by_value
      - .offset:         112
        .size:           4
        .value_kind:     by_value
      - .offset:         116
        .size:           4
        .value_kind:     by_value
      - .offset:         120
        .size:           4
        .value_kind:     by_value
      - .offset:         124
        .size:           4
        .value_kind:     by_value
      - .offset:         128
        .size:           4
        .value_kind:     by_value
      - .offset:         132
        .size:           4
        .value_kind:     by_value
      - .offset:         136
        .size:           4
        .value_kind:     by_value
      - .offset:         140
        .size:           4
        .value_kind:     by_value
      - .offset:         144
        .size:           4
        .value_kind:     by_value
      - .offset:         152
        .size:           8
        .value_kind:     by_value
      - .offset:         160
        .size:           4
        .value_kind:     by_value
      - .offset:         164
        .size:           4
        .value_kind:     by_value
      - .offset:         168
        .size:           8
        .value_kind:     by_value
      - .offset:         176
        .size:           4
        .value_kind:     by_value
      - .offset:         180
        .size:           4
        .value_kind:     by_value
      - .offset:         184
        .size:           4
        .value_kind:     by_value
      - .offset:         188
        .size:           4
        .value_kind:     by_value
      - .offset:         192
        .size:           4
        .value_kind:     by_value
      - .offset:         200
        .size:           8
        .value_kind:     by_value
      - .offset:         208
        .size:           4
        .value_kind:     hidden_block_count_x
      - .offset:         212
        .size:           4
        .value_kind:     hidden_block_count_y
      - .offset:         216
        .size:           4
        .value_kind:     hidden_block_count_z
      - .offset:         220
        .size:           2
        .value_kind:     hidden_group_size_x
      - .offset:         222
        .size:           2
        .value_kind:     hidden_group_size_y
      - .offset:         224
        .size:           2
        .value_kind:     hidden_group_size_z
      - .offset:         226
        .size:           2
        .value_kind:     hidden_remainder_x
      - .offset:         228
        .size:           2
        .value_kind:     hidden_remainder_y
      - .offset:         230
        .size:           2
        .value_kind:     hidden_remainder_z
      - .offset:         248
        .size:           8
        .value_kind:     hidden_global_offset_x
      - .offset:         256
        .size:           8
        .value_kind:     hidden_global_offset_y
      - .offset:         264
        .size:           8
        .value_kind:     hidden_global_offset_z
      - .offset:         272
        .size:           2
        .value_kind:     hidden_grid_dims
      - .offset:         288
        .size:           8
        .value_kind:     hidden_hostcall_buffer
    .group_segment_fixed_size: 0
    .kernarg_segment_align: 8
    .kernarg_segment_size: 464
    .language:       OpenCL C
    .language_version:
      - 2
      - 0
    .max_flat_workgroup_size: 256
    .name:           _ZL18flash_attn_ext_f16ILi112ELi112ELi8ELi8ELb1ELb0EEvPKcS1_S1_S1_S1_PKiPfP15HIP_vector_typeIfLj2EEffffjfiS5_IjLj3EEiiiiiiiiiiiliiliiiiil
    .private_segment_fixed_size: 16
    .sgpr_count:     40
    .sgpr_spill_count: 0
    .symbol:         _ZL18flash_attn_ext_f16ILi112ELi112ELi8ELi8ELb1ELb0EEvPKcS1_S1_S1_S1_PKiPfP15HIP_vector_typeIfLj2EEffffjfiS5_IjLj3EEiiiiiiiiiiiliiliiiiil.kd
    .uniform_work_group_size: 1
    .uses_dynamic_stack: false
    .vgpr_count:     50
    .vgpr_spill_count: 0
    .wavefront_size: 64
  - .agpr_count:     0
    .args:
      - .address_space:  global
        .offset:         0
        .size:           8
        .value_kind:     global_buffer
      - .address_space:  global
        .offset:         8
        .size:           8
        .value_kind:     global_buffer
      - .offset:         16
        .size:           4
        .value_kind:     by_value
      - .offset:         20
        .size:           4
        .value_kind:     by_value
      - .offset:         24
        .size:           4
        .value_kind:     by_value
      - .offset:         28
        .size:           4
        .value_kind:     by_value
      - .offset:         32
        .size:           4
        .value_kind:     by_value
      - .offset:         36
        .size:           4
        .value_kind:     by_value
      - .offset:         40
        .size:           12
        .value_kind:     by_value
      - .offset:         52
        .size:           12
        .value_kind:     by_value
      - .offset:         64
        .size:           12
        .value_kind:     by_value
    .group_segment_fixed_size: 0
    .kernarg_segment_align: 8
    .kernarg_segment_size: 76
    .language:       OpenCL C
    .language_version:
      - 2
      - 0
    .max_flat_workgroup_size: 112
    .name:           _ZL33flash_attn_stream_k_fixup_uniformILi112ELi8ELi8EEvPfPK15HIP_vector_typeIfLj2EEiiiiiiS1_IjLj3EES5_S5_
    .private_segment_fixed_size: 0
    .sgpr_count:     26
    .sgpr_spill_count: 0
    .symbol:         _ZL33flash_attn_stream_k_fixup_uniformILi112ELi8ELi8EEvPfPK15HIP_vector_typeIfLj2EEiiiiiiS1_IjLj3EES5_S5_.kd
    .uniform_work_group_size: 1
    .uses_dynamic_stack: false
    .vgpr_count:     17
    .vgpr_spill_count: 0
    .wavefront_size: 64
  - .agpr_count:     0
    .args:
      - .address_space:  global
        .offset:         0
        .size:           8
        .value_kind:     global_buffer
      - .address_space:  global
        .offset:         8
        .size:           8
        .value_kind:     global_buffer
      - .offset:         16
        .size:           4
        .value_kind:     by_value
      - .offset:         20
        .size:           4
        .value_kind:     by_value
      - .offset:         24
        .size:           4
        .value_kind:     by_value
      - .offset:         28
        .size:           4
        .value_kind:     by_value
      - .offset:         32
        .size:           12
        .value_kind:     by_value
      - .offset:         44
        .size:           12
        .value_kind:     by_value
      - .offset:         56
        .size:           12
        .value_kind:     by_value
      - .offset:         68
        .size:           12
        .value_kind:     by_value
      - .offset:         80
        .size:           4
        .value_kind:     hidden_block_count_x
      - .offset:         84
        .size:           4
        .value_kind:     hidden_block_count_y
      - .offset:         88
        .size:           4
        .value_kind:     hidden_block_count_z
      - .offset:         92
        .size:           2
        .value_kind:     hidden_group_size_x
      - .offset:         94
        .size:           2
        .value_kind:     hidden_group_size_y
      - .offset:         96
        .size:           2
        .value_kind:     hidden_group_size_z
      - .offset:         98
        .size:           2
        .value_kind:     hidden_remainder_x
      - .offset:         100
        .size:           2
        .value_kind:     hidden_remainder_y
      - .offset:         102
        .size:           2
        .value_kind:     hidden_remainder_z
      - .offset:         120
        .size:           8
        .value_kind:     hidden_global_offset_x
      - .offset:         128
        .size:           8
        .value_kind:     hidden_global_offset_y
      - .offset:         136
        .size:           8
        .value_kind:     hidden_global_offset_z
      - .offset:         144
        .size:           2
        .value_kind:     hidden_grid_dims
    .group_segment_fixed_size: 0
    .kernarg_segment_align: 8
    .kernarg_segment_size: 336
    .language:       OpenCL C
    .language_version:
      - 2
      - 0
    .max_flat_workgroup_size: 112
    .name:           _ZL33flash_attn_stream_k_fixup_generalILi112ELi8ELi8EEvPfPK15HIP_vector_typeIfLj2EEiiiiS1_IjLj3EES5_S5_S5_
    .private_segment_fixed_size: 0
    .sgpr_count:     42
    .sgpr_spill_count: 0
    .symbol:         _ZL33flash_attn_stream_k_fixup_generalILi112ELi8ELi8EEvPfPK15HIP_vector_typeIfLj2EEiiiiS1_IjLj3EES5_S5_S5_.kd
    .uniform_work_group_size: 1
    .uses_dynamic_stack: false
    .vgpr_count:     18
    .vgpr_spill_count: 0
    .wavefront_size: 64
  - .agpr_count:     0
    .args:
      - .address_space:  global
        .offset:         0
        .size:           8
        .value_kind:     global_buffer
      - .address_space:  global
        .offset:         8
        .size:           8
        .value_kind:     global_buffer
      - .address_space:  global
        .offset:         16
        .size:           8
        .value_kind:     global_buffer
      - .offset:         24
        .size:           4
        .value_kind:     by_value
      - .offset:         32
        .size:           4
        .value_kind:     hidden_block_count_x
      - .offset:         36
        .size:           4
        .value_kind:     hidden_block_count_y
      - .offset:         40
        .size:           4
        .value_kind:     hidden_block_count_z
      - .offset:         44
        .size:           2
        .value_kind:     hidden_group_size_x
      - .offset:         46
        .size:           2
        .value_kind:     hidden_group_size_y
      - .offset:         48
        .size:           2
        .value_kind:     hidden_group_size_z
      - .offset:         50
        .size:           2
        .value_kind:     hidden_remainder_x
      - .offset:         52
        .size:           2
        .value_kind:     hidden_remainder_y
      - .offset:         54
        .size:           2
        .value_kind:     hidden_remainder_z
      - .offset:         72
        .size:           8
        .value_kind:     hidden_global_offset_x
      - .offset:         80
        .size:           8
        .value_kind:     hidden_global_offset_y
      - .offset:         88
        .size:           8
        .value_kind:     hidden_global_offset_z
      - .offset:         96
        .size:           2
        .value_kind:     hidden_grid_dims
      - .offset:         152
        .size:           4
        .value_kind:     hidden_dynamic_lds_size
    .group_segment_fixed_size: 0
    .kernarg_segment_align: 8
    .kernarg_segment_size: 288
    .language:       OpenCL C
    .language_version:
      - 2
      - 0
    .max_flat_workgroup_size: 112
    .name:           _ZL26flash_attn_combine_resultsILi112EEvPKfPK15HIP_vector_typeIfLj2EEPfi
    .private_segment_fixed_size: 0
    .sgpr_count:     36
    .sgpr_spill_count: 0
    .symbol:         _ZL26flash_attn_combine_resultsILi112EEvPKfPK15HIP_vector_typeIfLj2EEPfi.kd
    .uniform_work_group_size: 1
    .uses_dynamic_stack: false
    .vgpr_count:     57
    .vgpr_spill_count: 0
    .wavefront_size: 64
  - .agpr_count:     0
    .args:
      - .address_space:  global
        .offset:         0
        .size:           8
        .value_kind:     global_buffer
      - .address_space:  global
        .offset:         8
        .size:           8
        .value_kind:     global_buffer
      - .address_space:  global
        .offset:         16
        .size:           8
        .value_kind:     global_buffer
      - .address_space:  global
        .offset:         24
        .size:           8
        .value_kind:     global_buffer
      - .address_space:  global
        .offset:         32
        .size:           8
        .value_kind:     global_buffer
      - .address_space:  global
        .offset:         40
        .size:           8
        .value_kind:     global_buffer
      - .address_space:  global
        .offset:         48
        .size:           8
        .value_kind:     global_buffer
      - .address_space:  global
        .offset:         56
        .size:           8
        .value_kind:     global_buffer
      - .offset:         64
        .size:           4
        .value_kind:     by_value
      - .offset:         68
        .size:           4
        .value_kind:     by_value
      - .offset:         72
        .size:           4
        .value_kind:     by_value
      - .offset:         76
        .size:           4
        .value_kind:     by_value
      - .offset:         80
        .size:           4
        .value_kind:     by_value
      - .offset:         84
        .size:           4
        .value_kind:     by_value
      - .offset:         88
        .size:           4
        .value_kind:     by_value
      - .offset:         92
        .size:           12
        .value_kind:     by_value
      - .offset:         104
        .size:           4
        .value_kind:     by_value
      - .offset:         108
        .size:           4
        .value_kind:     by_value
      - .offset:         112
        .size:           4
        .value_kind:     by_value
      - .offset:         116
        .size:           4
        .value_kind:     by_value
      - .offset:         120
        .size:           4
        .value_kind:     by_value
      - .offset:         124
        .size:           4
        .value_kind:     by_value
      - .offset:         128
        .size:           4
        .value_kind:     by_value
      - .offset:         132
        .size:           4
        .value_kind:     by_value
      - .offset:         136
        .size:           4
        .value_kind:     by_value
      - .offset:         140
        .size:           4
        .value_kind:     by_value
      - .offset:         144
        .size:           4
        .value_kind:     by_value
      - .offset:         152
        .size:           8
        .value_kind:     by_value
      - .offset:         160
        .size:           4
        .value_kind:     by_value
      - .offset:         164
        .size:           4
        .value_kind:     by_value
      - .offset:         168
        .size:           8
        .value_kind:     by_value
      - .offset:         176
        .size:           4
        .value_kind:     by_value
      - .offset:         180
        .size:           4
        .value_kind:     by_value
      - .offset:         184
        .size:           4
        .value_kind:     by_value
      - .offset:         188
        .size:           4
        .value_kind:     by_value
      - .offset:         192
        .size:           4
        .value_kind:     by_value
      - .offset:         200
        .size:           8
        .value_kind:     by_value
      - .offset:         208
        .size:           4
        .value_kind:     hidden_block_count_x
      - .offset:         212
        .size:           4
        .value_kind:     hidden_block_count_y
      - .offset:         216
        .size:           4
        .value_kind:     hidden_block_count_z
      - .offset:         220
        .size:           2
        .value_kind:     hidden_group_size_x
      - .offset:         222
        .size:           2
        .value_kind:     hidden_group_size_y
      - .offset:         224
        .size:           2
        .value_kind:     hidden_group_size_z
      - .offset:         226
        .size:           2
        .value_kind:     hidden_remainder_x
      - .offset:         228
        .size:           2
        .value_kind:     hidden_remainder_y
      - .offset:         230
        .size:           2
        .value_kind:     hidden_remainder_z
      - .offset:         248
        .size:           8
        .value_kind:     hidden_global_offset_x
      - .offset:         256
        .size:           8
        .value_kind:     hidden_global_offset_y
      - .offset:         264
        .size:           8
        .value_kind:     hidden_global_offset_z
      - .offset:         272
        .size:           2
        .value_kind:     hidden_grid_dims
      - .offset:         328
        .size:           4
        .value_kind:     hidden_dynamic_lds_size
    .group_segment_fixed_size: 0
    .kernarg_segment_align: 8
    .kernarg_segment_size: 464
    .language:       OpenCL C
    .language_version:
      - 2
      - 0
    .max_flat_workgroup_size: 256
    .name:           _ZL18flash_attn_ext_f16ILi128ELi128ELi8ELi8ELb0ELb0EEvPKcS1_S1_S1_S1_PKiPfP15HIP_vector_typeIfLj2EEffffjfiS5_IjLj3EEiiiiiiiiiiiliiliiiiil
    .private_segment_fixed_size: 84
    .sgpr_count:     106
    .sgpr_spill_count: 23
    .symbol:         _ZL18flash_attn_ext_f16ILi128ELi128ELi8ELi8ELb0ELb0EEvPKcS1_S1_S1_S1_PKiPfP15HIP_vector_typeIfLj2EEffffjfiS5_IjLj3EEiiiiiiiiiiiliiliiiiil.kd
    .uniform_work_group_size: 1
    .uses_dynamic_stack: false
    .vgpr_count:     256
    .vgpr_spill_count: 20
    .wavefront_size: 64
  - .agpr_count:     0
    .args:
      - .address_space:  global
        .offset:         0
        .size:           8
        .value_kind:     global_buffer
      - .address_space:  global
        .offset:         8
        .size:           8
        .value_kind:     global_buffer
      - .address_space:  global
        .offset:         16
        .size:           8
        .value_kind:     global_buffer
      - .address_space:  global
        .offset:         24
        .size:           8
        .value_kind:     global_buffer
      - .address_space:  global
        .offset:         32
        .size:           8
        .value_kind:     global_buffer
      - .address_space:  global
        .offset:         40
        .size:           8
        .value_kind:     global_buffer
      - .address_space:  global
        .offset:         48
        .size:           8
        .value_kind:     global_buffer
      - .address_space:  global
        .offset:         56
        .size:           8
        .value_kind:     global_buffer
      - .offset:         64
        .size:           4
        .value_kind:     by_value
      - .offset:         68
        .size:           4
        .value_kind:     by_value
      - .offset:         72
        .size:           4
        .value_kind:     by_value
      - .offset:         76
        .size:           4
        .value_kind:     by_value
      - .offset:         80
        .size:           4
        .value_kind:     by_value
      - .offset:         84
        .size:           4
        .value_kind:     by_value
      - .offset:         88
        .size:           4
        .value_kind:     by_value
      - .offset:         92
        .size:           12
        .value_kind:     by_value
      - .offset:         104
        .size:           4
        .value_kind:     by_value
      - .offset:         108
        .size:           4
        .value_kind:     by_value
      - .offset:         112
        .size:           4
        .value_kind:     by_value
      - .offset:         116
        .size:           4
        .value_kind:     by_value
      - .offset:         120
        .size:           4
        .value_kind:     by_value
      - .offset:         124
        .size:           4
        .value_kind:     by_value
      - .offset:         128
        .size:           4
        .value_kind:     by_value
      - .offset:         132
        .size:           4
        .value_kind:     by_value
      - .offset:         136
        .size:           4
        .value_kind:     by_value
      - .offset:         140
        .size:           4
        .value_kind:     by_value
      - .offset:         144
        .size:           4
        .value_kind:     by_value
      - .offset:         152
        .size:           8
        .value_kind:     by_value
      - .offset:         160
        .size:           4
        .value_kind:     by_value
      - .offset:         164
        .size:           4
        .value_kind:     by_value
      - .offset:         168
        .size:           8
        .value_kind:     by_value
      - .offset:         176
        .size:           4
        .value_kind:     by_value
      - .offset:         180
        .size:           4
        .value_kind:     by_value
      - .offset:         184
        .size:           4
        .value_kind:     by_value
      - .offset:         188
        .size:           4
        .value_kind:     by_value
      - .offset:         192
        .size:           4
        .value_kind:     by_value
      - .offset:         200
        .size:           8
        .value_kind:     by_value
      - .offset:         208
        .size:           4
        .value_kind:     hidden_block_count_x
      - .offset:         212
        .size:           4
        .value_kind:     hidden_block_count_y
      - .offset:         216
        .size:           4
        .value_kind:     hidden_block_count_z
      - .offset:         220
        .size:           2
        .value_kind:     hidden_group_size_x
      - .offset:         222
        .size:           2
        .value_kind:     hidden_group_size_y
      - .offset:         224
        .size:           2
        .value_kind:     hidden_group_size_z
      - .offset:         226
        .size:           2
        .value_kind:     hidden_remainder_x
      - .offset:         228
        .size:           2
        .value_kind:     hidden_remainder_y
      - .offset:         230
        .size:           2
        .value_kind:     hidden_remainder_z
      - .offset:         248
        .size:           8
        .value_kind:     hidden_global_offset_x
      - .offset:         256
        .size:           8
        .value_kind:     hidden_global_offset_y
      - .offset:         264
        .size:           8
        .value_kind:     hidden_global_offset_z
      - .offset:         272
        .size:           2
        .value_kind:     hidden_grid_dims
      - .offset:         328
        .size:           4
        .value_kind:     hidden_dynamic_lds_size
    .group_segment_fixed_size: 0
    .kernarg_segment_align: 8
    .kernarg_segment_size: 464
    .language:       OpenCL C
    .language_version:
      - 2
      - 0
    .max_flat_workgroup_size: 256
    .name:           _ZL18flash_attn_ext_f16ILi128ELi128ELi8ELi8ELb1ELb0EEvPKcS1_S1_S1_S1_PKiPfP15HIP_vector_typeIfLj2EEffffjfiS5_IjLj3EEiiiiiiiiiiiliiliiiiil
    .private_segment_fixed_size: 88
    .sgpr_count:     106
    .sgpr_spill_count: 27
    .symbol:         _ZL18flash_attn_ext_f16ILi128ELi128ELi8ELi8ELb1ELb0EEvPKcS1_S1_S1_S1_PKiPfP15HIP_vector_typeIfLj2EEffffjfiS5_IjLj3EEiiiiiiiiiiiliiliiiiil.kd
    .uniform_work_group_size: 1
    .uses_dynamic_stack: false
    .vgpr_count:     256
    .vgpr_spill_count: 21
    .wavefront_size: 64
  - .agpr_count:     0
    .args:
      - .address_space:  global
        .offset:         0
        .size:           8
        .value_kind:     global_buffer
      - .address_space:  global
        .offset:         8
        .size:           8
        .value_kind:     global_buffer
      - .offset:         16
        .size:           4
        .value_kind:     by_value
      - .offset:         20
        .size:           4
        .value_kind:     by_value
      - .offset:         24
        .size:           4
        .value_kind:     by_value
      - .offset:         28
        .size:           4
        .value_kind:     by_value
      - .offset:         32
        .size:           4
        .value_kind:     by_value
      - .offset:         36
        .size:           4
        .value_kind:     by_value
      - .offset:         40
        .size:           12
        .value_kind:     by_value
      - .offset:         52
        .size:           12
        .value_kind:     by_value
      - .offset:         64
        .size:           12
        .value_kind:     by_value
    .group_segment_fixed_size: 0
    .kernarg_segment_align: 8
    .kernarg_segment_size: 76
    .language:       OpenCL C
    .language_version:
      - 2
      - 0
    .max_flat_workgroup_size: 128
    .name:           _ZL33flash_attn_stream_k_fixup_uniformILi128ELi8ELi8EEvPfPK15HIP_vector_typeIfLj2EEiiiiiiS1_IjLj3EES5_S5_
    .private_segment_fixed_size: 0
    .sgpr_count:     30
    .sgpr_spill_count: 0
    .symbol:         _ZL33flash_attn_stream_k_fixup_uniformILi128ELi8ELi8EEvPfPK15HIP_vector_typeIfLj2EEiiiiiiS1_IjLj3EES5_S5_.kd
    .uniform_work_group_size: 1
    .uses_dynamic_stack: false
    .vgpr_count:     17
    .vgpr_spill_count: 0
    .wavefront_size: 64
  - .agpr_count:     0
    .args:
      - .address_space:  global
        .offset:         0
        .size:           8
        .value_kind:     global_buffer
      - .address_space:  global
        .offset:         8
        .size:           8
        .value_kind:     global_buffer
      - .offset:         16
        .size:           4
        .value_kind:     by_value
      - .offset:         20
        .size:           4
        .value_kind:     by_value
      - .offset:         24
        .size:           4
        .value_kind:     by_value
      - .offset:         28
        .size:           4
        .value_kind:     by_value
      - .offset:         32
        .size:           12
        .value_kind:     by_value
      - .offset:         44
        .size:           12
        .value_kind:     by_value
      - .offset:         56
        .size:           12
        .value_kind:     by_value
      - .offset:         68
        .size:           12
        .value_kind:     by_value
      - .offset:         80
        .size:           4
        .value_kind:     hidden_block_count_x
      - .offset:         84
        .size:           4
        .value_kind:     hidden_block_count_y
      - .offset:         88
        .size:           4
        .value_kind:     hidden_block_count_z
      - .offset:         92
        .size:           2
        .value_kind:     hidden_group_size_x
      - .offset:         94
        .size:           2
        .value_kind:     hidden_group_size_y
      - .offset:         96
        .size:           2
        .value_kind:     hidden_group_size_z
      - .offset:         98
        .size:           2
        .value_kind:     hidden_remainder_x
      - .offset:         100
        .size:           2
        .value_kind:     hidden_remainder_y
      - .offset:         102
        .size:           2
        .value_kind:     hidden_remainder_z
      - .offset:         120
        .size:           8
        .value_kind:     hidden_global_offset_x
      - .offset:         128
        .size:           8
        .value_kind:     hidden_global_offset_y
      - .offset:         136
        .size:           8
        .value_kind:     hidden_global_offset_z
      - .offset:         144
        .size:           2
        .value_kind:     hidden_grid_dims
    .group_segment_fixed_size: 0
    .kernarg_segment_align: 8
    .kernarg_segment_size: 336
    .language:       OpenCL C
    .language_version:
      - 2
      - 0
    .max_flat_workgroup_size: 128
    .name:           _ZL33flash_attn_stream_k_fixup_generalILi128ELi8ELi8EEvPfPK15HIP_vector_typeIfLj2EEiiiiS1_IjLj3EES5_S5_S5_
    .private_segment_fixed_size: 0
    .sgpr_count:     42
    .sgpr_spill_count: 0
    .symbol:         _ZL33flash_attn_stream_k_fixup_generalILi128ELi8ELi8EEvPfPK15HIP_vector_typeIfLj2EEiiiiS1_IjLj3EES5_S5_S5_.kd
    .uniform_work_group_size: 1
    .uses_dynamic_stack: false
    .vgpr_count:     18
    .vgpr_spill_count: 0
    .wavefront_size: 64
  - .agpr_count:     0
    .args:
      - .address_space:  global
        .offset:         0
        .size:           8
        .value_kind:     global_buffer
      - .address_space:  global
        .offset:         8
        .size:           8
        .value_kind:     global_buffer
      - .address_space:  global
        .offset:         16
        .size:           8
        .value_kind:     global_buffer
      - .offset:         24
        .size:           4
        .value_kind:     by_value
      - .offset:         32
        .size:           4
        .value_kind:     hidden_block_count_x
      - .offset:         36
        .size:           4
        .value_kind:     hidden_block_count_y
      - .offset:         40
        .size:           4
        .value_kind:     hidden_block_count_z
      - .offset:         44
        .size:           2
        .value_kind:     hidden_group_size_x
      - .offset:         46
        .size:           2
        .value_kind:     hidden_group_size_y
      - .offset:         48
        .size:           2
        .value_kind:     hidden_group_size_z
      - .offset:         50
        .size:           2
        .value_kind:     hidden_remainder_x
      - .offset:         52
        .size:           2
        .value_kind:     hidden_remainder_y
      - .offset:         54
        .size:           2
        .value_kind:     hidden_remainder_z
      - .offset:         72
        .size:           8
        .value_kind:     hidden_global_offset_x
      - .offset:         80
        .size:           8
        .value_kind:     hidden_global_offset_y
      - .offset:         88
        .size:           8
        .value_kind:     hidden_global_offset_z
      - .offset:         96
        .size:           2
        .value_kind:     hidden_grid_dims
      - .offset:         152
        .size:           4
        .value_kind:     hidden_dynamic_lds_size
    .group_segment_fixed_size: 0
    .kernarg_segment_align: 8
    .kernarg_segment_size: 288
    .language:       OpenCL C
    .language_version:
      - 2
      - 0
    .max_flat_workgroup_size: 128
    .name:           _ZL26flash_attn_combine_resultsILi128EEvPKfPK15HIP_vector_typeIfLj2EEPfi
    .private_segment_fixed_size: 0
    .sgpr_count:     32
    .sgpr_spill_count: 0
    .symbol:         _ZL26flash_attn_combine_resultsILi128EEvPKfPK15HIP_vector_typeIfLj2EEPfi.kd
    .uniform_work_group_size: 1
    .uses_dynamic_stack: false
    .vgpr_count:     59
    .vgpr_spill_count: 0
    .wavefront_size: 64
  - .agpr_count:     0
    .args:
      - .address_space:  global
        .offset:         0
        .size:           8
        .value_kind:     global_buffer
      - .address_space:  global
        .offset:         8
        .size:           8
        .value_kind:     global_buffer
      - .address_space:  global
        .offset:         16
        .size:           8
        .value_kind:     global_buffer
      - .address_space:  global
        .offset:         24
        .size:           8
        .value_kind:     global_buffer
      - .address_space:  global
        .offset:         32
        .size:           8
        .value_kind:     global_buffer
      - .address_space:  global
        .offset:         40
        .size:           8
        .value_kind:     global_buffer
      - .address_space:  global
        .offset:         48
        .size:           8
        .value_kind:     global_buffer
      - .address_space:  global
        .offset:         56
        .size:           8
        .value_kind:     global_buffer
      - .offset:         64
        .size:           4
        .value_kind:     by_value
      - .offset:         68
        .size:           4
        .value_kind:     by_value
      - .offset:         72
        .size:           4
        .value_kind:     by_value
      - .offset:         76
        .size:           4
        .value_kind:     by_value
      - .offset:         80
        .size:           4
        .value_kind:     by_value
      - .offset:         84
        .size:           4
        .value_kind:     by_value
      - .offset:         88
        .size:           4
        .value_kind:     by_value
      - .offset:         92
        .size:           12
        .value_kind:     by_value
      - .offset:         104
        .size:           4
        .value_kind:     by_value
      - .offset:         108
        .size:           4
        .value_kind:     by_value
      - .offset:         112
        .size:           4
        .value_kind:     by_value
      - .offset:         116
        .size:           4
        .value_kind:     by_value
      - .offset:         120
        .size:           4
        .value_kind:     by_value
      - .offset:         124
        .size:           4
        .value_kind:     by_value
      - .offset:         128
        .size:           4
        .value_kind:     by_value
      - .offset:         132
        .size:           4
        .value_kind:     by_value
      - .offset:         136
        .size:           4
        .value_kind:     by_value
      - .offset:         140
        .size:           4
        .value_kind:     by_value
      - .offset:         144
        .size:           4
        .value_kind:     by_value
      - .offset:         152
        .size:           8
        .value_kind:     by_value
      - .offset:         160
        .size:           4
        .value_kind:     by_value
      - .offset:         164
        .size:           4
        .value_kind:     by_value
      - .offset:         168
        .size:           8
        .value_kind:     by_value
      - .offset:         176
        .size:           4
        .value_kind:     by_value
      - .offset:         180
        .size:           4
        .value_kind:     by_value
      - .offset:         184
        .size:           4
        .value_kind:     by_value
      - .offset:         188
        .size:           4
        .value_kind:     by_value
      - .offset:         192
        .size:           4
        .value_kind:     by_value
      - .offset:         200
        .size:           8
        .value_kind:     by_value
      - .offset:         208
        .size:           4
        .value_kind:     hidden_block_count_x
      - .offset:         212
        .size:           4
        .value_kind:     hidden_block_count_y
      - .offset:         216
        .size:           4
        .value_kind:     hidden_block_count_z
      - .offset:         220
        .size:           2
        .value_kind:     hidden_group_size_x
      - .offset:         222
        .size:           2
        .value_kind:     hidden_group_size_y
      - .offset:         224
        .size:           2
        .value_kind:     hidden_group_size_z
      - .offset:         226
        .size:           2
        .value_kind:     hidden_remainder_x
      - .offset:         228
        .size:           2
        .value_kind:     hidden_remainder_y
      - .offset:         230
        .size:           2
        .value_kind:     hidden_remainder_z
      - .offset:         248
        .size:           8
        .value_kind:     hidden_global_offset_x
      - .offset:         256
        .size:           8
        .value_kind:     hidden_global_offset_y
      - .offset:         264
        .size:           8
        .value_kind:     hidden_global_offset_z
      - .offset:         272
        .size:           2
        .value_kind:     hidden_grid_dims
      - .offset:         328
        .size:           4
        .value_kind:     hidden_dynamic_lds_size
    .group_segment_fixed_size: 0
    .kernarg_segment_align: 8
    .kernarg_segment_size: 464
    .language:       OpenCL C
    .language_version:
      - 2
      - 0
    .max_flat_workgroup_size: 512
    .name:           _ZL18flash_attn_ext_f16ILi192ELi128ELi8ELi8ELb0ELb0EEvPKcS1_S1_S1_S1_PKiPfP15HIP_vector_typeIfLj2EEffffjfiS5_IjLj3EEiiiiiiiiiiiliiliiiiil
    .private_segment_fixed_size: 0
    .sgpr_count:     104
    .sgpr_spill_count: 0
    .symbol:         _ZL18flash_attn_ext_f16ILi192ELi128ELi8ELi8ELb0ELb0EEvPKcS1_S1_S1_S1_PKiPfP15HIP_vector_typeIfLj2EEffffjfiS5_IjLj3EEiiiiiiiiiiiliiliiiiil.kd
    .uniform_work_group_size: 1
    .uses_dynamic_stack: false
    .vgpr_count:     252
    .vgpr_spill_count: 0
    .wavefront_size: 64
  - .agpr_count:     0
    .args:
      - .address_space:  global
        .offset:         0
        .size:           8
        .value_kind:     global_buffer
      - .address_space:  global
        .offset:         8
        .size:           8
        .value_kind:     global_buffer
      - .address_space:  global
        .offset:         16
        .size:           8
        .value_kind:     global_buffer
      - .address_space:  global
        .offset:         24
        .size:           8
        .value_kind:     global_buffer
      - .address_space:  global
        .offset:         32
        .size:           8
        .value_kind:     global_buffer
      - .address_space:  global
        .offset:         40
        .size:           8
        .value_kind:     global_buffer
      - .address_space:  global
        .offset:         48
        .size:           8
        .value_kind:     global_buffer
      - .address_space:  global
        .offset:         56
        .size:           8
        .value_kind:     global_buffer
      - .offset:         64
        .size:           4
        .value_kind:     by_value
      - .offset:         68
        .size:           4
        .value_kind:     by_value
      - .offset:         72
        .size:           4
        .value_kind:     by_value
      - .offset:         76
        .size:           4
        .value_kind:     by_value
      - .offset:         80
        .size:           4
        .value_kind:     by_value
      - .offset:         84
        .size:           4
        .value_kind:     by_value
      - .offset:         88
        .size:           4
        .value_kind:     by_value
      - .offset:         92
        .size:           12
        .value_kind:     by_value
      - .offset:         104
        .size:           4
        .value_kind:     by_value
      - .offset:         108
        .size:           4
        .value_kind:     by_value
      - .offset:         112
        .size:           4
        .value_kind:     by_value
      - .offset:         116
        .size:           4
        .value_kind:     by_value
      - .offset:         120
        .size:           4
        .value_kind:     by_value
      - .offset:         124
        .size:           4
        .value_kind:     by_value
      - .offset:         128
        .size:           4
        .value_kind:     by_value
      - .offset:         132
        .size:           4
        .value_kind:     by_value
      - .offset:         136
        .size:           4
        .value_kind:     by_value
      - .offset:         140
        .size:           4
        .value_kind:     by_value
      - .offset:         144
        .size:           4
        .value_kind:     by_value
      - .offset:         152
        .size:           8
        .value_kind:     by_value
      - .offset:         160
        .size:           4
        .value_kind:     by_value
      - .offset:         164
        .size:           4
        .value_kind:     by_value
      - .offset:         168
        .size:           8
        .value_kind:     by_value
      - .offset:         176
        .size:           4
        .value_kind:     by_value
      - .offset:         180
        .size:           4
        .value_kind:     by_value
      - .offset:         184
        .size:           4
        .value_kind:     by_value
      - .offset:         188
        .size:           4
        .value_kind:     by_value
      - .offset:         192
        .size:           4
        .value_kind:     by_value
      - .offset:         200
        .size:           8
        .value_kind:     by_value
      - .offset:         208
        .size:           4
        .value_kind:     hidden_block_count_x
      - .offset:         212
        .size:           4
        .value_kind:     hidden_block_count_y
      - .offset:         216
        .size:           4
        .value_kind:     hidden_block_count_z
      - .offset:         220
        .size:           2
        .value_kind:     hidden_group_size_x
      - .offset:         222
        .size:           2
        .value_kind:     hidden_group_size_y
      - .offset:         224
        .size:           2
        .value_kind:     hidden_group_size_z
      - .offset:         226
        .size:           2
        .value_kind:     hidden_remainder_x
      - .offset:         228
        .size:           2
        .value_kind:     hidden_remainder_y
      - .offset:         230
        .size:           2
        .value_kind:     hidden_remainder_z
      - .offset:         248
        .size:           8
        .value_kind:     hidden_global_offset_x
      - .offset:         256
        .size:           8
        .value_kind:     hidden_global_offset_y
      - .offset:         264
        .size:           8
        .value_kind:     hidden_global_offset_z
      - .offset:         272
        .size:           2
        .value_kind:     hidden_grid_dims
      - .offset:         288
        .size:           8
        .value_kind:     hidden_hostcall_buffer
    .group_segment_fixed_size: 0
    .kernarg_segment_align: 8
    .kernarg_segment_size: 464
    .language:       OpenCL C
    .language_version:
      - 2
      - 0
    .max_flat_workgroup_size: 512
    .name:           _ZL18flash_attn_ext_f16ILi192ELi128ELi8ELi8ELb1ELb0EEvPKcS1_S1_S1_S1_PKiPfP15HIP_vector_typeIfLj2EEffffjfiS5_IjLj3EEiiiiiiiiiiiliiliiiiil
    .private_segment_fixed_size: 16
    .sgpr_count:     40
    .sgpr_spill_count: 0
    .symbol:         _ZL18flash_attn_ext_f16ILi192ELi128ELi8ELi8ELb1ELb0EEvPKcS1_S1_S1_S1_PKiPfP15HIP_vector_typeIfLj2EEffffjfiS5_IjLj3EEiiiiiiiiiiiliiliiiiil.kd
    .uniform_work_group_size: 1
    .uses_dynamic_stack: false
    .vgpr_count:     50
    .vgpr_spill_count: 0
    .wavefront_size: 64
  - .agpr_count:     0
    .args:
      - .address_space:  global
        .offset:         0
        .size:           8
        .value_kind:     global_buffer
      - .address_space:  global
        .offset:         8
        .size:           8
        .value_kind:     global_buffer
      - .address_space:  global
        .offset:         16
        .size:           8
        .value_kind:     global_buffer
      - .address_space:  global
        .offset:         24
        .size:           8
        .value_kind:     global_buffer
      - .address_space:  global
        .offset:         32
        .size:           8
        .value_kind:     global_buffer
      - .address_space:  global
        .offset:         40
        .size:           8
        .value_kind:     global_buffer
      - .address_space:  global
        .offset:         48
        .size:           8
        .value_kind:     global_buffer
      - .address_space:  global
        .offset:         56
        .size:           8
        .value_kind:     global_buffer
      - .offset:         64
        .size:           4
        .value_kind:     by_value
      - .offset:         68
        .size:           4
        .value_kind:     by_value
      - .offset:         72
        .size:           4
        .value_kind:     by_value
      - .offset:         76
        .size:           4
        .value_kind:     by_value
      - .offset:         80
        .size:           4
        .value_kind:     by_value
      - .offset:         84
        .size:           4
        .value_kind:     by_value
      - .offset:         88
        .size:           4
        .value_kind:     by_value
      - .offset:         92
        .size:           12
        .value_kind:     by_value
      - .offset:         104
        .size:           4
        .value_kind:     by_value
      - .offset:         108
        .size:           4
        .value_kind:     by_value
      - .offset:         112
        .size:           4
        .value_kind:     by_value
      - .offset:         116
        .size:           4
        .value_kind:     by_value
      - .offset:         120
        .size:           4
        .value_kind:     by_value
      - .offset:         124
        .size:           4
        .value_kind:     by_value
      - .offset:         128
        .size:           4
        .value_kind:     by_value
      - .offset:         132
        .size:           4
        .value_kind:     by_value
      - .offset:         136
        .size:           4
        .value_kind:     by_value
      - .offset:         140
        .size:           4
        .value_kind:     by_value
      - .offset:         144
        .size:           4
        .value_kind:     by_value
      - .offset:         152
        .size:           8
        .value_kind:     by_value
      - .offset:         160
        .size:           4
        .value_kind:     by_value
      - .offset:         164
        .size:           4
        .value_kind:     by_value
      - .offset:         168
        .size:           8
        .value_kind:     by_value
      - .offset:         176
        .size:           4
        .value_kind:     by_value
      - .offset:         180
        .size:           4
        .value_kind:     by_value
      - .offset:         184
        .size:           4
        .value_kind:     by_value
      - .offset:         188
        .size:           4
        .value_kind:     by_value
      - .offset:         192
        .size:           4
        .value_kind:     by_value
      - .offset:         200
        .size:           8
        .value_kind:     by_value
      - .offset:         208
        .size:           4
        .value_kind:     hidden_block_count_x
      - .offset:         212
        .size:           4
        .value_kind:     hidden_block_count_y
      - .offset:         216
        .size:           4
        .value_kind:     hidden_block_count_z
      - .offset:         220
        .size:           2
        .value_kind:     hidden_group_size_x
      - .offset:         222
        .size:           2
        .value_kind:     hidden_group_size_y
      - .offset:         224
        .size:           2
        .value_kind:     hidden_group_size_z
      - .offset:         226
        .size:           2
        .value_kind:     hidden_remainder_x
      - .offset:         228
        .size:           2
        .value_kind:     hidden_remainder_y
      - .offset:         230
        .size:           2
        .value_kind:     hidden_remainder_z
      - .offset:         248
        .size:           8
        .value_kind:     hidden_global_offset_x
      - .offset:         256
        .size:           8
        .value_kind:     hidden_global_offset_y
      - .offset:         264
        .size:           8
        .value_kind:     hidden_global_offset_z
      - .offset:         272
        .size:           2
        .value_kind:     hidden_grid_dims
      - .offset:         328
        .size:           4
        .value_kind:     hidden_dynamic_lds_size
    .group_segment_fixed_size: 0
    .kernarg_segment_align: 8
    .kernarg_segment_size: 464
    .language:       OpenCL C
    .language_version:
      - 2
      - 0
    .max_flat_workgroup_size: 512
    .name:           _ZL18flash_attn_ext_f16ILi256ELi256ELi8ELi8ELb0ELb0EEvPKcS1_S1_S1_S1_PKiPfP15HIP_vector_typeIfLj2EEffffjfiS5_IjLj3EEiiiiiiiiiiiliiliiiiil
    .private_segment_fixed_size: 140
    .sgpr_count:     106
    .sgpr_spill_count: 8
    .symbol:         _ZL18flash_attn_ext_f16ILi256ELi256ELi8ELi8ELb0ELb0EEvPKcS1_S1_S1_S1_PKiPfP15HIP_vector_typeIfLj2EEffffjfiS5_IjLj3EEiiiiiiiiiiiliiliiiiil.kd
    .uniform_work_group_size: 1
    .uses_dynamic_stack: false
    .vgpr_count:     256
    .vgpr_spill_count: 34
    .wavefront_size: 64
  - .agpr_count:     0
    .args:
      - .address_space:  global
        .offset:         0
        .size:           8
        .value_kind:     global_buffer
      - .address_space:  global
        .offset:         8
        .size:           8
        .value_kind:     global_buffer
      - .address_space:  global
        .offset:         16
        .size:           8
        .value_kind:     global_buffer
      - .address_space:  global
        .offset:         24
        .size:           8
        .value_kind:     global_buffer
      - .address_space:  global
        .offset:         32
        .size:           8
        .value_kind:     global_buffer
      - .address_space:  global
        .offset:         40
        .size:           8
        .value_kind:     global_buffer
      - .address_space:  global
        .offset:         48
        .size:           8
        .value_kind:     global_buffer
      - .address_space:  global
        .offset:         56
        .size:           8
        .value_kind:     global_buffer
      - .offset:         64
        .size:           4
        .value_kind:     by_value
      - .offset:         68
        .size:           4
        .value_kind:     by_value
      - .offset:         72
        .size:           4
        .value_kind:     by_value
      - .offset:         76
        .size:           4
        .value_kind:     by_value
      - .offset:         80
        .size:           4
        .value_kind:     by_value
      - .offset:         84
        .size:           4
        .value_kind:     by_value
      - .offset:         88
        .size:           4
        .value_kind:     by_value
      - .offset:         92
        .size:           12
        .value_kind:     by_value
      - .offset:         104
        .size:           4
        .value_kind:     by_value
      - .offset:         108
        .size:           4
        .value_kind:     by_value
      - .offset:         112
        .size:           4
        .value_kind:     by_value
      - .offset:         116
        .size:           4
        .value_kind:     by_value
      - .offset:         120
        .size:           4
        .value_kind:     by_value
      - .offset:         124
        .size:           4
        .value_kind:     by_value
      - .offset:         128
        .size:           4
        .value_kind:     by_value
      - .offset:         132
        .size:           4
        .value_kind:     by_value
      - .offset:         136
        .size:           4
        .value_kind:     by_value
      - .offset:         140
        .size:           4
        .value_kind:     by_value
      - .offset:         144
        .size:           4
        .value_kind:     by_value
      - .offset:         152
        .size:           8
        .value_kind:     by_value
      - .offset:         160
        .size:           4
        .value_kind:     by_value
      - .offset:         164
        .size:           4
        .value_kind:     by_value
      - .offset:         168
        .size:           8
        .value_kind:     by_value
      - .offset:         176
        .size:           4
        .value_kind:     by_value
      - .offset:         180
        .size:           4
        .value_kind:     by_value
      - .offset:         184
        .size:           4
        .value_kind:     by_value
      - .offset:         188
        .size:           4
        .value_kind:     by_value
      - .offset:         192
        .size:           4
        .value_kind:     by_value
      - .offset:         200
        .size:           8
        .value_kind:     by_value
      - .offset:         208
        .size:           4
        .value_kind:     hidden_block_count_x
      - .offset:         212
        .size:           4
        .value_kind:     hidden_block_count_y
      - .offset:         216
        .size:           4
        .value_kind:     hidden_block_count_z
      - .offset:         220
        .size:           2
        .value_kind:     hidden_group_size_x
      - .offset:         222
        .size:           2
        .value_kind:     hidden_group_size_y
      - .offset:         224
        .size:           2
        .value_kind:     hidden_group_size_z
      - .offset:         226
        .size:           2
        .value_kind:     hidden_remainder_x
      - .offset:         228
        .size:           2
        .value_kind:     hidden_remainder_y
      - .offset:         230
        .size:           2
        .value_kind:     hidden_remainder_z
      - .offset:         248
        .size:           8
        .value_kind:     hidden_global_offset_x
      - .offset:         256
        .size:           8
        .value_kind:     hidden_global_offset_y
      - .offset:         264
        .size:           8
        .value_kind:     hidden_global_offset_z
      - .offset:         272
        .size:           2
        .value_kind:     hidden_grid_dims
      - .offset:         328
        .size:           4
        .value_kind:     hidden_dynamic_lds_size
    .group_segment_fixed_size: 0
    .kernarg_segment_align: 8
    .kernarg_segment_size: 464
    .language:       OpenCL C
    .language_version:
      - 2
      - 0
    .max_flat_workgroup_size: 512
    .name:           _ZL18flash_attn_ext_f16ILi256ELi256ELi8ELi8ELb1ELb0EEvPKcS1_S1_S1_S1_PKiPfP15HIP_vector_typeIfLj2EEffffjfiS5_IjLj3EEiiiiiiiiiiiliiliiiiil
    .private_segment_fixed_size: 124
    .sgpr_count:     106
    .sgpr_spill_count: 2
    .symbol:         _ZL18flash_attn_ext_f16ILi256ELi256ELi8ELi8ELb1ELb0EEvPKcS1_S1_S1_S1_PKiPfP15HIP_vector_typeIfLj2EEffffjfiS5_IjLj3EEiiiiiiiiiiiliiliiiiil.kd
    .uniform_work_group_size: 1
    .uses_dynamic_stack: false
    .vgpr_count:     256
    .vgpr_spill_count: 30
    .wavefront_size: 64
  - .agpr_count:     0
    .args:
      - .address_space:  global
        .offset:         0
        .size:           8
        .value_kind:     global_buffer
      - .address_space:  global
        .offset:         8
        .size:           8
        .value_kind:     global_buffer
      - .offset:         16
        .size:           4
        .value_kind:     by_value
      - .offset:         20
        .size:           4
        .value_kind:     by_value
      - .offset:         24
        .size:           4
        .value_kind:     by_value
      - .offset:         28
        .size:           4
        .value_kind:     by_value
      - .offset:         32
        .size:           4
        .value_kind:     by_value
      - .offset:         36
        .size:           4
        .value_kind:     by_value
      - .offset:         40
        .size:           12
        .value_kind:     by_value
      - .offset:         52
        .size:           12
        .value_kind:     by_value
      - .offset:         64
        .size:           12
        .value_kind:     by_value
    .group_segment_fixed_size: 0
    .kernarg_segment_align: 8
    .kernarg_segment_size: 76
    .language:       OpenCL C
    .language_version:
      - 2
      - 0
    .max_flat_workgroup_size: 256
    .name:           _ZL33flash_attn_stream_k_fixup_uniformILi256ELi8ELi8EEvPfPK15HIP_vector_typeIfLj2EEiiiiiiS1_IjLj3EES5_S5_
    .private_segment_fixed_size: 0
    .sgpr_count:     30
    .sgpr_spill_count: 0
    .symbol:         _ZL33flash_attn_stream_k_fixup_uniformILi256ELi8ELi8EEvPfPK15HIP_vector_typeIfLj2EEiiiiiiS1_IjLj3EES5_S5_.kd
    .uniform_work_group_size: 1
    .uses_dynamic_stack: false
    .vgpr_count:     17
    .vgpr_spill_count: 0
    .wavefront_size: 64
  - .agpr_count:     0
    .args:
      - .address_space:  global
        .offset:         0
        .size:           8
        .value_kind:     global_buffer
      - .address_space:  global
        .offset:         8
        .size:           8
        .value_kind:     global_buffer
      - .offset:         16
        .size:           4
        .value_kind:     by_value
      - .offset:         20
        .size:           4
        .value_kind:     by_value
      - .offset:         24
        .size:           4
        .value_kind:     by_value
      - .offset:         28
        .size:           4
        .value_kind:     by_value
      - .offset:         32
        .size:           12
        .value_kind:     by_value
      - .offset:         44
        .size:           12
        .value_kind:     by_value
      - .offset:         56
        .size:           12
        .value_kind:     by_value
      - .offset:         68
        .size:           12
        .value_kind:     by_value
      - .offset:         80
        .size:           4
        .value_kind:     hidden_block_count_x
      - .offset:         84
        .size:           4
        .value_kind:     hidden_block_count_y
      - .offset:         88
        .size:           4
        .value_kind:     hidden_block_count_z
      - .offset:         92
        .size:           2
        .value_kind:     hidden_group_size_x
      - .offset:         94
        .size:           2
        .value_kind:     hidden_group_size_y
      - .offset:         96
        .size:           2
        .value_kind:     hidden_group_size_z
      - .offset:         98
        .size:           2
        .value_kind:     hidden_remainder_x
      - .offset:         100
        .size:           2
        .value_kind:     hidden_remainder_y
      - .offset:         102
        .size:           2
        .value_kind:     hidden_remainder_z
      - .offset:         120
        .size:           8
        .value_kind:     hidden_global_offset_x
      - .offset:         128
        .size:           8
        .value_kind:     hidden_global_offset_y
      - .offset:         136
        .size:           8
        .value_kind:     hidden_global_offset_z
      - .offset:         144
        .size:           2
        .value_kind:     hidden_grid_dims
    .group_segment_fixed_size: 0
    .kernarg_segment_align: 8
    .kernarg_segment_size: 336
    .language:       OpenCL C
    .language_version:
      - 2
      - 0
    .max_flat_workgroup_size: 256
    .name:           _ZL33flash_attn_stream_k_fixup_generalILi256ELi8ELi8EEvPfPK15HIP_vector_typeIfLj2EEiiiiS1_IjLj3EES5_S5_S5_
    .private_segment_fixed_size: 0
    .sgpr_count:     42
    .sgpr_spill_count: 0
    .symbol:         _ZL33flash_attn_stream_k_fixup_generalILi256ELi8ELi8EEvPfPK15HIP_vector_typeIfLj2EEiiiiS1_IjLj3EES5_S5_S5_.kd
    .uniform_work_group_size: 1
    .uses_dynamic_stack: false
    .vgpr_count:     18
    .vgpr_spill_count: 0
    .wavefront_size: 64
  - .agpr_count:     0
    .args:
      - .address_space:  global
        .offset:         0
        .size:           8
        .value_kind:     global_buffer
      - .address_space:  global
        .offset:         8
        .size:           8
        .value_kind:     global_buffer
      - .address_space:  global
        .offset:         16
        .size:           8
        .value_kind:     global_buffer
      - .offset:         24
        .size:           4
        .value_kind:     by_value
      - .offset:         32
        .size:           4
        .value_kind:     hidden_block_count_x
      - .offset:         36
        .size:           4
        .value_kind:     hidden_block_count_y
      - .offset:         40
        .size:           4
        .value_kind:     hidden_block_count_z
      - .offset:         44
        .size:           2
        .value_kind:     hidden_group_size_x
      - .offset:         46
        .size:           2
        .value_kind:     hidden_group_size_y
      - .offset:         48
        .size:           2
        .value_kind:     hidden_group_size_z
      - .offset:         50
        .size:           2
        .value_kind:     hidden_remainder_x
      - .offset:         52
        .size:           2
        .value_kind:     hidden_remainder_y
      - .offset:         54
        .size:           2
        .value_kind:     hidden_remainder_z
      - .offset:         72
        .size:           8
        .value_kind:     hidden_global_offset_x
      - .offset:         80
        .size:           8
        .value_kind:     hidden_global_offset_y
      - .offset:         88
        .size:           8
        .value_kind:     hidden_global_offset_z
      - .offset:         96
        .size:           2
        .value_kind:     hidden_grid_dims
      - .offset:         152
        .size:           4
        .value_kind:     hidden_dynamic_lds_size
    .group_segment_fixed_size: 0
    .kernarg_segment_align: 8
    .kernarg_segment_size: 288
    .language:       OpenCL C
    .language_version:
      - 2
      - 0
    .max_flat_workgroup_size: 256
    .name:           _ZL26flash_attn_combine_resultsILi256EEvPKfPK15HIP_vector_typeIfLj2EEPfi
    .private_segment_fixed_size: 0
    .sgpr_count:     32
    .sgpr_spill_count: 0
    .symbol:         _ZL26flash_attn_combine_resultsILi256EEvPKfPK15HIP_vector_typeIfLj2EEPfi.kd
    .uniform_work_group_size: 1
    .uses_dynamic_stack: false
    .vgpr_count:     59
    .vgpr_spill_count: 0
    .wavefront_size: 64
  - .agpr_count:     0
    .args:
      - .address_space:  global
        .offset:         0
        .size:           8
        .value_kind:     global_buffer
      - .address_space:  global
        .offset:         8
        .size:           8
        .value_kind:     global_buffer
      - .address_space:  global
        .offset:         16
        .size:           8
        .value_kind:     global_buffer
      - .address_space:  global
        .offset:         24
        .size:           8
        .value_kind:     global_buffer
      - .address_space:  global
        .offset:         32
        .size:           8
        .value_kind:     global_buffer
      - .address_space:  global
        .offset:         40
        .size:           8
        .value_kind:     global_buffer
      - .address_space:  global
        .offset:         48
        .size:           8
        .value_kind:     global_buffer
      - .address_space:  global
        .offset:         56
        .size:           8
        .value_kind:     global_buffer
      - .offset:         64
        .size:           4
        .value_kind:     by_value
      - .offset:         68
        .size:           4
        .value_kind:     by_value
      - .offset:         72
        .size:           4
        .value_kind:     by_value
      - .offset:         76
        .size:           4
        .value_kind:     by_value
      - .offset:         80
        .size:           4
        .value_kind:     by_value
      - .offset:         84
        .size:           4
        .value_kind:     by_value
      - .offset:         88
        .size:           4
        .value_kind:     by_value
      - .offset:         92
        .size:           12
        .value_kind:     by_value
      - .offset:         104
        .size:           4
        .value_kind:     by_value
      - .offset:         108
        .size:           4
        .value_kind:     by_value
      - .offset:         112
        .size:           4
        .value_kind:     by_value
      - .offset:         116
        .size:           4
        .value_kind:     by_value
      - .offset:         120
        .size:           4
        .value_kind:     by_value
      - .offset:         124
        .size:           4
        .value_kind:     by_value
      - .offset:         128
        .size:           4
        .value_kind:     by_value
      - .offset:         132
        .size:           4
        .value_kind:     by_value
      - .offset:         136
        .size:           4
        .value_kind:     by_value
      - .offset:         140
        .size:           4
        .value_kind:     by_value
      - .offset:         144
        .size:           4
        .value_kind:     by_value
      - .offset:         152
        .size:           8
        .value_kind:     by_value
      - .offset:         160
        .size:           4
        .value_kind:     by_value
      - .offset:         164
        .size:           4
        .value_kind:     by_value
      - .offset:         168
        .size:           8
        .value_kind:     by_value
      - .offset:         176
        .size:           4
        .value_kind:     by_value
      - .offset:         180
        .size:           4
        .value_kind:     by_value
      - .offset:         184
        .size:           4
        .value_kind:     by_value
      - .offset:         188
        .size:           4
        .value_kind:     by_value
      - .offset:         192
        .size:           4
        .value_kind:     by_value
      - .offset:         200
        .size:           8
        .value_kind:     by_value
      - .offset:         208
        .size:           4
        .value_kind:     hidden_block_count_x
      - .offset:         212
        .size:           4
        .value_kind:     hidden_block_count_y
      - .offset:         216
        .size:           4
        .value_kind:     hidden_block_count_z
      - .offset:         220
        .size:           2
        .value_kind:     hidden_group_size_x
      - .offset:         222
        .size:           2
        .value_kind:     hidden_group_size_y
      - .offset:         224
        .size:           2
        .value_kind:     hidden_group_size_z
      - .offset:         226
        .size:           2
        .value_kind:     hidden_remainder_x
      - .offset:         228
        .size:           2
        .value_kind:     hidden_remainder_y
      - .offset:         230
        .size:           2
        .value_kind:     hidden_remainder_z
      - .offset:         248
        .size:           8
        .value_kind:     hidden_global_offset_x
      - .offset:         256
        .size:           8
        .value_kind:     hidden_global_offset_y
      - .offset:         264
        .size:           8
        .value_kind:     hidden_global_offset_z
      - .offset:         272
        .size:           2
        .value_kind:     hidden_grid_dims
      - .offset:         288
        .size:           8
        .value_kind:     hidden_hostcall_buffer
    .group_segment_fixed_size: 0
    .kernarg_segment_align: 8
    .kernarg_segment_size: 464
    .language:       OpenCL C
    .language_version:
      - 2
      - 0
    .max_flat_workgroup_size: 256
    .name:           _ZL18flash_attn_ext_f16ILi512ELi512ELi8ELi8ELb0ELb0EEvPKcS1_S1_S1_S1_PKiPfP15HIP_vector_typeIfLj2EEffffjfiS5_IjLj3EEiiiiiiiiiiiliiliiiiil
    .private_segment_fixed_size: 16
    .sgpr_count:     40
    .sgpr_spill_count: 0
    .symbol:         _ZL18flash_attn_ext_f16ILi512ELi512ELi8ELi8ELb0ELb0EEvPKcS1_S1_S1_S1_PKiPfP15HIP_vector_typeIfLj2EEffffjfiS5_IjLj3EEiiiiiiiiiiiliiliiiiil.kd
    .uniform_work_group_size: 1
    .uses_dynamic_stack: false
    .vgpr_count:     50
    .vgpr_spill_count: 0
    .wavefront_size: 64
  - .agpr_count:     0
    .args:
      - .address_space:  global
        .offset:         0
        .size:           8
        .value_kind:     global_buffer
      - .address_space:  global
        .offset:         8
        .size:           8
        .value_kind:     global_buffer
      - .address_space:  global
        .offset:         16
        .size:           8
        .value_kind:     global_buffer
      - .address_space:  global
        .offset:         24
        .size:           8
        .value_kind:     global_buffer
      - .address_space:  global
        .offset:         32
        .size:           8
        .value_kind:     global_buffer
      - .address_space:  global
        .offset:         40
        .size:           8
        .value_kind:     global_buffer
      - .address_space:  global
        .offset:         48
        .size:           8
        .value_kind:     global_buffer
      - .address_space:  global
        .offset:         56
        .size:           8
        .value_kind:     global_buffer
      - .offset:         64
        .size:           4
        .value_kind:     by_value
      - .offset:         68
        .size:           4
        .value_kind:     by_value
      - .offset:         72
        .size:           4
        .value_kind:     by_value
      - .offset:         76
        .size:           4
        .value_kind:     by_value
      - .offset:         80
        .size:           4
        .value_kind:     by_value
      - .offset:         84
        .size:           4
        .value_kind:     by_value
      - .offset:         88
        .size:           4
        .value_kind:     by_value
      - .offset:         92
        .size:           12
        .value_kind:     by_value
      - .offset:         104
        .size:           4
        .value_kind:     by_value
      - .offset:         108
        .size:           4
        .value_kind:     by_value
      - .offset:         112
        .size:           4
        .value_kind:     by_value
      - .offset:         116
        .size:           4
        .value_kind:     by_value
      - .offset:         120
        .size:           4
        .value_kind:     by_value
      - .offset:         124
        .size:           4
        .value_kind:     by_value
      - .offset:         128
        .size:           4
        .value_kind:     by_value
      - .offset:         132
        .size:           4
        .value_kind:     by_value
      - .offset:         136
        .size:           4
        .value_kind:     by_value
      - .offset:         140
        .size:           4
        .value_kind:     by_value
      - .offset:         144
        .size:           4
        .value_kind:     by_value
      - .offset:         152
        .size:           8
        .value_kind:     by_value
      - .offset:         160
        .size:           4
        .value_kind:     by_value
      - .offset:         164
        .size:           4
        .value_kind:     by_value
      - .offset:         168
        .size:           8
        .value_kind:     by_value
      - .offset:         176
        .size:           4
        .value_kind:     by_value
      - .offset:         180
        .size:           4
        .value_kind:     by_value
      - .offset:         184
        .size:           4
        .value_kind:     by_value
      - .offset:         188
        .size:           4
        .value_kind:     by_value
      - .offset:         192
        .size:           4
        .value_kind:     by_value
      - .offset:         200
        .size:           8
        .value_kind:     by_value
      - .offset:         208
        .size:           4
        .value_kind:     hidden_block_count_x
      - .offset:         212
        .size:           4
        .value_kind:     hidden_block_count_y
      - .offset:         216
        .size:           4
        .value_kind:     hidden_block_count_z
      - .offset:         220
        .size:           2
        .value_kind:     hidden_group_size_x
      - .offset:         222
        .size:           2
        .value_kind:     hidden_group_size_y
      - .offset:         224
        .size:           2
        .value_kind:     hidden_group_size_z
      - .offset:         226
        .size:           2
        .value_kind:     hidden_remainder_x
      - .offset:         228
        .size:           2
        .value_kind:     hidden_remainder_y
      - .offset:         230
        .size:           2
        .value_kind:     hidden_remainder_z
      - .offset:         248
        .size:           8
        .value_kind:     hidden_global_offset_x
      - .offset:         256
        .size:           8
        .value_kind:     hidden_global_offset_y
      - .offset:         264
        .size:           8
        .value_kind:     hidden_global_offset_z
      - .offset:         272
        .size:           2
        .value_kind:     hidden_grid_dims
      - .offset:         288
        .size:           8
        .value_kind:     hidden_hostcall_buffer
    .group_segment_fixed_size: 0
    .kernarg_segment_align: 8
    .kernarg_segment_size: 464
    .language:       OpenCL C
    .language_version:
      - 2
      - 0
    .max_flat_workgroup_size: 256
    .name:           _ZL18flash_attn_ext_f16ILi512ELi512ELi8ELi8ELb1ELb0EEvPKcS1_S1_S1_S1_PKiPfP15HIP_vector_typeIfLj2EEffffjfiS5_IjLj3EEiiiiiiiiiiiliiliiiiil
    .private_segment_fixed_size: 16
    .sgpr_count:     40
    .sgpr_spill_count: 0
    .symbol:         _ZL18flash_attn_ext_f16ILi512ELi512ELi8ELi8ELb1ELb0EEvPKcS1_S1_S1_S1_PKiPfP15HIP_vector_typeIfLj2EEffffjfiS5_IjLj3EEiiiiiiiiiiiliiliiiiil.kd
    .uniform_work_group_size: 1
    .uses_dynamic_stack: false
    .vgpr_count:     50
    .vgpr_spill_count: 0
    .wavefront_size: 64
  - .agpr_count:     0
    .args:
      - .address_space:  global
        .offset:         0
        .size:           8
        .value_kind:     global_buffer
      - .address_space:  global
        .offset:         8
        .size:           8
        .value_kind:     global_buffer
      - .offset:         16
        .size:           4
        .value_kind:     by_value
      - .offset:         20
        .size:           4
        .value_kind:     by_value
      - .offset:         24
        .size:           4
        .value_kind:     by_value
      - .offset:         28
        .size:           4
        .value_kind:     by_value
      - .offset:         32
        .size:           4
        .value_kind:     by_value
      - .offset:         36
        .size:           4
        .value_kind:     by_value
      - .offset:         40
        .size:           12
        .value_kind:     by_value
      - .offset:         52
        .size:           12
        .value_kind:     by_value
      - .offset:         64
        .size:           12
        .value_kind:     by_value
    .group_segment_fixed_size: 0
    .kernarg_segment_align: 8
    .kernarg_segment_size: 76
    .language:       OpenCL C
    .language_version:
      - 2
      - 0
    .max_flat_workgroup_size: 512
    .name:           _ZL33flash_attn_stream_k_fixup_uniformILi512ELi8ELi8EEvPfPK15HIP_vector_typeIfLj2EEiiiiiiS1_IjLj3EES5_S5_
    .private_segment_fixed_size: 0
    .sgpr_count:     30
    .sgpr_spill_count: 0
    .symbol:         _ZL33flash_attn_stream_k_fixup_uniformILi512ELi8ELi8EEvPfPK15HIP_vector_typeIfLj2EEiiiiiiS1_IjLj3EES5_S5_.kd
    .uniform_work_group_size: 1
    .uses_dynamic_stack: false
    .vgpr_count:     17
    .vgpr_spill_count: 0
    .wavefront_size: 64
  - .agpr_count:     0
    .args:
      - .address_space:  global
        .offset:         0
        .size:           8
        .value_kind:     global_buffer
      - .address_space:  global
        .offset:         8
        .size:           8
        .value_kind:     global_buffer
      - .offset:         16
        .size:           4
        .value_kind:     by_value
      - .offset:         20
        .size:           4
        .value_kind:     by_value
      - .offset:         24
        .size:           4
        .value_kind:     by_value
      - .offset:         28
        .size:           4
        .value_kind:     by_value
      - .offset:         32
        .size:           12
        .value_kind:     by_value
      - .offset:         44
        .size:           12
        .value_kind:     by_value
      - .offset:         56
        .size:           12
        .value_kind:     by_value
      - .offset:         68
        .size:           12
        .value_kind:     by_value
      - .offset:         80
        .size:           4
        .value_kind:     hidden_block_count_x
      - .offset:         84
        .size:           4
        .value_kind:     hidden_block_count_y
      - .offset:         88
        .size:           4
        .value_kind:     hidden_block_count_z
      - .offset:         92
        .size:           2
        .value_kind:     hidden_group_size_x
      - .offset:         94
        .size:           2
        .value_kind:     hidden_group_size_y
      - .offset:         96
        .size:           2
        .value_kind:     hidden_group_size_z
      - .offset:         98
        .size:           2
        .value_kind:     hidden_remainder_x
      - .offset:         100
        .size:           2
        .value_kind:     hidden_remainder_y
      - .offset:         102
        .size:           2
        .value_kind:     hidden_remainder_z
      - .offset:         120
        .size:           8
        .value_kind:     hidden_global_offset_x
      - .offset:         128
        .size:           8
        .value_kind:     hidden_global_offset_y
      - .offset:         136
        .size:           8
        .value_kind:     hidden_global_offset_z
      - .offset:         144
        .size:           2
        .value_kind:     hidden_grid_dims
    .group_segment_fixed_size: 0
    .kernarg_segment_align: 8
    .kernarg_segment_size: 336
    .language:       OpenCL C
    .language_version:
      - 2
      - 0
    .max_flat_workgroup_size: 512
    .name:           _ZL33flash_attn_stream_k_fixup_generalILi512ELi8ELi8EEvPfPK15HIP_vector_typeIfLj2EEiiiiS1_IjLj3EES5_S5_S5_
    .private_segment_fixed_size: 0
    .sgpr_count:     42
    .sgpr_spill_count: 0
    .symbol:         _ZL33flash_attn_stream_k_fixup_generalILi512ELi8ELi8EEvPfPK15HIP_vector_typeIfLj2EEiiiiS1_IjLj3EES5_S5_S5_.kd
    .uniform_work_group_size: 1
    .uses_dynamic_stack: false
    .vgpr_count:     18
    .vgpr_spill_count: 0
    .wavefront_size: 64
  - .agpr_count:     0
    .args:
      - .address_space:  global
        .offset:         0
        .size:           8
        .value_kind:     global_buffer
      - .address_space:  global
        .offset:         8
        .size:           8
        .value_kind:     global_buffer
      - .address_space:  global
        .offset:         16
        .size:           8
        .value_kind:     global_buffer
      - .offset:         24
        .size:           4
        .value_kind:     by_value
      - .offset:         32
        .size:           4
        .value_kind:     hidden_block_count_x
      - .offset:         36
        .size:           4
        .value_kind:     hidden_block_count_y
      - .offset:         40
        .size:           4
        .value_kind:     hidden_block_count_z
      - .offset:         44
        .size:           2
        .value_kind:     hidden_group_size_x
      - .offset:         46
        .size:           2
        .value_kind:     hidden_group_size_y
      - .offset:         48
        .size:           2
        .value_kind:     hidden_group_size_z
      - .offset:         50
        .size:           2
        .value_kind:     hidden_remainder_x
      - .offset:         52
        .size:           2
        .value_kind:     hidden_remainder_y
      - .offset:         54
        .size:           2
        .value_kind:     hidden_remainder_z
      - .offset:         72
        .size:           8
        .value_kind:     hidden_global_offset_x
      - .offset:         80
        .size:           8
        .value_kind:     hidden_global_offset_y
      - .offset:         88
        .size:           8
        .value_kind:     hidden_global_offset_z
      - .offset:         96
        .size:           2
        .value_kind:     hidden_grid_dims
      - .offset:         152
        .size:           4
        .value_kind:     hidden_dynamic_lds_size
    .group_segment_fixed_size: 0
    .kernarg_segment_align: 8
    .kernarg_segment_size: 288
    .language:       OpenCL C
    .language_version:
      - 2
      - 0
    .max_flat_workgroup_size: 512
    .name:           _ZL26flash_attn_combine_resultsILi512EEvPKfPK15HIP_vector_typeIfLj2EEPfi
    .private_segment_fixed_size: 0
    .sgpr_count:     32
    .sgpr_spill_count: 0
    .symbol:         _ZL26flash_attn_combine_resultsILi512EEvPKfPK15HIP_vector_typeIfLj2EEPfi.kd
    .uniform_work_group_size: 1
    .uses_dynamic_stack: false
    .vgpr_count:     59
    .vgpr_spill_count: 0
    .wavefront_size: 64
amdhsa.target:   amdgcn-amd-amdhsa--gfx950
amdhsa.version:
  - 1
  - 2
...

	.end_amdgpu_metadata
